;; amdgpu-corpus repo=ggml-org/llama.cpp kind=compiled arch=gfx1030 opt=O3
	.amdgcn_target "amdgcn-amd-amdhsa--gfx1030"
	.amdhsa_code_object_version 6
	.section	.text._ZL13mul_mat_vec_fIffLi1ELi32ELb1ELb1EEvPKT_PKfPKi31ggml_cuda_mm_fusion_args_devicePfi15HIP_vector_typeIjLj3EEiiiSA_iiiSA_iiii,"axG",@progbits,_ZL13mul_mat_vec_fIffLi1ELi32ELb1ELb1EEvPKT_PKfPKi31ggml_cuda_mm_fusion_args_devicePfi15HIP_vector_typeIjLj3EEiiiSA_iiiSA_iiii,comdat
	.globl	_ZL13mul_mat_vec_fIffLi1ELi32ELb1ELb1EEvPKT_PKfPKi31ggml_cuda_mm_fusion_args_devicePfi15HIP_vector_typeIjLj3EEiiiSA_iiiSA_iiii ; -- Begin function _ZL13mul_mat_vec_fIffLi1ELi32ELb1ELb1EEvPKT_PKfPKi31ggml_cuda_mm_fusion_args_devicePfi15HIP_vector_typeIjLj3EEiiiSA_iiiSA_iiii
	.p2align	8
	.type	_ZL13mul_mat_vec_fIffLi1ELi32ELb1ELb1EEvPKT_PKfPKi31ggml_cuda_mm_fusion_args_devicePfi15HIP_vector_typeIjLj3EEiiiSA_iiiSA_iiii,@function
_ZL13mul_mat_vec_fIffLi1ELi32ELb1ELb1EEvPKT_PKfPKi31ggml_cuda_mm_fusion_args_devicePfi15HIP_vector_typeIjLj3EEiiiSA_iiiSA_iiii: ; @_ZL13mul_mat_vec_fIffLi1ELi32ELb1ELb1EEvPKT_PKfPKi31ggml_cuda_mm_fusion_args_devicePfi15HIP_vector_typeIjLj3EEiiiSA_iiiSA_iiii
; %bb.0:
	s_clause 0x3
	s_load_dword s1, s[4:5], 0x8c
	s_load_dwordx8 s[20:27], s[4:5], 0x0
	s_load_dwordx4 s[36:39], s[4:5], 0x20
	s_load_dwordx8 s[12:19], s[4:5], 0x40
	v_mov_b32_e32 v11, 0
	v_mov_b32_e32 v12, 0
	s_mov_b32 s0, s7
	s_waitcnt lgkmcnt(0)
	s_mul_i32 s1, s1, s8
	s_add_i32 s2, s1, s7
	s_mov_b32 s7, exec_lo
	s_ashr_i32 s3, s2, 31
	s_lshl_b64 s[2:3], s[2:3], 2
	s_add_u32 s2, s24, s2
	s_addc_u32 s3, s25, s3
	s_load_dwordx4 s[28:31], s[4:5], 0x68
	s_load_dword s3, s[2:3], 0x0
	s_cmp_lg_u64 s[36:37], 0
	s_cselect_b32 s1, -1, 0
	v_cmpx_gt_i32_e64 s12, v0
	s_cbranch_execz .LBB0_6
; %bb.1:
	s_mul_hi_u32 s2, s13, s0
	s_waitcnt lgkmcnt(0)
	s_mul_i32 s9, s3, s28
	s_add_i32 s2, s0, s2
	s_mul_i32 s10, s16, s6
	s_lshr_b32 s2, s2, s14
	s_ashr_i32 s11, s9, 31
	s_mul_i32 s2, s2, s15
	s_ashr_i32 s13, s10, 31
	s_sub_i32 s2, s0, s2
	s_add_u32 s10, s9, s10
	s_mul_i32 s9, s8, s17
	s_addc_u32 s11, s11, s13
	s_mul_i32 s14, s2, s29
	s_lshl_b32 s16, s9, 1
	s_ashr_i32 s15, s14, 31
	s_ashr_i32 s17, s16, 31
	s_and_b32 s2, s1, exec_lo
	s_cselect_b32 s29, s11, 0
	s_cselect_b32 s28, s10, 0
	v_lshlrev_b32_e32 v3, 3, v0
	s_cselect_b32 s2, s37, 0
	s_cselect_b32 s9, s36, 0
	s_lshl_b64 s[28:29], s[28:29], 2
	v_mov_b32_e32 v11, 0
	s_add_u32 s9, s9, s28
	s_addc_u32 s2, s2, s29
	v_add_co_u32 v1, s9, s9, v3
	s_lshl_b64 s[14:15], s[14:15], 2
	s_lshl_b64 s[16:17], s[16:17], 2
	v_add_co_ci_u32_e64 v2, null, s2, 0, s9
	s_add_u32 s2, s22, s14
	s_addc_u32 s9, s23, s15
	s_add_u32 s2, s2, s16
	s_addc_u32 s9, s9, s17
	s_lshl_b64 s[10:11], s[10:11], 2
	v_add_co_u32 v4, s2, s2, v3
	v_add_co_ci_u32_e64 v5, null, s9, 0, s2
	s_add_u32 s2, s20, s10
	s_addc_u32 s9, s21, s11
	v_add_co_u32 v6, s2, s2, v3
	v_add_co_u32 v1, vcc_lo, v1, 4
	v_add_co_ci_u32_e64 v7, null, s9, 0, s2
	v_add_co_ci_u32_e64 v2, null, 0, v2, vcc_lo
	v_add_co_u32 v3, vcc_lo, v4, 4
	v_add_co_ci_u32_e64 v4, null, 0, v5, vcc_lo
	v_add_co_u32 v5, vcc_lo, v6, 4
	v_add_co_ci_u32_e64 v6, null, 0, v7, vcc_lo
	v_mov_b32_e32 v13, v0
	v_mov_b32_e32 v12, 0
	s_mov_b32 s9, 0
	s_inst_prefetch 0x1
	s_branch .LBB0_3
	.p2align	6
.LBB0_2:                                ;   in Loop: Header=BB0_3 Depth=1
	global_load_dwordx2 v[14:15], v[3:4], off offset:-4
	v_add_nc_u32_e32 v13, 32, v13
	v_add_co_u32 v1, vcc_lo, 0x100, v1
	v_add_co_ci_u32_e64 v2, null, 0, v2, vcc_lo
	v_add_co_u32 v3, vcc_lo, 0x100, v3
	v_add_co_ci_u32_e64 v4, null, 0, v4, vcc_lo
	v_cmp_le_i32_e32 vcc_lo, s12, v13
	v_add_co_u32 v5, s2, 0x100, v5
	v_add_co_ci_u32_e64 v6, null, 0, v6, s2
	s_or_b32 s9, vcc_lo, s9
	s_waitcnt vmcnt(0)
	v_fma_f32 v9, v9, v14, v11
	v_fmac_f32_e32 v12, v7, v14
	v_fmac_f32_e32 v9, v10, v15
	;; [unrolled: 1-line block ×3, first 2 shown]
	v_cndmask_b32_e64 v11, v11, v9, s1
	s_andn2_b32 exec_lo, exec_lo, s9
	s_cbranch_execz .LBB0_5
.LBB0_3:                                ; =>This Inner Loop Header: Depth=1
	global_load_dwordx2 v[7:8], v[5:6], off offset:-4
	v_mov_b32_e32 v10, 0
	v_mov_b32_e32 v9, 0
	s_andn2_b32 vcc_lo, exec_lo, s1
	s_cbranch_vccnz .LBB0_2
; %bb.4:                                ;   in Loop: Header=BB0_3 Depth=1
	global_load_dwordx2 v[9:10], v[1:2], off offset:-4
	s_branch .LBB0_2
.LBB0_5:
	s_inst_prefetch 0x2
	s_or_b32 exec_lo, exec_lo, s9
.LBB0_6:
	s_or_b32 exec_lo, exec_lo, s7
	v_mbcnt_lo_u32_b32 v2, -1, 0
	s_load_dword s9, s[4:5], 0x30
	v_xor_b32_e32 v1, 16, v2
	v_xor_b32_e32 v4, 8, v2
	;; [unrolled: 1-line block ×3, first 2 shown]
	v_cmp_gt_i32_e32 vcc_lo, 32, v1
	v_cndmask_b32_e32 v1, v2, v1, vcc_lo
	v_cmp_gt_i32_e32 vcc_lo, 32, v4
	v_lshlrev_b32_e32 v1, 2, v1
	v_cndmask_b32_e32 v4, v2, v4, vcc_lo
	v_cmp_gt_i32_e32 vcc_lo, 32, v5
	ds_bpermute_b32 v3, v1, v12
	v_lshlrev_b32_e32 v4, 2, v4
	v_cndmask_b32_e32 v5, v2, v5, vcc_lo
	v_lshlrev_b32_e32 v5, 2, v5
	s_waitcnt lgkmcnt(0)
	v_add_f32_e32 v3, v12, v3
	ds_bpermute_b32 v6, v4, v3
	s_waitcnt lgkmcnt(0)
	v_add_f32_e32 v3, v3, v6
	v_xor_b32_e32 v6, 2, v2
	ds_bpermute_b32 v7, v5, v3
	v_cmp_gt_i32_e32 vcc_lo, 32, v6
	v_cndmask_b32_e32 v6, v2, v6, vcc_lo
	v_lshlrev_b32_e32 v6, 2, v6
	s_waitcnt lgkmcnt(0)
	v_add_f32_e32 v3, v3, v7
	v_xor_b32_e32 v7, 1, v2
	ds_bpermute_b32 v8, v6, v3
	v_cmp_gt_i32_e32 vcc_lo, 32, v7
	v_cndmask_b32_e32 v2, v2, v7, vcc_lo
	s_and_b32 vcc_lo, exec_lo, s1
	v_lshlrev_b32_e32 v7, 2, v2
	s_waitcnt lgkmcnt(0)
	v_add_f32_e32 v2, v3, v8
	ds_bpermute_b32 v3, v7, v2
	s_cbranch_vccz .LBB0_8
; %bb.7:
	ds_bpermute_b32 v1, v1, v11
	s_waitcnt lgkmcnt(0)
	v_add_f32_e32 v1, v11, v1
	ds_bpermute_b32 v4, v4, v1
	s_waitcnt lgkmcnt(0)
	v_add_f32_e32 v1, v1, v4
	;; [unrolled: 3-line block ×5, first 2 shown]
.LBB0_8:
	s_mov_b32 s2, exec_lo
	v_cmpx_eq_u32_e32 0, v0
	s_cbranch_execz .LBB0_32
; %bb.9:
	s_cmp_eq_u64 s[26:27], 0
	s_waitcnt lgkmcnt(0)
	v_add_f32_e32 v0, v2, v3
	s_cselect_b32 s7, -1, 0
	s_cmp_eq_u64 s[24:25], 0
	s_cselect_b32 s2, s0, s3
	s_mul_i32 s2, s2, s30
	s_ashr_i32 s3, s2, 31
	s_and_b32 vcc_lo, exec_lo, s7
	s_cbranch_vccnz .LBB0_11
; %bb.10:
	s_cselect_b32 s7, 0, s27
	s_cselect_b32 s12, 0, s26
	s_lshl_b64 s[10:11], s[2:3], 2
	s_add_u32 s12, s12, s10
	s_addc_u32 s13, s7, s11
	s_ashr_i32 s7, s6, 31
	s_lshl_b64 s[10:11], s[6:7], 2
	s_add_u32 s10, s12, s10
	s_addc_u32 s11, s13, s11
	s_load_dword s7, s[10:11], 0x0
	s_waitcnt lgkmcnt(0)
	v_add_f32_e32 v0, s7, v0
.LBB0_11:
	s_andn2_b32 vcc_lo, exec_lo, s1
	s_cbranch_vccnz .LBB0_31
; %bb.12:
	s_cmp_lg_u64 s[38:39], 0
	s_cselect_b32 s7, -1, 0
	s_and_b32 s1, s7, s1
	s_andn2_b32 vcc_lo, exec_lo, s1
	s_cbranch_vccnz .LBB0_14
; %bb.13:
	s_and_b32 s1, s1, exec_lo
	s_cselect_b32 s3, s3, 0
	s_cselect_b32 s2, s2, 0
	s_and_b32 s1, s7, exec_lo
	s_cselect_b32 s1, s39, 0
	s_cselect_b32 s7, s38, 0
	s_lshl_b64 s[2:3], s[2:3], 2
	s_add_u32 s10, s7, s2
	s_addc_u32 s1, s1, s3
	s_ashr_i32 s7, s6, 31
	s_lshl_b64 s[2:3], s[6:7], 2
	s_add_u32 s2, s10, s2
	s_addc_u32 s3, s1, s3
	s_load_dword s1, s[2:3], 0x0
	s_waitcnt lgkmcnt(0)
	v_add_f32_e32 v11, s1, v11
.LBB0_14:
	s_cmp_lt_i32 s9, 2
	s_cbranch_scc1 .LBB0_19
; %bb.15:
	s_cmp_lt_i32 s9, 3
	s_cbranch_scc1 .LBB0_20
; %bb.16:
	v_mov_b32_e32 v1, v0
	s_cmp_eq_u32 s9, 3
	s_cbranch_scc0 .LBB0_18
; %bb.17:
	v_max_f32_e32 v1, v11, v11
	v_min_f32_e32 v1, 0x40e00000, v1
	v_mul_f32_e32 v2, 0xbfd9db23, v1
	v_mul_f32_e32 v3, 0x3fb8aa3b, v2
	v_cmp_ngt_f32_e32 vcc_lo, 0xc2ce8ed0, v2
	v_fma_f32 v4, 0x3fb8aa3b, v2, -v3
	v_rndne_f32_e32 v5, v3
	v_fmamk_f32 v4, v2, 0x32a5705f, v4
	v_sub_f32_e32 v3, v3, v5
	v_add_f32_e32 v3, v3, v4
	v_cvt_i32_f32_e32 v4, v5
	v_exp_f32_e32 v3, v3
	v_ldexp_f32 v3, v3, v4
	v_cndmask_b32_e32 v3, 0, v3, vcc_lo
	v_cmp_nlt_f32_e32 vcc_lo, 0x42b17218, v2
	v_cndmask_b32_e32 v2, 0x7f800000, v3, vcc_lo
	v_add_f32_e32 v2, 1.0, v2
	v_div_scale_f32 v3, null, v2, v2, v1
	v_div_scale_f32 v6, vcc_lo, v1, v2, v1
	v_rcp_f32_e32 v4, v3
	v_fma_f32 v5, -v3, v4, 1.0
	v_fmac_f32_e32 v4, v5, v4
	v_mul_f32_e32 v5, v6, v4
	v_fma_f32 v7, -v3, v5, v6
	v_fmac_f32_e32 v5, v7, v4
	v_max_f32_e32 v7, v0, v0
	v_fma_f32 v3, -v3, v5, v6
	v_min_f32_e32 v6, 0x40e00000, v7
	v_div_fmas_f32 v3, v3, v4, v5
	v_max_f32_e32 v4, 0xc0e00000, v6
	v_div_fixup_f32 v1, v3, v2, v1
	v_add_f32_e32 v2, 1.0, v4
	v_mul_f32_e32 v1, v2, v1
.LBB0_18:
	s_cbranch_execz .LBB0_21
	s_branch .LBB0_22
.LBB0_19:
                                        ; implicit-def: $vgpr1
	s_branch .LBB0_23
.LBB0_20:
                                        ; implicit-def: $vgpr1
.LBB0_21:
	v_mul_f32_e32 v1, 0xbfb8aa3b, v11
	v_cmp_nlt_f32_e32 vcc_lo, 0x42ce8ed0, v11
	v_rndne_f32_e32 v2, v1
	v_fma_f32 v3, 0xbfb8aa3b, v11, -v1
	v_sub_f32_e32 v1, v1, v2
	v_fmamk_f32 v3, v11, 0xb2a5705f, v3
	v_cvt_i32_f32_e32 v2, v2
	v_add_f32_e32 v1, v1, v3
	v_exp_f32_e32 v1, v1
	v_ldexp_f32 v1, v1, v2
	v_cndmask_b32_e32 v1, 0, v1, vcc_lo
	v_cmp_ngt_f32_e32 vcc_lo, 0xc2b17218, v11
	v_cndmask_b32_e32 v1, 0x7f800000, v1, vcc_lo
	v_add_f32_e32 v1, 1.0, v1
	v_div_scale_f32 v2, null, v1, v1, v11
	v_rcp_f32_e32 v3, v2
	v_fma_f32 v4, -v2, v3, 1.0
	v_fmac_f32_e32 v3, v4, v3
	v_div_scale_f32 v4, vcc_lo, v11, v1, v11
	v_mul_f32_e32 v5, v4, v3
	v_fma_f32 v6, -v2, v5, v4
	v_fmac_f32_e32 v5, v6, v3
	v_fma_f32 v2, -v2, v5, v4
	v_div_fmas_f32 v2, v2, v3, v5
	v_div_fixup_f32 v1, v2, v1, v11
	v_mul_f32_e32 v1, v0, v1
.LBB0_22:
	s_cbranch_execnz .LBB0_30
.LBB0_23:
	s_cmp_eq_u32 s9, 1
	s_cbranch_scc0 .LBB0_29
; %bb.24:
	v_mul_f32_e32 v1, 0x3d372713, v11
	v_mul_f32_e32 v2, 0x3f4c422a, v11
	v_fma_f32 v1, v11, v1, 1.0
	v_mul_f32_e32 v1, v2, v1
                                        ; implicit-def: $vgpr2
	v_cmp_ngt_f32_e64 s1, 0x3f200000, |v1|
	s_and_saveexec_b32 s2, s1
	s_xor_b32 s1, exec_lo, s2
	s_cbranch_execz .LBB0_26
; %bb.25:
	v_add_f32_e64 v2, |v1|, |v1|
	v_mul_f32_e32 v3, 0x3fb8aa3b, v2
	v_cmp_ngt_f32_e32 vcc_lo, 0xc2ce8ed0, v2
	v_rndne_f32_e32 v4, v3
	v_fma_f32 v5, 0x3fb8aa3b, v2, -v3
	v_sub_f32_e32 v3, v3, v4
	v_fmamk_f32 v5, v2, 0x32a5705f, v5
	v_cvt_i32_f32_e32 v4, v4
	v_add_f32_e32 v3, v3, v5
	v_exp_f32_e32 v3, v3
	v_ldexp_f32 v3, v3, v4
	v_cndmask_b32_e32 v3, 0, v3, vcc_lo
	v_cmp_nlt_f32_e32 vcc_lo, 0x42b17218, v2
	v_cndmask_b32_e32 v2, 0x7f800000, v3, vcc_lo
	v_add_f32_e32 v2, 1.0, v2
	v_rcp_f32_e32 v2, v2
	v_fma_f32 v2, v2, -2.0, 1.0
.LBB0_26:
	s_andn2_saveexec_b32 s1, s1
	s_cbranch_execz .LBB0_28
; %bb.27:
	v_mul_f32_e32 v2, v1, v1
	s_mov_b32 s2, 0xbbbac73d
	v_fmaak_f32 v3, s2, v2, 0x3ca908c9
	v_fmaak_f32 v3, v2, v3, 0xbd5c1c4e
	;; [unrolled: 1-line block ×4, first 2 shown]
	v_mul_f32_e64 v3, |v1|, v3
	v_fma_f32 v2, v2, v3, |v1|
.LBB0_28:
	s_or_b32 exec_lo, exec_lo, s1
	v_bfi_b32 v1, 0x7fffffff, v2, v1
	v_mul_f32_e32 v2, 0.5, v11
	v_add_f32_e32 v1, 1.0, v1
	v_mul_f32_e32 v1, v2, v1
	v_mul_f32_e32 v0, v0, v1
.LBB0_29:
	v_mov_b32_e32 v1, v0
.LBB0_30:
	v_mov_b32_e32 v0, v1
.LBB0_31:
	s_load_dwordx2 s[2:3], s[4:5], 0x38
	s_mul_i32 s0, s30, s0
	s_mul_i32 s4, s18, s8
	s_ashr_i32 s1, s0, 31
	s_ashr_i32 s5, s4, 31
	s_lshl_b64 s[0:1], s[0:1], 2
	v_mov_b32_e32 v1, 0
	s_waitcnt lgkmcnt(0)
	s_add_u32 s2, s2, s0
	s_addc_u32 s3, s3, s1
	s_lshl_b64 s[0:1], s[4:5], 2
	s_add_u32 s2, s2, s0
	s_addc_u32 s3, s3, s1
	s_ashr_i32 s7, s6, 31
	s_lshl_b64 s[0:1], s[6:7], 2
	s_add_u32 s0, s2, s0
	s_addc_u32 s1, s3, s1
	global_store_dword v1, v0, s[0:1]
.LBB0_32:
	s_endpgm
	.section	.rodata,"a",@progbits
	.p2align	6, 0x0
	.amdhsa_kernel _ZL13mul_mat_vec_fIffLi1ELi32ELb1ELb1EEvPKT_PKfPKi31ggml_cuda_mm_fusion_args_devicePfi15HIP_vector_typeIjLj3EEiiiSA_iiiSA_iiii
		.amdhsa_group_segment_fixed_size 0
		.amdhsa_private_segment_fixed_size 0
		.amdhsa_kernarg_size 144
		.amdhsa_user_sgpr_count 6
		.amdhsa_user_sgpr_private_segment_buffer 1
		.amdhsa_user_sgpr_dispatch_ptr 0
		.amdhsa_user_sgpr_queue_ptr 0
		.amdhsa_user_sgpr_kernarg_segment_ptr 1
		.amdhsa_user_sgpr_dispatch_id 0
		.amdhsa_user_sgpr_flat_scratch_init 0
		.amdhsa_user_sgpr_private_segment_size 0
		.amdhsa_wavefront_size32 1
		.amdhsa_uses_dynamic_stack 0
		.amdhsa_system_sgpr_private_segment_wavefront_offset 0
		.amdhsa_system_sgpr_workgroup_id_x 1
		.amdhsa_system_sgpr_workgroup_id_y 1
		.amdhsa_system_sgpr_workgroup_id_z 1
		.amdhsa_system_sgpr_workgroup_info 0
		.amdhsa_system_vgpr_workitem_id 0
		.amdhsa_next_free_vgpr 16
		.amdhsa_next_free_sgpr 40
		.amdhsa_reserve_vcc 1
		.amdhsa_reserve_flat_scratch 0
		.amdhsa_float_round_mode_32 0
		.amdhsa_float_round_mode_16_64 0
		.amdhsa_float_denorm_mode_32 3
		.amdhsa_float_denorm_mode_16_64 3
		.amdhsa_dx10_clamp 1
		.amdhsa_ieee_mode 1
		.amdhsa_fp16_overflow 0
		.amdhsa_workgroup_processor_mode 1
		.amdhsa_memory_ordered 1
		.amdhsa_forward_progress 1
		.amdhsa_shared_vgpr_count 0
		.amdhsa_exception_fp_ieee_invalid_op 0
		.amdhsa_exception_fp_denorm_src 0
		.amdhsa_exception_fp_ieee_div_zero 0
		.amdhsa_exception_fp_ieee_overflow 0
		.amdhsa_exception_fp_ieee_underflow 0
		.amdhsa_exception_fp_ieee_inexact 0
		.amdhsa_exception_int_div_zero 0
	.end_amdhsa_kernel
	.section	.text._ZL13mul_mat_vec_fIffLi1ELi32ELb1ELb1EEvPKT_PKfPKi31ggml_cuda_mm_fusion_args_devicePfi15HIP_vector_typeIjLj3EEiiiSA_iiiSA_iiii,"axG",@progbits,_ZL13mul_mat_vec_fIffLi1ELi32ELb1ELb1EEvPKT_PKfPKi31ggml_cuda_mm_fusion_args_devicePfi15HIP_vector_typeIjLj3EEiiiSA_iiiSA_iiii,comdat
.Lfunc_end0:
	.size	_ZL13mul_mat_vec_fIffLi1ELi32ELb1ELb1EEvPKT_PKfPKi31ggml_cuda_mm_fusion_args_devicePfi15HIP_vector_typeIjLj3EEiiiSA_iiiSA_iiii, .Lfunc_end0-_ZL13mul_mat_vec_fIffLi1ELi32ELb1ELb1EEvPKT_PKfPKi31ggml_cuda_mm_fusion_args_devicePfi15HIP_vector_typeIjLj3EEiiiSA_iiiSA_iiii
                                        ; -- End function
	.set _ZL13mul_mat_vec_fIffLi1ELi32ELb1ELb1EEvPKT_PKfPKi31ggml_cuda_mm_fusion_args_devicePfi15HIP_vector_typeIjLj3EEiiiSA_iiiSA_iiii.num_vgpr, 16
	.set _ZL13mul_mat_vec_fIffLi1ELi32ELb1ELb1EEvPKT_PKfPKi31ggml_cuda_mm_fusion_args_devicePfi15HIP_vector_typeIjLj3EEiiiSA_iiiSA_iiii.num_agpr, 0
	.set _ZL13mul_mat_vec_fIffLi1ELi32ELb1ELb1EEvPKT_PKfPKi31ggml_cuda_mm_fusion_args_devicePfi15HIP_vector_typeIjLj3EEiiiSA_iiiSA_iiii.numbered_sgpr, 40
	.set _ZL13mul_mat_vec_fIffLi1ELi32ELb1ELb1EEvPKT_PKfPKi31ggml_cuda_mm_fusion_args_devicePfi15HIP_vector_typeIjLj3EEiiiSA_iiiSA_iiii.num_named_barrier, 0
	.set _ZL13mul_mat_vec_fIffLi1ELi32ELb1ELb1EEvPKT_PKfPKi31ggml_cuda_mm_fusion_args_devicePfi15HIP_vector_typeIjLj3EEiiiSA_iiiSA_iiii.private_seg_size, 0
	.set _ZL13mul_mat_vec_fIffLi1ELi32ELb1ELb1EEvPKT_PKfPKi31ggml_cuda_mm_fusion_args_devicePfi15HIP_vector_typeIjLj3EEiiiSA_iiiSA_iiii.uses_vcc, 1
	.set _ZL13mul_mat_vec_fIffLi1ELi32ELb1ELb1EEvPKT_PKfPKi31ggml_cuda_mm_fusion_args_devicePfi15HIP_vector_typeIjLj3EEiiiSA_iiiSA_iiii.uses_flat_scratch, 0
	.set _ZL13mul_mat_vec_fIffLi1ELi32ELb1ELb1EEvPKT_PKfPKi31ggml_cuda_mm_fusion_args_devicePfi15HIP_vector_typeIjLj3EEiiiSA_iiiSA_iiii.has_dyn_sized_stack, 0
	.set _ZL13mul_mat_vec_fIffLi1ELi32ELb1ELb1EEvPKT_PKfPKi31ggml_cuda_mm_fusion_args_devicePfi15HIP_vector_typeIjLj3EEiiiSA_iiiSA_iiii.has_recursion, 0
	.set _ZL13mul_mat_vec_fIffLi1ELi32ELb1ELb1EEvPKT_PKfPKi31ggml_cuda_mm_fusion_args_devicePfi15HIP_vector_typeIjLj3EEiiiSA_iiiSA_iiii.has_indirect_call, 0
	.section	.AMDGPU.csdata,"",@progbits
; Kernel info:
; codeLenInByte = 1784
; TotalNumSgprs: 42
; NumVgprs: 16
; ScratchSize: 0
; MemoryBound: 0
; FloatMode: 240
; IeeeMode: 1
; LDSByteSize: 0 bytes/workgroup (compile time only)
; SGPRBlocks: 0
; VGPRBlocks: 1
; NumSGPRsForWavesPerEU: 42
; NumVGPRsForWavesPerEU: 16
; Occupancy: 16
; WaveLimiterHint : 1
; COMPUTE_PGM_RSRC2:SCRATCH_EN: 0
; COMPUTE_PGM_RSRC2:USER_SGPR: 6
; COMPUTE_PGM_RSRC2:TRAP_HANDLER: 0
; COMPUTE_PGM_RSRC2:TGID_X_EN: 1
; COMPUTE_PGM_RSRC2:TGID_Y_EN: 1
; COMPUTE_PGM_RSRC2:TGID_Z_EN: 1
; COMPUTE_PGM_RSRC2:TIDIG_COMP_CNT: 0
	.section	.text._ZL13mul_mat_vec_fIffLi1ELi32ELb0ELb1EEvPKT_PKfPKi31ggml_cuda_mm_fusion_args_devicePfi15HIP_vector_typeIjLj3EEiiiSA_iiiSA_iiii,"axG",@progbits,_ZL13mul_mat_vec_fIffLi1ELi32ELb0ELb1EEvPKT_PKfPKi31ggml_cuda_mm_fusion_args_devicePfi15HIP_vector_typeIjLj3EEiiiSA_iiiSA_iiii,comdat
	.globl	_ZL13mul_mat_vec_fIffLi1ELi32ELb0ELb1EEvPKT_PKfPKi31ggml_cuda_mm_fusion_args_devicePfi15HIP_vector_typeIjLj3EEiiiSA_iiiSA_iiii ; -- Begin function _ZL13mul_mat_vec_fIffLi1ELi32ELb0ELb1EEvPKT_PKfPKi31ggml_cuda_mm_fusion_args_devicePfi15HIP_vector_typeIjLj3EEiiiSA_iiiSA_iiii
	.p2align	8
	.type	_ZL13mul_mat_vec_fIffLi1ELi32ELb0ELb1EEvPKT_PKfPKi31ggml_cuda_mm_fusion_args_devicePfi15HIP_vector_typeIjLj3EEiiiSA_iiiSA_iiii,@function
_ZL13mul_mat_vec_fIffLi1ELi32ELb0ELb1EEvPKT_PKfPKi31ggml_cuda_mm_fusion_args_devicePfi15HIP_vector_typeIjLj3EEiiiSA_iiiSA_iiii: ; @_ZL13mul_mat_vec_fIffLi1ELi32ELb0ELb1EEvPKT_PKfPKi31ggml_cuda_mm_fusion_args_devicePfi15HIP_vector_typeIjLj3EEiiiSA_iiiSA_iiii
; %bb.0:
	s_clause 0x1
	s_load_dwordx8 s[12:19], s[4:5], 0x40
	s_load_dwordx4 s[0:3], s[4:5], 0x68
	v_mov_b32_e32 v5, 0
	s_waitcnt lgkmcnt(0)
	s_mov_b32 s3, exec_lo
	v_cmpx_gt_i32_e64 s12, v0
	s_cbranch_execz .LBB1_4
; %bb.1:
	s_clause 0x1
	s_load_dword s9, s[4:5], 0x8c
	s_load_dwordx2 s[10:11], s[4:5], 0x10
	v_lshlrev_b32_e32 v1, 3, v0
	v_mov_b32_e32 v5, 0
	s_waitcnt lgkmcnt(0)
	s_mul_i32 s9, s9, s8
	s_add_i32 s20, s9, s7
	s_ashr_i32 s21, s20, 31
	s_lshl_b64 s[20:21], s[20:21], 2
	s_add_u32 s10, s10, s20
	s_addc_u32 s11, s11, s21
	s_load_dword s9, s[10:11], 0x0
	s_load_dwordx4 s[20:23], s[4:5], 0x0
	s_mul_hi_u32 s11, s13, s7
	s_mul_i32 s13, s8, s17
	s_add_i32 s17, s7, s11
	s_mul_i32 s10, s16, s6
	s_lshl_b32 s16, s13, 1
	s_lshr_b32 s13, s17, s14
	s_ashr_i32 s11, s10, 31
	s_mul_i32 s13, s13, s15
	s_ashr_i32 s17, s16, 31
	s_lshl_b64 s[10:11], s[10:11], 2
	s_waitcnt lgkmcnt(0)
	s_mul_i32 s14, s9, s0
	s_sub_i32 s0, s7, s13
	s_ashr_i32 s15, s14, 31
	s_mul_i32 s0, s0, s1
	s_lshl_b64 s[14:15], s[14:15], 2
	s_ashr_i32 s1, s0, 31
	s_add_u32 s9, s20, s14
	s_addc_u32 s13, s21, s15
	s_add_u32 s9, s9, s10
	s_addc_u32 s13, s13, s11
	s_lshl_b64 s[0:1], s[0:1], 2
	s_lshl_b64 s[10:11], s[16:17], 2
	s_add_u32 s0, s22, s0
	s_addc_u32 s1, s23, s1
	v_add_co_u32 v2, s9, s9, v1
	s_add_u32 s0, s0, s10
	v_add_co_ci_u32_e64 v3, null, s13, 0, s9
	s_addc_u32 s1, s1, s11
	v_add_co_u32 v4, s0, s0, v1
	v_add_co_ci_u32_e64 v6, null, s1, 0, s0
	v_add_co_u32 v1, vcc_lo, v2, 4
	v_add_co_ci_u32_e64 v2, null, 0, v3, vcc_lo
	v_add_co_u32 v3, vcc_lo, v4, 4
	v_add_co_ci_u32_e64 v4, null, 0, v6, vcc_lo
	v_mov_b32_e32 v6, v0
	s_mov_b32 s1, 0
	.p2align	6
.LBB1_2:                                ; =>This Inner Loop Header: Depth=1
	global_load_dwordx2 v[7:8], v[1:2], off offset:-4
	global_load_dwordx2 v[9:10], v[3:4], off offset:-4
	v_add_nc_u32_e32 v6, 32, v6
	v_add_co_u32 v1, vcc_lo, 0x100, v1
	v_add_co_ci_u32_e64 v2, null, 0, v2, vcc_lo
	v_add_co_u32 v3, vcc_lo, 0x100, v3
	v_cmp_le_i32_e64 s0, s12, v6
	v_add_co_ci_u32_e64 v4, null, 0, v4, vcc_lo
	s_or_b32 s1, s0, s1
	s_waitcnt vmcnt(0)
	v_fmac_f32_e32 v5, v7, v9
	v_fmac_f32_e32 v5, v8, v10
	s_andn2_b32 exec_lo, exec_lo, s1
	s_cbranch_execnz .LBB1_2
; %bb.3:
	s_or_b32 exec_lo, exec_lo, s1
.LBB1_4:
	s_or_b32 exec_lo, exec_lo, s3
	v_mbcnt_lo_u32_b32 v1, -1, 0
	s_mov_b32 s0, exec_lo
	v_xor_b32_e32 v2, 16, v1
	v_xor_b32_e32 v3, 8, v1
	;; [unrolled: 1-line block ×3, first 2 shown]
	v_cmp_gt_i32_e32 vcc_lo, 32, v2
	v_cndmask_b32_e32 v2, v1, v2, vcc_lo
	v_cmp_gt_i32_e32 vcc_lo, 32, v3
	v_lshlrev_b32_e32 v2, 2, v2
	v_cndmask_b32_e32 v3, v1, v3, vcc_lo
	v_cmp_gt_i32_e32 vcc_lo, 32, v4
	ds_bpermute_b32 v2, v2, v5
	v_lshlrev_b32_e32 v3, 2, v3
	v_cndmask_b32_e32 v4, v1, v4, vcc_lo
	v_lshlrev_b32_e32 v4, 2, v4
	s_waitcnt lgkmcnt(0)
	v_add_f32_e32 v2, v5, v2
	ds_bpermute_b32 v3, v3, v2
	s_waitcnt lgkmcnt(0)
	v_add_f32_e32 v2, v2, v3
	ds_bpermute_b32 v3, v4, v2
	v_xor_b32_e32 v4, 2, v1
	v_cmp_gt_i32_e32 vcc_lo, 32, v4
	v_cndmask_b32_e32 v4, v1, v4, vcc_lo
	v_lshlrev_b32_e32 v4, 2, v4
	s_waitcnt lgkmcnt(0)
	v_add_f32_e32 v2, v2, v3
	ds_bpermute_b32 v3, v4, v2
	v_xor_b32_e32 v4, 1, v1
	v_cmp_gt_i32_e32 vcc_lo, 32, v4
	v_cndmask_b32_e32 v1, v1, v4, vcc_lo
	v_lshlrev_b32_e32 v4, 2, v1
	s_waitcnt lgkmcnt(0)
	v_add_f32_e32 v1, v2, v3
	ds_bpermute_b32 v2, v4, v1
	v_cmpx_eq_u32_e32 0, v0
	s_cbranch_execz .LBB1_6
; %bb.5:
	s_load_dwordx2 s[0:1], s[4:5], 0x38
	s_mul_i32 s2, s2, s7
	s_mul_i32 s4, s18, s8
	s_ashr_i32 s3, s2, 31
	s_waitcnt lgkmcnt(0)
	v_add_f32_e32 v0, v1, v2
	s_lshl_b64 s[2:3], s[2:3], 2
	v_mov_b32_e32 v1, 0
	s_add_u32 s2, s0, s2
	s_addc_u32 s3, s1, s3
	s_ashr_i32 s5, s4, 31
	s_lshl_b64 s[0:1], s[4:5], 2
	s_add_u32 s2, s2, s0
	s_addc_u32 s3, s3, s1
	s_ashr_i32 s7, s6, 31
	s_lshl_b64 s[0:1], s[6:7], 2
	s_add_u32 s0, s2, s0
	s_addc_u32 s1, s3, s1
	global_store_dword v1, v0, s[0:1]
.LBB1_6:
	s_endpgm
	.section	.rodata,"a",@progbits
	.p2align	6, 0x0
	.amdhsa_kernel _ZL13mul_mat_vec_fIffLi1ELi32ELb0ELb1EEvPKT_PKfPKi31ggml_cuda_mm_fusion_args_devicePfi15HIP_vector_typeIjLj3EEiiiSA_iiiSA_iiii
		.amdhsa_group_segment_fixed_size 0
		.amdhsa_private_segment_fixed_size 0
		.amdhsa_kernarg_size 144
		.amdhsa_user_sgpr_count 6
		.amdhsa_user_sgpr_private_segment_buffer 1
		.amdhsa_user_sgpr_dispatch_ptr 0
		.amdhsa_user_sgpr_queue_ptr 0
		.amdhsa_user_sgpr_kernarg_segment_ptr 1
		.amdhsa_user_sgpr_dispatch_id 0
		.amdhsa_user_sgpr_flat_scratch_init 0
		.amdhsa_user_sgpr_private_segment_size 0
		.amdhsa_wavefront_size32 1
		.amdhsa_uses_dynamic_stack 0
		.amdhsa_system_sgpr_private_segment_wavefront_offset 0
		.amdhsa_system_sgpr_workgroup_id_x 1
		.amdhsa_system_sgpr_workgroup_id_y 1
		.amdhsa_system_sgpr_workgroup_id_z 1
		.amdhsa_system_sgpr_workgroup_info 0
		.amdhsa_system_vgpr_workitem_id 0
		.amdhsa_next_free_vgpr 11
		.amdhsa_next_free_sgpr 24
		.amdhsa_reserve_vcc 1
		.amdhsa_reserve_flat_scratch 0
		.amdhsa_float_round_mode_32 0
		.amdhsa_float_round_mode_16_64 0
		.amdhsa_float_denorm_mode_32 3
		.amdhsa_float_denorm_mode_16_64 3
		.amdhsa_dx10_clamp 1
		.amdhsa_ieee_mode 1
		.amdhsa_fp16_overflow 0
		.amdhsa_workgroup_processor_mode 1
		.amdhsa_memory_ordered 1
		.amdhsa_forward_progress 1
		.amdhsa_shared_vgpr_count 0
		.amdhsa_exception_fp_ieee_invalid_op 0
		.amdhsa_exception_fp_denorm_src 0
		.amdhsa_exception_fp_ieee_div_zero 0
		.amdhsa_exception_fp_ieee_overflow 0
		.amdhsa_exception_fp_ieee_underflow 0
		.amdhsa_exception_fp_ieee_inexact 0
		.amdhsa_exception_int_div_zero 0
	.end_amdhsa_kernel
	.section	.text._ZL13mul_mat_vec_fIffLi1ELi32ELb0ELb1EEvPKT_PKfPKi31ggml_cuda_mm_fusion_args_devicePfi15HIP_vector_typeIjLj3EEiiiSA_iiiSA_iiii,"axG",@progbits,_ZL13mul_mat_vec_fIffLi1ELi32ELb0ELb1EEvPKT_PKfPKi31ggml_cuda_mm_fusion_args_devicePfi15HIP_vector_typeIjLj3EEiiiSA_iiiSA_iiii,comdat
.Lfunc_end1:
	.size	_ZL13mul_mat_vec_fIffLi1ELi32ELb0ELb1EEvPKT_PKfPKi31ggml_cuda_mm_fusion_args_devicePfi15HIP_vector_typeIjLj3EEiiiSA_iiiSA_iiii, .Lfunc_end1-_ZL13mul_mat_vec_fIffLi1ELi32ELb0ELb1EEvPKT_PKfPKi31ggml_cuda_mm_fusion_args_devicePfi15HIP_vector_typeIjLj3EEiiiSA_iiiSA_iiii
                                        ; -- End function
	.set _ZL13mul_mat_vec_fIffLi1ELi32ELb0ELb1EEvPKT_PKfPKi31ggml_cuda_mm_fusion_args_devicePfi15HIP_vector_typeIjLj3EEiiiSA_iiiSA_iiii.num_vgpr, 11
	.set _ZL13mul_mat_vec_fIffLi1ELi32ELb0ELb1EEvPKT_PKfPKi31ggml_cuda_mm_fusion_args_devicePfi15HIP_vector_typeIjLj3EEiiiSA_iiiSA_iiii.num_agpr, 0
	.set _ZL13mul_mat_vec_fIffLi1ELi32ELb0ELb1EEvPKT_PKfPKi31ggml_cuda_mm_fusion_args_devicePfi15HIP_vector_typeIjLj3EEiiiSA_iiiSA_iiii.numbered_sgpr, 24
	.set _ZL13mul_mat_vec_fIffLi1ELi32ELb0ELb1EEvPKT_PKfPKi31ggml_cuda_mm_fusion_args_devicePfi15HIP_vector_typeIjLj3EEiiiSA_iiiSA_iiii.num_named_barrier, 0
	.set _ZL13mul_mat_vec_fIffLi1ELi32ELb0ELb1EEvPKT_PKfPKi31ggml_cuda_mm_fusion_args_devicePfi15HIP_vector_typeIjLj3EEiiiSA_iiiSA_iiii.private_seg_size, 0
	.set _ZL13mul_mat_vec_fIffLi1ELi32ELb0ELb1EEvPKT_PKfPKi31ggml_cuda_mm_fusion_args_devicePfi15HIP_vector_typeIjLj3EEiiiSA_iiiSA_iiii.uses_vcc, 1
	.set _ZL13mul_mat_vec_fIffLi1ELi32ELb0ELb1EEvPKT_PKfPKi31ggml_cuda_mm_fusion_args_devicePfi15HIP_vector_typeIjLj3EEiiiSA_iiiSA_iiii.uses_flat_scratch, 0
	.set _ZL13mul_mat_vec_fIffLi1ELi32ELb0ELb1EEvPKT_PKfPKi31ggml_cuda_mm_fusion_args_devicePfi15HIP_vector_typeIjLj3EEiiiSA_iiiSA_iiii.has_dyn_sized_stack, 0
	.set _ZL13mul_mat_vec_fIffLi1ELi32ELb0ELb1EEvPKT_PKfPKi31ggml_cuda_mm_fusion_args_devicePfi15HIP_vector_typeIjLj3EEiiiSA_iiiSA_iiii.has_recursion, 0
	.set _ZL13mul_mat_vec_fIffLi1ELi32ELb0ELb1EEvPKT_PKfPKi31ggml_cuda_mm_fusion_args_devicePfi15HIP_vector_typeIjLj3EEiiiSA_iiiSA_iiii.has_indirect_call, 0
	.section	.AMDGPU.csdata,"",@progbits
; Kernel info:
; codeLenInByte = 680
; TotalNumSgprs: 26
; NumVgprs: 11
; ScratchSize: 0
; MemoryBound: 0
; FloatMode: 240
; IeeeMode: 1
; LDSByteSize: 0 bytes/workgroup (compile time only)
; SGPRBlocks: 0
; VGPRBlocks: 1
; NumSGPRsForWavesPerEU: 26
; NumVGPRsForWavesPerEU: 11
; Occupancy: 16
; WaveLimiterHint : 1
; COMPUTE_PGM_RSRC2:SCRATCH_EN: 0
; COMPUTE_PGM_RSRC2:USER_SGPR: 6
; COMPUTE_PGM_RSRC2:TRAP_HANDLER: 0
; COMPUTE_PGM_RSRC2:TGID_X_EN: 1
; COMPUTE_PGM_RSRC2:TGID_Y_EN: 1
; COMPUTE_PGM_RSRC2:TGID_Z_EN: 1
; COMPUTE_PGM_RSRC2:TIDIG_COMP_CNT: 0
	.section	.text._ZL13mul_mat_vec_fIffLi1ELi64ELb1ELb1EEvPKT_PKfPKi31ggml_cuda_mm_fusion_args_devicePfi15HIP_vector_typeIjLj3EEiiiSA_iiiSA_iiii,"axG",@progbits,_ZL13mul_mat_vec_fIffLi1ELi64ELb1ELb1EEvPKT_PKfPKi31ggml_cuda_mm_fusion_args_devicePfi15HIP_vector_typeIjLj3EEiiiSA_iiiSA_iiii,comdat
	.globl	_ZL13mul_mat_vec_fIffLi1ELi64ELb1ELb1EEvPKT_PKfPKi31ggml_cuda_mm_fusion_args_devicePfi15HIP_vector_typeIjLj3EEiiiSA_iiiSA_iiii ; -- Begin function _ZL13mul_mat_vec_fIffLi1ELi64ELb1ELb1EEvPKT_PKfPKi31ggml_cuda_mm_fusion_args_devicePfi15HIP_vector_typeIjLj3EEiiiSA_iiiSA_iiii
	.p2align	8
	.type	_ZL13mul_mat_vec_fIffLi1ELi64ELb1ELb1EEvPKT_PKfPKi31ggml_cuda_mm_fusion_args_devicePfi15HIP_vector_typeIjLj3EEiiiSA_iiiSA_iiii,@function
_ZL13mul_mat_vec_fIffLi1ELi64ELb1ELb1EEvPKT_PKfPKi31ggml_cuda_mm_fusion_args_devicePfi15HIP_vector_typeIjLj3EEiiiSA_iiiSA_iiii: ; @_ZL13mul_mat_vec_fIffLi1ELi64ELb1ELb1EEvPKT_PKfPKi31ggml_cuda_mm_fusion_args_devicePfi15HIP_vector_typeIjLj3EEiiiSA_iiiSA_iiii
; %bb.0:
	s_clause 0x3
	s_load_dword s1, s[4:5], 0x8c
	s_load_dwordx8 s[20:27], s[4:5], 0x0
	s_load_dwordx4 s[36:39], s[4:5], 0x20
	s_load_dwordx8 s[12:19], s[4:5], 0x40
	v_lshl_add_u32 v12, v0, 2, 0
	s_mov_b32 s0, s7
	s_waitcnt lgkmcnt(0)
	s_mul_i32 s1, s1, s8
	s_add_i32 s2, s1, s7
	s_ashr_i32 s3, s2, 31
	s_lshl_b64 s[2:3], s[2:3], 2
	s_add_u32 s10, s24, s2
	s_addc_u32 s11, s25, s3
	s_cmp_lg_u64 s[36:37], 0
	v_cmp_gt_u32_e64 s2, 32, v0
	s_cselect_b32 s1, -1, 0
	s_cmp_eq_u64 s[36:37], 0
	s_cselect_b32 s19, -1, 0
	s_and_saveexec_b32 s3, s2
	s_cbranch_execz .LBB2_3
; %bb.1:
	v_mov_b32_e32 v1, 0
	s_andn2_b32 vcc_lo, exec_lo, s1
	ds_write_b32 v12, v1
	s_cbranch_vccnz .LBB2_3
; %bb.2:
	ds_write_b32 v12, v1 offset:128
.LBB2_3:
	s_or_b32 exec_lo, exec_lo, s3
	s_load_dword s7, s[10:11], 0x0
	s_load_dwordx4 s[28:31], s[4:5], 0x68
	v_mov_b32_e32 v11, 0
	v_mov_b32_e32 v13, 0
	s_mov_b32 s9, exec_lo
	s_waitcnt lgkmcnt(0)
	s_barrier
	buffer_gl0_inv
	v_cmpx_gt_i32_e64 s12, v0
	s_cbranch_execz .LBB2_9
; %bb.4:
	s_mul_hi_u32 s3, s13, s0
	s_mul_i32 s10, s7, s28
	s_add_i32 s3, s0, s3
	s_mul_i32 s11, s16, s6
	s_lshr_b32 s3, s3, s14
	s_ashr_i32 s13, s10, 31
	s_mul_i32 s3, s3, s15
	s_ashr_i32 s14, s11, 31
	s_sub_i32 s3, s0, s3
	s_add_u32 s10, s10, s11
	s_addc_u32 s11, s13, s14
	s_mul_i32 s13, s8, s17
	s_mul_i32 s14, s3, s29
	s_lshl_b32 s16, s13, 1
	s_ashr_i32 s15, s14, 31
	s_ashr_i32 s17, s16, 31
	s_and_b32 s3, s1, exec_lo
	s_cselect_b32 s29, s11, 0
	s_cselect_b32 s28, s10, 0
	v_lshlrev_b32_e32 v3, 3, v0
	s_cselect_b32 s3, s37, 0
	s_cselect_b32 s13, s36, 0
	s_lshl_b64 s[28:29], s[28:29], 2
	v_mov_b32_e32 v11, 0
	s_add_u32 s13, s13, s28
	s_addc_u32 s3, s3, s29
	v_add_co_u32 v1, s13, s13, v3
	s_lshl_b64 s[14:15], s[14:15], 2
	s_lshl_b64 s[16:17], s[16:17], 2
	v_add_co_ci_u32_e64 v2, null, s3, 0, s13
	s_add_u32 s3, s22, s14
	s_addc_u32 s13, s23, s15
	s_add_u32 s3, s3, s16
	s_addc_u32 s13, s13, s17
	s_lshl_b64 s[10:11], s[10:11], 2
	v_add_co_u32 v4, s3, s3, v3
	v_add_co_ci_u32_e64 v5, null, s13, 0, s3
	s_add_u32 s3, s20, s10
	s_addc_u32 s10, s21, s11
	v_add_co_u32 v6, s3, s3, v3
	v_add_co_u32 v1, vcc_lo, v1, 4
	v_add_co_ci_u32_e64 v7, null, s10, 0, s3
	v_add_co_ci_u32_e64 v2, null, 0, v2, vcc_lo
	v_add_co_u32 v3, vcc_lo, v4, 4
	v_add_co_ci_u32_e64 v4, null, 0, v5, vcc_lo
	v_add_co_u32 v5, vcc_lo, v6, 4
	v_add_co_ci_u32_e64 v6, null, 0, v7, vcc_lo
	v_mov_b32_e32 v14, v0
	v_mov_b32_e32 v13, 0
	s_mov_b32 s10, 0
	s_inst_prefetch 0x1
	s_branch .LBB2_6
	.p2align	6
.LBB2_5:                                ;   in Loop: Header=BB2_6 Depth=1
	global_load_dwordx2 v[15:16], v[3:4], off offset:-4
	v_add_nc_u32_e32 v14, 64, v14
	v_add_co_u32 v1, vcc_lo, 0x200, v1
	v_add_co_ci_u32_e64 v2, null, 0, v2, vcc_lo
	v_add_co_u32 v3, vcc_lo, 0x200, v3
	v_add_co_ci_u32_e64 v4, null, 0, v4, vcc_lo
	v_cmp_le_i32_e32 vcc_lo, s12, v14
	v_add_co_u32 v5, s3, 0x200, v5
	v_add_co_ci_u32_e64 v6, null, 0, v6, s3
	s_or_b32 s10, vcc_lo, s10
	s_waitcnt vmcnt(0)
	v_fma_f32 v9, v9, v15, v11
	v_fmac_f32_e32 v13, v7, v15
	v_fmac_f32_e32 v9, v10, v16
	;; [unrolled: 1-line block ×3, first 2 shown]
	v_cndmask_b32_e64 v11, v11, v9, s1
	s_andn2_b32 exec_lo, exec_lo, s10
	s_cbranch_execz .LBB2_8
.LBB2_6:                                ; =>This Inner Loop Header: Depth=1
	global_load_dwordx2 v[7:8], v[5:6], off offset:-4
	v_mov_b32_e32 v10, 0
	v_mov_b32_e32 v9, 0
	s_andn2_b32 vcc_lo, exec_lo, s1
	s_cbranch_vccnz .LBB2_5
; %bb.7:                                ;   in Loop: Header=BB2_6 Depth=1
	global_load_dwordx2 v[9:10], v[1:2], off offset:-4
	s_branch .LBB2_5
.LBB2_8:
	s_inst_prefetch 0x2
	s_or_b32 exec_lo, exec_lo, s10
.LBB2_9:
	s_or_b32 exec_lo, exec_lo, s9
	v_mbcnt_lo_u32_b32 v1, -1, 0
	s_load_dword s9, s[4:5], 0x30
	s_mov_b32 s3, -1
	v_xor_b32_e32 v2, 16, v1
	v_xor_b32_e32 v3, 8, v1
	v_cmp_gt_i32_e32 vcc_lo, 32, v2
	v_cndmask_b32_e32 v2, v1, v2, vcc_lo
	v_cmp_gt_i32_e32 vcc_lo, 32, v3
	v_lshlrev_b32_e32 v2, 2, v2
	v_cndmask_b32_e32 v3, v1, v3, vcc_lo
	ds_bpermute_b32 v4, v2, v13
	v_lshlrev_b32_e32 v3, 2, v3
	s_waitcnt lgkmcnt(0)
	v_add_f32_e32 v5, v13, v4
	v_xor_b32_e32 v4, 4, v1
	ds_bpermute_b32 v6, v3, v5
	v_cmp_gt_i32_e32 vcc_lo, 32, v4
	v_cndmask_b32_e32 v4, v1, v4, vcc_lo
	v_lshlrev_b32_e32 v4, 2, v4
	s_waitcnt lgkmcnt(0)
	v_add_f32_e32 v6, v5, v6
	v_xor_b32_e32 v5, 2, v1
	ds_bpermute_b32 v7, v4, v6
	v_cmp_gt_i32_e32 vcc_lo, 32, v5
	v_cndmask_b32_e32 v5, v1, v5, vcc_lo
	;; [unrolled: 7-line block ×3, first 2 shown]
	s_and_b32 vcc_lo, exec_lo, s19
	v_lshlrev_b32_e32 v6, 2, v1
	s_waitcnt lgkmcnt(0)
	v_add_f32_e32 v1, v7, v8
	v_lshrrev_b32_e32 v8, 5, v0
	ds_bpermute_b32 v7, v6, v1
	s_waitcnt lgkmcnt(0)
	v_add_f32_e32 v1, v1, v7
	v_lshl_add_u32 v7, v8, 2, 0
	s_cbranch_vccz .LBB2_11
; %bb.10:
	s_mov_b32 s3, 0
	ds_write_b32 v7, v1
.LBB2_11:
	s_andn2_b32 vcc_lo, exec_lo, s3
	s_cbranch_vccnz .LBB2_13
; %bb.12:
	ds_bpermute_b32 v8, v2, v11
	s_waitcnt lgkmcnt(0)
	v_add_f32_e32 v8, v11, v8
	ds_bpermute_b32 v9, v3, v8
	s_waitcnt lgkmcnt(0)
	v_add_f32_e32 v8, v8, v9
	;; [unrolled: 3-line block ×5, first 2 shown]
	ds_write2_b32 v7, v1, v11 offset1:32
.LBB2_13:
	s_waitcnt lgkmcnt(0)
	s_barrier
	buffer_gl0_inv
	s_and_saveexec_b32 s3, s2
	s_cbranch_execz .LBB2_17
; %bb.14:
	ds_read_b32 v1, v12
	s_andn2_b32 vcc_lo, exec_lo, s1
	s_waitcnt lgkmcnt(0)
	ds_bpermute_b32 v7, v2, v1
	s_waitcnt lgkmcnt(0)
	v_add_f32_e32 v1, v1, v7
	ds_bpermute_b32 v7, v3, v1
	s_waitcnt lgkmcnt(0)
	v_add_f32_e32 v1, v1, v7
	;; [unrolled: 3-line block ×4, first 2 shown]
	ds_bpermute_b32 v7, v6, v1
	s_cbranch_vccnz .LBB2_16
; %bb.15:
	ds_read_b32 v8, v12 offset:128
	s_waitcnt lgkmcnt(0)
	ds_bpermute_b32 v2, v2, v8
	s_waitcnt lgkmcnt(0)
	v_add_f32_e32 v2, v8, v2
	ds_bpermute_b32 v3, v3, v2
	s_waitcnt lgkmcnt(0)
	v_add_f32_e32 v2, v2, v3
	;; [unrolled: 3-line block ×5, first 2 shown]
.LBB2_16:
	s_waitcnt lgkmcnt(0)
	v_add_f32_e32 v1, v1, v7
.LBB2_17:
	s_or_b32 exec_lo, exec_lo, s3
	s_barrier
	buffer_gl0_inv
	s_mov_b32 s2, exec_lo
	v_cmpx_eq_u32_e32 0, v0
	s_cbranch_execz .LBB2_41
; %bb.18:
	s_cmp_eq_u64 s[26:27], 0
	s_cselect_b32 s10, -1, 0
	s_cmp_eq_u64 s[24:25], 0
	s_cselect_b32 s2, s0, s7
	s_mul_i32 s2, s2, s30
	s_ashr_i32 s3, s2, 31
	s_and_b32 vcc_lo, exec_lo, s10
	s_cbranch_vccnz .LBB2_20
; %bb.19:
	s_cselect_b32 s7, 0, s27
	s_cselect_b32 s12, 0, s26
	s_lshl_b64 s[10:11], s[2:3], 2
	s_add_u32 s12, s12, s10
	s_addc_u32 s13, s7, s11
	s_ashr_i32 s7, s6, 31
	s_lshl_b64 s[10:11], s[6:7], 2
	s_add_u32 s10, s12, s10
	s_addc_u32 s11, s13, s11
	s_load_dword s7, s[10:11], 0x0
	s_waitcnt lgkmcnt(0)
	v_add_f32_e32 v1, s7, v1
.LBB2_20:
	s_andn2_b32 vcc_lo, exec_lo, s1
	s_cbranch_vccnz .LBB2_40
; %bb.21:
	s_cmp_lg_u64 s[38:39], 0
	s_cselect_b32 s7, -1, 0
	s_and_b32 s1, s7, s1
	s_andn2_b32 vcc_lo, exec_lo, s1
	s_cbranch_vccnz .LBB2_23
; %bb.22:
	s_and_b32 s7, s7, exec_lo
	s_cselect_b32 s7, s39, 0
	s_cselect_b32 s10, s38, 0
	s_and_b32 s1, s1, exec_lo
	s_cselect_b32 s3, s3, 0
	s_cselect_b32 s2, s2, 0
	s_lshl_b64 s[2:3], s[2:3], 2
	s_add_u32 s1, s10, s2
	s_addc_u32 s10, s7, s3
	s_ashr_i32 s7, s6, 31
	s_lshl_b64 s[2:3], s[6:7], 2
	s_add_u32 s2, s1, s2
	s_addc_u32 s3, s10, s3
	s_load_dword s1, s[2:3], 0x0
	s_waitcnt lgkmcnt(0)
	v_add_f32_e32 v11, s1, v11
.LBB2_23:
	s_cmp_lt_i32 s9, 2
	s_cbranch_scc1 .LBB2_28
; %bb.24:
	s_cmp_lt_i32 s9, 3
	s_cbranch_scc1 .LBB2_29
; %bb.25:
	v_mov_b32_e32 v0, v1
	s_cmp_eq_u32 s9, 3
	s_cbranch_scc0 .LBB2_27
; %bb.26:
	v_max_f32_e32 v0, v11, v11
	v_min_f32_e32 v0, 0x40e00000, v0
	v_mul_f32_e32 v2, 0xbfd9db23, v0
	v_mul_f32_e32 v3, 0x3fb8aa3b, v2
	v_cmp_ngt_f32_e32 vcc_lo, 0xc2ce8ed0, v2
	v_fma_f32 v4, 0x3fb8aa3b, v2, -v3
	v_rndne_f32_e32 v5, v3
	v_fmamk_f32 v4, v2, 0x32a5705f, v4
	v_sub_f32_e32 v3, v3, v5
	v_add_f32_e32 v3, v3, v4
	v_cvt_i32_f32_e32 v4, v5
	v_exp_f32_e32 v3, v3
	v_ldexp_f32 v3, v3, v4
	v_cndmask_b32_e32 v3, 0, v3, vcc_lo
	v_cmp_nlt_f32_e32 vcc_lo, 0x42b17218, v2
	v_cndmask_b32_e32 v2, 0x7f800000, v3, vcc_lo
	v_add_f32_e32 v2, 1.0, v2
	v_div_scale_f32 v3, null, v2, v2, v0
	v_div_scale_f32 v6, vcc_lo, v0, v2, v0
	v_rcp_f32_e32 v4, v3
	v_fma_f32 v5, -v3, v4, 1.0
	v_fmac_f32_e32 v4, v5, v4
	v_mul_f32_e32 v5, v6, v4
	v_fma_f32 v7, -v3, v5, v6
	v_fmac_f32_e32 v5, v7, v4
	v_max_f32_e32 v7, v1, v1
	v_fma_f32 v3, -v3, v5, v6
	v_min_f32_e32 v6, 0x40e00000, v7
	v_div_fmas_f32 v3, v3, v4, v5
	v_max_f32_e32 v4, 0xc0e00000, v6
	v_div_fixup_f32 v0, v3, v2, v0
	v_add_f32_e32 v2, 1.0, v4
	v_mul_f32_e32 v0, v2, v0
.LBB2_27:
	s_cbranch_execz .LBB2_30
	s_branch .LBB2_31
.LBB2_28:
                                        ; implicit-def: $vgpr0
	s_branch .LBB2_32
.LBB2_29:
                                        ; implicit-def: $vgpr0
.LBB2_30:
	v_mul_f32_e32 v0, 0xbfb8aa3b, v11
	v_cmp_nlt_f32_e32 vcc_lo, 0x42ce8ed0, v11
	v_rndne_f32_e32 v2, v0
	v_fma_f32 v3, 0xbfb8aa3b, v11, -v0
	v_sub_f32_e32 v0, v0, v2
	v_fmamk_f32 v3, v11, 0xb2a5705f, v3
	v_cvt_i32_f32_e32 v2, v2
	v_add_f32_e32 v0, v0, v3
	v_exp_f32_e32 v0, v0
	v_ldexp_f32 v0, v0, v2
	v_cndmask_b32_e32 v0, 0, v0, vcc_lo
	v_cmp_ngt_f32_e32 vcc_lo, 0xc2b17218, v11
	v_cndmask_b32_e32 v0, 0x7f800000, v0, vcc_lo
	v_add_f32_e32 v0, 1.0, v0
	v_div_scale_f32 v2, null, v0, v0, v11
	v_rcp_f32_e32 v3, v2
	v_fma_f32 v4, -v2, v3, 1.0
	v_fmac_f32_e32 v3, v4, v3
	v_div_scale_f32 v4, vcc_lo, v11, v0, v11
	v_mul_f32_e32 v5, v4, v3
	v_fma_f32 v6, -v2, v5, v4
	v_fmac_f32_e32 v5, v6, v3
	v_fma_f32 v2, -v2, v5, v4
	v_div_fmas_f32 v2, v2, v3, v5
	v_div_fixup_f32 v0, v2, v0, v11
	v_mul_f32_e32 v0, v1, v0
.LBB2_31:
	s_cbranch_execnz .LBB2_39
.LBB2_32:
	s_cmp_eq_u32 s9, 1
	s_cbranch_scc0 .LBB2_38
; %bb.33:
	v_mul_f32_e32 v0, 0x3d372713, v11
	v_mul_f32_e32 v2, 0x3f4c422a, v11
	v_fma_f32 v0, v11, v0, 1.0
	v_mul_f32_e32 v0, v2, v0
                                        ; implicit-def: $vgpr2
	v_cmp_ngt_f32_e64 s1, 0x3f200000, |v0|
	s_and_saveexec_b32 s2, s1
	s_xor_b32 s1, exec_lo, s2
	s_cbranch_execz .LBB2_35
; %bb.34:
	v_add_f32_e64 v2, |v0|, |v0|
	v_mul_f32_e32 v3, 0x3fb8aa3b, v2
	v_cmp_ngt_f32_e32 vcc_lo, 0xc2ce8ed0, v2
	v_rndne_f32_e32 v4, v3
	v_fma_f32 v5, 0x3fb8aa3b, v2, -v3
	v_sub_f32_e32 v3, v3, v4
	v_fmamk_f32 v5, v2, 0x32a5705f, v5
	v_cvt_i32_f32_e32 v4, v4
	v_add_f32_e32 v3, v3, v5
	v_exp_f32_e32 v3, v3
	v_ldexp_f32 v3, v3, v4
	v_cndmask_b32_e32 v3, 0, v3, vcc_lo
	v_cmp_nlt_f32_e32 vcc_lo, 0x42b17218, v2
	v_cndmask_b32_e32 v2, 0x7f800000, v3, vcc_lo
	v_add_f32_e32 v2, 1.0, v2
	v_rcp_f32_e32 v2, v2
	v_fma_f32 v2, v2, -2.0, 1.0
.LBB2_35:
	s_andn2_saveexec_b32 s1, s1
	s_cbranch_execz .LBB2_37
; %bb.36:
	v_mul_f32_e32 v2, v0, v0
	s_mov_b32 s2, 0xbbbac73d
	v_fmaak_f32 v3, s2, v2, 0x3ca908c9
	v_fmaak_f32 v3, v2, v3, 0xbd5c1c4e
	;; [unrolled: 1-line block ×4, first 2 shown]
	v_mul_f32_e64 v3, |v0|, v3
	v_fma_f32 v2, v2, v3, |v0|
.LBB2_37:
	s_or_b32 exec_lo, exec_lo, s1
	v_bfi_b32 v0, 0x7fffffff, v2, v0
	v_mul_f32_e32 v2, 0.5, v11
	v_add_f32_e32 v0, 1.0, v0
	v_mul_f32_e32 v0, v2, v0
	v_mul_f32_e32 v1, v1, v0
.LBB2_38:
	v_mov_b32_e32 v0, v1
.LBB2_39:
	v_mov_b32_e32 v1, v0
.LBB2_40:
	s_load_dwordx2 s[2:3], s[4:5], 0x38
	s_mul_i32 s0, s30, s0
	s_mul_i32 s4, s18, s8
	s_ashr_i32 s1, s0, 31
	v_mov_b32_e32 v0, 0
	s_lshl_b64 s[0:1], s[0:1], 2
	s_waitcnt lgkmcnt(0)
	s_add_u32 s2, s2, s0
	s_addc_u32 s3, s3, s1
	s_ashr_i32 s5, s4, 31
	s_lshl_b64 s[0:1], s[4:5], 2
	s_add_u32 s2, s2, s0
	s_addc_u32 s3, s3, s1
	s_ashr_i32 s7, s6, 31
	s_lshl_b64 s[0:1], s[6:7], 2
	s_add_u32 s0, s2, s0
	s_addc_u32 s1, s3, s1
	global_store_dword v0, v1, s[0:1]
.LBB2_41:
	s_endpgm
	.section	.rodata,"a",@progbits
	.p2align	6, 0x0
	.amdhsa_kernel _ZL13mul_mat_vec_fIffLi1ELi64ELb1ELb1EEvPKT_PKfPKi31ggml_cuda_mm_fusion_args_devicePfi15HIP_vector_typeIjLj3EEiiiSA_iiiSA_iiii
		.amdhsa_group_segment_fixed_size 0
		.amdhsa_private_segment_fixed_size 0
		.amdhsa_kernarg_size 144
		.amdhsa_user_sgpr_count 6
		.amdhsa_user_sgpr_private_segment_buffer 1
		.amdhsa_user_sgpr_dispatch_ptr 0
		.amdhsa_user_sgpr_queue_ptr 0
		.amdhsa_user_sgpr_kernarg_segment_ptr 1
		.amdhsa_user_sgpr_dispatch_id 0
		.amdhsa_user_sgpr_flat_scratch_init 0
		.amdhsa_user_sgpr_private_segment_size 0
		.amdhsa_wavefront_size32 1
		.amdhsa_uses_dynamic_stack 0
		.amdhsa_system_sgpr_private_segment_wavefront_offset 0
		.amdhsa_system_sgpr_workgroup_id_x 1
		.amdhsa_system_sgpr_workgroup_id_y 1
		.amdhsa_system_sgpr_workgroup_id_z 1
		.amdhsa_system_sgpr_workgroup_info 0
		.amdhsa_system_vgpr_workitem_id 0
		.amdhsa_next_free_vgpr 17
		.amdhsa_next_free_sgpr 40
		.amdhsa_reserve_vcc 1
		.amdhsa_reserve_flat_scratch 0
		.amdhsa_float_round_mode_32 0
		.amdhsa_float_round_mode_16_64 0
		.amdhsa_float_denorm_mode_32 3
		.amdhsa_float_denorm_mode_16_64 3
		.amdhsa_dx10_clamp 1
		.amdhsa_ieee_mode 1
		.amdhsa_fp16_overflow 0
		.amdhsa_workgroup_processor_mode 1
		.amdhsa_memory_ordered 1
		.amdhsa_forward_progress 1
		.amdhsa_shared_vgpr_count 0
		.amdhsa_exception_fp_ieee_invalid_op 0
		.amdhsa_exception_fp_denorm_src 0
		.amdhsa_exception_fp_ieee_div_zero 0
		.amdhsa_exception_fp_ieee_overflow 0
		.amdhsa_exception_fp_ieee_underflow 0
		.amdhsa_exception_fp_ieee_inexact 0
		.amdhsa_exception_int_div_zero 0
	.end_amdhsa_kernel
	.section	.text._ZL13mul_mat_vec_fIffLi1ELi64ELb1ELb1EEvPKT_PKfPKi31ggml_cuda_mm_fusion_args_devicePfi15HIP_vector_typeIjLj3EEiiiSA_iiiSA_iiii,"axG",@progbits,_ZL13mul_mat_vec_fIffLi1ELi64ELb1ELb1EEvPKT_PKfPKi31ggml_cuda_mm_fusion_args_devicePfi15HIP_vector_typeIjLj3EEiiiSA_iiiSA_iiii,comdat
.Lfunc_end2:
	.size	_ZL13mul_mat_vec_fIffLi1ELi64ELb1ELb1EEvPKT_PKfPKi31ggml_cuda_mm_fusion_args_devicePfi15HIP_vector_typeIjLj3EEiiiSA_iiiSA_iiii, .Lfunc_end2-_ZL13mul_mat_vec_fIffLi1ELi64ELb1ELb1EEvPKT_PKfPKi31ggml_cuda_mm_fusion_args_devicePfi15HIP_vector_typeIjLj3EEiiiSA_iiiSA_iiii
                                        ; -- End function
	.set _ZL13mul_mat_vec_fIffLi1ELi64ELb1ELb1EEvPKT_PKfPKi31ggml_cuda_mm_fusion_args_devicePfi15HIP_vector_typeIjLj3EEiiiSA_iiiSA_iiii.num_vgpr, 17
	.set _ZL13mul_mat_vec_fIffLi1ELi64ELb1ELb1EEvPKT_PKfPKi31ggml_cuda_mm_fusion_args_devicePfi15HIP_vector_typeIjLj3EEiiiSA_iiiSA_iiii.num_agpr, 0
	.set _ZL13mul_mat_vec_fIffLi1ELi64ELb1ELb1EEvPKT_PKfPKi31ggml_cuda_mm_fusion_args_devicePfi15HIP_vector_typeIjLj3EEiiiSA_iiiSA_iiii.numbered_sgpr, 40
	.set _ZL13mul_mat_vec_fIffLi1ELi64ELb1ELb1EEvPKT_PKfPKi31ggml_cuda_mm_fusion_args_devicePfi15HIP_vector_typeIjLj3EEiiiSA_iiiSA_iiii.num_named_barrier, 0
	.set _ZL13mul_mat_vec_fIffLi1ELi64ELb1ELb1EEvPKT_PKfPKi31ggml_cuda_mm_fusion_args_devicePfi15HIP_vector_typeIjLj3EEiiiSA_iiiSA_iiii.private_seg_size, 0
	.set _ZL13mul_mat_vec_fIffLi1ELi64ELb1ELb1EEvPKT_PKfPKi31ggml_cuda_mm_fusion_args_devicePfi15HIP_vector_typeIjLj3EEiiiSA_iiiSA_iiii.uses_vcc, 1
	.set _ZL13mul_mat_vec_fIffLi1ELi64ELb1ELb1EEvPKT_PKfPKi31ggml_cuda_mm_fusion_args_devicePfi15HIP_vector_typeIjLj3EEiiiSA_iiiSA_iiii.uses_flat_scratch, 0
	.set _ZL13mul_mat_vec_fIffLi1ELi64ELb1ELb1EEvPKT_PKfPKi31ggml_cuda_mm_fusion_args_devicePfi15HIP_vector_typeIjLj3EEiiiSA_iiiSA_iiii.has_dyn_sized_stack, 0
	.set _ZL13mul_mat_vec_fIffLi1ELi64ELb1ELb1EEvPKT_PKfPKi31ggml_cuda_mm_fusion_args_devicePfi15HIP_vector_typeIjLj3EEiiiSA_iiiSA_iiii.has_recursion, 0
	.set _ZL13mul_mat_vec_fIffLi1ELi64ELb1ELb1EEvPKT_PKfPKi31ggml_cuda_mm_fusion_args_devicePfi15HIP_vector_typeIjLj3EEiiiSA_iiiSA_iiii.has_indirect_call, 0
	.section	.AMDGPU.csdata,"",@progbits
; Kernel info:
; codeLenInByte = 2188
; TotalNumSgprs: 42
; NumVgprs: 17
; ScratchSize: 0
; MemoryBound: 0
; FloatMode: 240
; IeeeMode: 1
; LDSByteSize: 0 bytes/workgroup (compile time only)
; SGPRBlocks: 0
; VGPRBlocks: 2
; NumSGPRsForWavesPerEU: 42
; NumVGPRsForWavesPerEU: 17
; Occupancy: 16
; WaveLimiterHint : 1
; COMPUTE_PGM_RSRC2:SCRATCH_EN: 0
; COMPUTE_PGM_RSRC2:USER_SGPR: 6
; COMPUTE_PGM_RSRC2:TRAP_HANDLER: 0
; COMPUTE_PGM_RSRC2:TGID_X_EN: 1
; COMPUTE_PGM_RSRC2:TGID_Y_EN: 1
; COMPUTE_PGM_RSRC2:TGID_Z_EN: 1
; COMPUTE_PGM_RSRC2:TIDIG_COMP_CNT: 0
	.section	.text._ZL13mul_mat_vec_fIffLi1ELi64ELb0ELb1EEvPKT_PKfPKi31ggml_cuda_mm_fusion_args_devicePfi15HIP_vector_typeIjLj3EEiiiSA_iiiSA_iiii,"axG",@progbits,_ZL13mul_mat_vec_fIffLi1ELi64ELb0ELb1EEvPKT_PKfPKi31ggml_cuda_mm_fusion_args_devicePfi15HIP_vector_typeIjLj3EEiiiSA_iiiSA_iiii,comdat
	.globl	_ZL13mul_mat_vec_fIffLi1ELi64ELb0ELb1EEvPKT_PKfPKi31ggml_cuda_mm_fusion_args_devicePfi15HIP_vector_typeIjLj3EEiiiSA_iiiSA_iiii ; -- Begin function _ZL13mul_mat_vec_fIffLi1ELi64ELb0ELb1EEvPKT_PKfPKi31ggml_cuda_mm_fusion_args_devicePfi15HIP_vector_typeIjLj3EEiiiSA_iiiSA_iiii
	.p2align	8
	.type	_ZL13mul_mat_vec_fIffLi1ELi64ELb0ELb1EEvPKT_PKfPKi31ggml_cuda_mm_fusion_args_devicePfi15HIP_vector_typeIjLj3EEiiiSA_iiiSA_iiii,@function
_ZL13mul_mat_vec_fIffLi1ELi64ELb0ELb1EEvPKT_PKfPKi31ggml_cuda_mm_fusion_args_devicePfi15HIP_vector_typeIjLj3EEiiiSA_iiiSA_iiii: ; @_ZL13mul_mat_vec_fIffLi1ELi64ELb0ELb1EEvPKT_PKfPKi31ggml_cuda_mm_fusion_args_devicePfi15HIP_vector_typeIjLj3EEiiiSA_iiiSA_iiii
; %bb.0:
	s_clause 0x2
	s_load_dword s2, s[4:5], 0x8c
	s_load_dwordx2 s[0:1], s[4:5], 0x10
	s_load_dwordx8 s[12:19], s[4:5], 0x40
	v_cmp_gt_u32_e32 vcc_lo, 32, v0
	v_lshl_add_u32 v5, v0, 2, 0
	s_waitcnt lgkmcnt(0)
	s_mul_i32 s2, s2, s8
	s_add_i32 s2, s2, s7
	s_ashr_i32 s3, s2, 31
	s_lshl_b64 s[2:3], s[2:3], 2
	s_add_u32 s2, s0, s2
	s_addc_u32 s3, s1, s3
	s_and_saveexec_b32 s0, vcc_lo
; %bb.1:
	v_mov_b32_e32 v1, 0
	ds_write_b32 v5, v1
; %bb.2:
	s_or_b32 exec_lo, exec_lo, s0
	s_load_dwordx4 s[20:23], s[4:5], 0x68
	v_mov_b32_e32 v6, 0
	s_mov_b32 s9, exec_lo
	s_waitcnt lgkmcnt(0)
	s_barrier
	buffer_gl0_inv
	v_cmpx_gt_i32_e64 s12, v0
	s_cbranch_execz .LBB3_6
; %bb.3:
	s_load_dword s19, s[2:3], 0x0
	s_load_dwordx4 s[0:3], s[4:5], 0x0
	s_mul_hi_u32 s11, s13, s7
	s_mul_i32 s13, s8, s17
	s_add_i32 s17, s7, s11
	s_mul_i32 s10, s16, s6
	s_lshl_b32 s16, s13, 1
	s_lshr_b32 s13, s17, s14
	s_ashr_i32 s11, s10, 31
	s_mul_i32 s13, s13, s15
	s_ashr_i32 s17, s16, 31
	s_sub_i32 s13, s7, s13
	s_lshl_b64 s[10:11], s[10:11], 2
	v_lshlrev_b32_e32 v1, 3, v0
	v_mov_b32_e32 v6, 0
	s_waitcnt lgkmcnt(0)
	s_mul_i32 s14, s19, s20
	s_mul_i32 s20, s13, s21
	s_ashr_i32 s15, s14, 31
	s_ashr_i32 s21, s20, 31
	s_lshl_b64 s[14:15], s[14:15], 2
	s_add_u32 s0, s0, s14
	s_addc_u32 s1, s1, s15
	s_add_u32 s13, s0, s10
	s_addc_u32 s14, s1, s11
	s_lshl_b64 s[10:11], s[20:21], 2
	s_lshl_b64 s[0:1], s[16:17], 2
	s_add_u32 s2, s2, s10
	s_addc_u32 s3, s3, s11
	v_add_co_u32 v2, s13, s13, v1
	s_add_u32 s0, s2, s0
	v_add_co_ci_u32_e64 v3, null, s14, 0, s13
	s_addc_u32 s1, s3, s1
	v_add_co_u32 v4, s0, s0, v1
	v_add_co_ci_u32_e64 v7, null, s1, 0, s0
	v_add_co_u32 v1, s0, v2, 4
	v_add_co_ci_u32_e64 v2, null, 0, v3, s0
	;; [unrolled: 2-line block ×3, first 2 shown]
	v_mov_b32_e32 v7, v0
	s_mov_b32 s2, 0
	.p2align	6
.LBB3_4:                                ; =>This Inner Loop Header: Depth=1
	global_load_dwordx2 v[8:9], v[1:2], off offset:-4
	global_load_dwordx2 v[10:11], v[3:4], off offset:-4
	v_add_nc_u32_e32 v7, 64, v7
	v_add_co_u32 v1, s0, 0x200, v1
	v_add_co_ci_u32_e64 v2, null, 0, v2, s0
	v_add_co_u32 v3, s0, 0x200, v3
	v_cmp_le_i32_e64 s1, s12, v7
	v_add_co_ci_u32_e64 v4, null, 0, v4, s0
	s_or_b32 s2, s1, s2
	s_waitcnt vmcnt(0)
	v_fmac_f32_e32 v6, v8, v10
	v_fmac_f32_e32 v6, v9, v11
	s_andn2_b32 exec_lo, exec_lo, s2
	s_cbranch_execnz .LBB3_4
; %bb.5:
	s_or_b32 exec_lo, exec_lo, s2
.LBB3_6:
	s_or_b32 exec_lo, exec_lo, s9
	v_mbcnt_lo_u32_b32 v2, -1, 0
	v_xor_b32_e32 v1, 16, v2
	v_xor_b32_e32 v3, 8, v2
	v_cmp_gt_i32_e64 s0, 32, v1
	v_cndmask_b32_e64 v1, v2, v1, s0
	v_cmp_gt_i32_e64 s0, 32, v3
	v_lshlrev_b32_e32 v1, 2, v1
	v_cndmask_b32_e64 v3, v2, v3, s0
	ds_bpermute_b32 v4, v1, v6
	v_lshlrev_b32_e32 v3, 2, v3
	s_waitcnt lgkmcnt(0)
	v_add_f32_e32 v6, v6, v4
	v_xor_b32_e32 v4, 4, v2
	ds_bpermute_b32 v7, v3, v6
	v_cmp_gt_i32_e64 s0, 32, v4
	v_cndmask_b32_e64 v4, v2, v4, s0
	v_lshlrev_b32_e32 v4, 2, v4
	s_waitcnt lgkmcnt(0)
	v_add_f32_e32 v7, v6, v7
	v_xor_b32_e32 v6, 2, v2
	ds_bpermute_b32 v8, v4, v7
	v_cmp_gt_i32_e64 s0, 32, v6
	v_cndmask_b32_e64 v6, v2, v6, s0
	v_lshlrev_b32_e32 v6, 2, v6
	s_waitcnt lgkmcnt(0)
	v_add_f32_e32 v8, v7, v8
	v_xor_b32_e32 v7, 1, v2
	ds_bpermute_b32 v9, v6, v8
	v_cmp_gt_i32_e64 s0, 32, v7
	v_cndmask_b32_e64 v2, v2, v7, s0
	v_lshlrev_b32_e32 v7, 2, v2
	s_waitcnt lgkmcnt(0)
	v_add_f32_e32 v2, v8, v9
	v_lshrrev_b32_e32 v9, 3, v0
	ds_bpermute_b32 v8, v7, v2
	v_and_b32_e32 v9, 0x7c, v9
	v_add_nc_u32_e32 v9, 0, v9
	s_waitcnt lgkmcnt(0)
	v_add_f32_e32 v2, v2, v8
	ds_write_b32 v9, v2
	s_waitcnt lgkmcnt(0)
	s_barrier
	buffer_gl0_inv
	s_and_saveexec_b32 s0, vcc_lo
	s_cbranch_execz .LBB3_8
; %bb.7:
	ds_read_b32 v2, v5
	s_waitcnt lgkmcnt(0)
	ds_bpermute_b32 v1, v1, v2
	s_waitcnt lgkmcnt(0)
	v_add_f32_e32 v1, v2, v1
	ds_bpermute_b32 v2, v3, v1
	s_waitcnt lgkmcnt(0)
	v_add_f32_e32 v1, v1, v2
	;; [unrolled: 3-line block ×5, first 2 shown]
.LBB3_8:
	s_or_b32 exec_lo, exec_lo, s0
	s_barrier
	buffer_gl0_inv
	s_mov_b32 s0, exec_lo
	v_cmpx_eq_u32_e32 0, v0
	s_cbranch_execz .LBB3_10
; %bb.9:
	s_load_dwordx2 s[0:1], s[4:5], 0x38
	s_mul_i32 s2, s22, s7
	s_mul_i32 s4, s18, s8
	s_ashr_i32 s3, s2, 31
	v_mov_b32_e32 v0, 0
	s_lshl_b64 s[2:3], s[2:3], 2
	s_waitcnt lgkmcnt(0)
	s_add_u32 s2, s0, s2
	s_addc_u32 s3, s1, s3
	s_ashr_i32 s5, s4, 31
	s_lshl_b64 s[0:1], s[4:5], 2
	s_add_u32 s2, s2, s0
	s_addc_u32 s3, s3, s1
	s_ashr_i32 s7, s6, 31
	s_lshl_b64 s[0:1], s[6:7], 2
	s_add_u32 s0, s2, s0
	s_addc_u32 s1, s3, s1
	global_store_dword v0, v2, s[0:1]
.LBB3_10:
	s_endpgm
	.section	.rodata,"a",@progbits
	.p2align	6, 0x0
	.amdhsa_kernel _ZL13mul_mat_vec_fIffLi1ELi64ELb0ELb1EEvPKT_PKfPKi31ggml_cuda_mm_fusion_args_devicePfi15HIP_vector_typeIjLj3EEiiiSA_iiiSA_iiii
		.amdhsa_group_segment_fixed_size 0
		.amdhsa_private_segment_fixed_size 0
		.amdhsa_kernarg_size 144
		.amdhsa_user_sgpr_count 6
		.amdhsa_user_sgpr_private_segment_buffer 1
		.amdhsa_user_sgpr_dispatch_ptr 0
		.amdhsa_user_sgpr_queue_ptr 0
		.amdhsa_user_sgpr_kernarg_segment_ptr 1
		.amdhsa_user_sgpr_dispatch_id 0
		.amdhsa_user_sgpr_flat_scratch_init 0
		.amdhsa_user_sgpr_private_segment_size 0
		.amdhsa_wavefront_size32 1
		.amdhsa_uses_dynamic_stack 0
		.amdhsa_system_sgpr_private_segment_wavefront_offset 0
		.amdhsa_system_sgpr_workgroup_id_x 1
		.amdhsa_system_sgpr_workgroup_id_y 1
		.amdhsa_system_sgpr_workgroup_id_z 1
		.amdhsa_system_sgpr_workgroup_info 0
		.amdhsa_system_vgpr_workitem_id 0
		.amdhsa_next_free_vgpr 12
		.amdhsa_next_free_sgpr 24
		.amdhsa_reserve_vcc 1
		.amdhsa_reserve_flat_scratch 0
		.amdhsa_float_round_mode_32 0
		.amdhsa_float_round_mode_16_64 0
		.amdhsa_float_denorm_mode_32 3
		.amdhsa_float_denorm_mode_16_64 3
		.amdhsa_dx10_clamp 1
		.amdhsa_ieee_mode 1
		.amdhsa_fp16_overflow 0
		.amdhsa_workgroup_processor_mode 1
		.amdhsa_memory_ordered 1
		.amdhsa_forward_progress 1
		.amdhsa_shared_vgpr_count 0
		.amdhsa_exception_fp_ieee_invalid_op 0
		.amdhsa_exception_fp_denorm_src 0
		.amdhsa_exception_fp_ieee_div_zero 0
		.amdhsa_exception_fp_ieee_overflow 0
		.amdhsa_exception_fp_ieee_underflow 0
		.amdhsa_exception_fp_ieee_inexact 0
		.amdhsa_exception_int_div_zero 0
	.end_amdhsa_kernel
	.section	.text._ZL13mul_mat_vec_fIffLi1ELi64ELb0ELb1EEvPKT_PKfPKi31ggml_cuda_mm_fusion_args_devicePfi15HIP_vector_typeIjLj3EEiiiSA_iiiSA_iiii,"axG",@progbits,_ZL13mul_mat_vec_fIffLi1ELi64ELb0ELb1EEvPKT_PKfPKi31ggml_cuda_mm_fusion_args_devicePfi15HIP_vector_typeIjLj3EEiiiSA_iiiSA_iiii,comdat
.Lfunc_end3:
	.size	_ZL13mul_mat_vec_fIffLi1ELi64ELb0ELb1EEvPKT_PKfPKi31ggml_cuda_mm_fusion_args_devicePfi15HIP_vector_typeIjLj3EEiiiSA_iiiSA_iiii, .Lfunc_end3-_ZL13mul_mat_vec_fIffLi1ELi64ELb0ELb1EEvPKT_PKfPKi31ggml_cuda_mm_fusion_args_devicePfi15HIP_vector_typeIjLj3EEiiiSA_iiiSA_iiii
                                        ; -- End function
	.set _ZL13mul_mat_vec_fIffLi1ELi64ELb0ELb1EEvPKT_PKfPKi31ggml_cuda_mm_fusion_args_devicePfi15HIP_vector_typeIjLj3EEiiiSA_iiiSA_iiii.num_vgpr, 12
	.set _ZL13mul_mat_vec_fIffLi1ELi64ELb0ELb1EEvPKT_PKfPKi31ggml_cuda_mm_fusion_args_devicePfi15HIP_vector_typeIjLj3EEiiiSA_iiiSA_iiii.num_agpr, 0
	.set _ZL13mul_mat_vec_fIffLi1ELi64ELb0ELb1EEvPKT_PKfPKi31ggml_cuda_mm_fusion_args_devicePfi15HIP_vector_typeIjLj3EEiiiSA_iiiSA_iiii.numbered_sgpr, 24
	.set _ZL13mul_mat_vec_fIffLi1ELi64ELb0ELb1EEvPKT_PKfPKi31ggml_cuda_mm_fusion_args_devicePfi15HIP_vector_typeIjLj3EEiiiSA_iiiSA_iiii.num_named_barrier, 0
	.set _ZL13mul_mat_vec_fIffLi1ELi64ELb0ELb1EEvPKT_PKfPKi31ggml_cuda_mm_fusion_args_devicePfi15HIP_vector_typeIjLj3EEiiiSA_iiiSA_iiii.private_seg_size, 0
	.set _ZL13mul_mat_vec_fIffLi1ELi64ELb0ELb1EEvPKT_PKfPKi31ggml_cuda_mm_fusion_args_devicePfi15HIP_vector_typeIjLj3EEiiiSA_iiiSA_iiii.uses_vcc, 1
	.set _ZL13mul_mat_vec_fIffLi1ELi64ELb0ELb1EEvPKT_PKfPKi31ggml_cuda_mm_fusion_args_devicePfi15HIP_vector_typeIjLj3EEiiiSA_iiiSA_iiii.uses_flat_scratch, 0
	.set _ZL13mul_mat_vec_fIffLi1ELi64ELb0ELb1EEvPKT_PKfPKi31ggml_cuda_mm_fusion_args_devicePfi15HIP_vector_typeIjLj3EEiiiSA_iiiSA_iiii.has_dyn_sized_stack, 0
	.set _ZL13mul_mat_vec_fIffLi1ELi64ELb0ELb1EEvPKT_PKfPKi31ggml_cuda_mm_fusion_args_devicePfi15HIP_vector_typeIjLj3EEiiiSA_iiiSA_iiii.has_recursion, 0
	.set _ZL13mul_mat_vec_fIffLi1ELi64ELb0ELb1EEvPKT_PKfPKi31ggml_cuda_mm_fusion_args_devicePfi15HIP_vector_typeIjLj3EEiiiSA_iiiSA_iiii.has_indirect_call, 0
	.section	.AMDGPU.csdata,"",@progbits
; Kernel info:
; codeLenInByte = 944
; TotalNumSgprs: 26
; NumVgprs: 12
; ScratchSize: 0
; MemoryBound: 0
; FloatMode: 240
; IeeeMode: 1
; LDSByteSize: 0 bytes/workgroup (compile time only)
; SGPRBlocks: 0
; VGPRBlocks: 1
; NumSGPRsForWavesPerEU: 26
; NumVGPRsForWavesPerEU: 12
; Occupancy: 16
; WaveLimiterHint : 1
; COMPUTE_PGM_RSRC2:SCRATCH_EN: 0
; COMPUTE_PGM_RSRC2:USER_SGPR: 6
; COMPUTE_PGM_RSRC2:TRAP_HANDLER: 0
; COMPUTE_PGM_RSRC2:TGID_X_EN: 1
; COMPUTE_PGM_RSRC2:TGID_Y_EN: 1
; COMPUTE_PGM_RSRC2:TGID_Z_EN: 1
; COMPUTE_PGM_RSRC2:TIDIG_COMP_CNT: 0
	.section	.text._ZL13mul_mat_vec_fIffLi1ELi96ELb1ELb1EEvPKT_PKfPKi31ggml_cuda_mm_fusion_args_devicePfi15HIP_vector_typeIjLj3EEiiiSA_iiiSA_iiii,"axG",@progbits,_ZL13mul_mat_vec_fIffLi1ELi96ELb1ELb1EEvPKT_PKfPKi31ggml_cuda_mm_fusion_args_devicePfi15HIP_vector_typeIjLj3EEiiiSA_iiiSA_iiii,comdat
	.globl	_ZL13mul_mat_vec_fIffLi1ELi96ELb1ELb1EEvPKT_PKfPKi31ggml_cuda_mm_fusion_args_devicePfi15HIP_vector_typeIjLj3EEiiiSA_iiiSA_iiii ; -- Begin function _ZL13mul_mat_vec_fIffLi1ELi96ELb1ELb1EEvPKT_PKfPKi31ggml_cuda_mm_fusion_args_devicePfi15HIP_vector_typeIjLj3EEiiiSA_iiiSA_iiii
	.p2align	8
	.type	_ZL13mul_mat_vec_fIffLi1ELi96ELb1ELb1EEvPKT_PKfPKi31ggml_cuda_mm_fusion_args_devicePfi15HIP_vector_typeIjLj3EEiiiSA_iiiSA_iiii,@function
_ZL13mul_mat_vec_fIffLi1ELi96ELb1ELb1EEvPKT_PKfPKi31ggml_cuda_mm_fusion_args_devicePfi15HIP_vector_typeIjLj3EEiiiSA_iiiSA_iiii: ; @_ZL13mul_mat_vec_fIffLi1ELi96ELb1ELb1EEvPKT_PKfPKi31ggml_cuda_mm_fusion_args_devicePfi15HIP_vector_typeIjLj3EEiiiSA_iiiSA_iiii
; %bb.0:
	s_clause 0x3
	s_load_dword s1, s[4:5], 0x8c
	s_load_dwordx8 s[20:27], s[4:5], 0x0
	s_load_dwordx4 s[36:39], s[4:5], 0x20
	s_load_dwordx8 s[12:19], s[4:5], 0x40
	v_lshl_add_u32 v12, v0, 2, 0
	s_mov_b32 s0, s7
	s_waitcnt lgkmcnt(0)
	s_mul_i32 s1, s1, s8
	s_add_i32 s2, s1, s7
	s_ashr_i32 s3, s2, 31
	s_lshl_b64 s[2:3], s[2:3], 2
	s_add_u32 s10, s24, s2
	s_addc_u32 s11, s25, s3
	s_cmp_lg_u64 s[36:37], 0
	v_cmp_gt_u32_e64 s2, 32, v0
	s_cselect_b32 s1, -1, 0
	s_cmp_eq_u64 s[36:37], 0
	s_cselect_b32 s19, -1, 0
	s_and_saveexec_b32 s3, s2
	s_cbranch_execz .LBB4_3
; %bb.1:
	v_mov_b32_e32 v1, 0
	s_andn2_b32 vcc_lo, exec_lo, s1
	ds_write_b32 v12, v1
	s_cbranch_vccnz .LBB4_3
; %bb.2:
	ds_write_b32 v12, v1 offset:128
.LBB4_3:
	s_or_b32 exec_lo, exec_lo, s3
	s_load_dword s7, s[10:11], 0x0
	s_load_dwordx4 s[28:31], s[4:5], 0x68
	v_mov_b32_e32 v11, 0
	v_mov_b32_e32 v13, 0
	s_mov_b32 s9, exec_lo
	s_waitcnt lgkmcnt(0)
	s_barrier
	buffer_gl0_inv
	v_cmpx_gt_i32_e64 s12, v0
	s_cbranch_execz .LBB4_9
; %bb.4:
	s_mul_hi_u32 s3, s13, s0
	s_mul_i32 s10, s7, s28
	s_add_i32 s3, s0, s3
	s_mul_i32 s11, s16, s6
	s_lshr_b32 s3, s3, s14
	s_ashr_i32 s13, s10, 31
	s_mul_i32 s3, s3, s15
	s_ashr_i32 s14, s11, 31
	s_sub_i32 s3, s0, s3
	s_add_u32 s10, s10, s11
	s_addc_u32 s11, s13, s14
	s_mul_i32 s13, s8, s17
	s_mul_i32 s14, s3, s29
	s_lshl_b32 s16, s13, 1
	s_ashr_i32 s15, s14, 31
	s_ashr_i32 s17, s16, 31
	s_and_b32 s3, s1, exec_lo
	s_cselect_b32 s29, s11, 0
	s_cselect_b32 s28, s10, 0
	v_lshlrev_b32_e32 v3, 3, v0
	s_cselect_b32 s3, s37, 0
	s_cselect_b32 s13, s36, 0
	s_lshl_b64 s[28:29], s[28:29], 2
	v_mov_b32_e32 v11, 0
	s_add_u32 s13, s13, s28
	s_addc_u32 s3, s3, s29
	v_add_co_u32 v1, s13, s13, v3
	s_lshl_b64 s[14:15], s[14:15], 2
	s_lshl_b64 s[16:17], s[16:17], 2
	v_add_co_ci_u32_e64 v2, null, s3, 0, s13
	s_add_u32 s3, s22, s14
	s_addc_u32 s13, s23, s15
	s_add_u32 s3, s3, s16
	s_addc_u32 s13, s13, s17
	s_lshl_b64 s[10:11], s[10:11], 2
	v_add_co_u32 v4, s3, s3, v3
	v_add_co_ci_u32_e64 v5, null, s13, 0, s3
	s_add_u32 s3, s20, s10
	s_addc_u32 s10, s21, s11
	v_add_co_u32 v6, s3, s3, v3
	v_add_co_u32 v1, vcc_lo, v1, 4
	v_add_co_ci_u32_e64 v7, null, s10, 0, s3
	v_add_co_ci_u32_e64 v2, null, 0, v2, vcc_lo
	v_add_co_u32 v3, vcc_lo, v4, 4
	v_add_co_ci_u32_e64 v4, null, 0, v5, vcc_lo
	v_add_co_u32 v5, vcc_lo, v6, 4
	v_add_co_ci_u32_e64 v6, null, 0, v7, vcc_lo
	v_mov_b32_e32 v14, v0
	v_mov_b32_e32 v13, 0
	s_mov_b32 s10, 0
	s_inst_prefetch 0x1
	s_branch .LBB4_6
	.p2align	6
.LBB4_5:                                ;   in Loop: Header=BB4_6 Depth=1
	global_load_dwordx2 v[15:16], v[3:4], off offset:-4
	v_add_nc_u32_e32 v14, 0x60, v14
	v_add_co_u32 v1, vcc_lo, 0x300, v1
	v_add_co_ci_u32_e64 v2, null, 0, v2, vcc_lo
	v_add_co_u32 v3, vcc_lo, 0x300, v3
	v_add_co_ci_u32_e64 v4, null, 0, v4, vcc_lo
	v_cmp_le_i32_e32 vcc_lo, s12, v14
	v_add_co_u32 v5, s3, 0x300, v5
	v_add_co_ci_u32_e64 v6, null, 0, v6, s3
	s_or_b32 s10, vcc_lo, s10
	s_waitcnt vmcnt(0)
	v_fma_f32 v9, v9, v15, v11
	v_fmac_f32_e32 v13, v7, v15
	v_fmac_f32_e32 v9, v10, v16
	;; [unrolled: 1-line block ×3, first 2 shown]
	v_cndmask_b32_e64 v11, v11, v9, s1
	s_andn2_b32 exec_lo, exec_lo, s10
	s_cbranch_execz .LBB4_8
.LBB4_6:                                ; =>This Inner Loop Header: Depth=1
	global_load_dwordx2 v[7:8], v[5:6], off offset:-4
	v_mov_b32_e32 v10, 0
	v_mov_b32_e32 v9, 0
	s_andn2_b32 vcc_lo, exec_lo, s1
	s_cbranch_vccnz .LBB4_5
; %bb.7:                                ;   in Loop: Header=BB4_6 Depth=1
	global_load_dwordx2 v[9:10], v[1:2], off offset:-4
	s_branch .LBB4_5
.LBB4_8:
	s_inst_prefetch 0x2
	s_or_b32 exec_lo, exec_lo, s10
.LBB4_9:
	s_or_b32 exec_lo, exec_lo, s9
	v_mbcnt_lo_u32_b32 v1, -1, 0
	s_load_dword s9, s[4:5], 0x30
	s_mov_b32 s3, -1
	v_xor_b32_e32 v2, 16, v1
	v_xor_b32_e32 v3, 8, v1
	v_cmp_gt_i32_e32 vcc_lo, 32, v2
	v_cndmask_b32_e32 v2, v1, v2, vcc_lo
	v_cmp_gt_i32_e32 vcc_lo, 32, v3
	v_lshlrev_b32_e32 v2, 2, v2
	v_cndmask_b32_e32 v3, v1, v3, vcc_lo
	ds_bpermute_b32 v4, v2, v13
	v_lshlrev_b32_e32 v3, 2, v3
	s_waitcnt lgkmcnt(0)
	v_add_f32_e32 v5, v13, v4
	v_xor_b32_e32 v4, 4, v1
	ds_bpermute_b32 v6, v3, v5
	v_cmp_gt_i32_e32 vcc_lo, 32, v4
	v_cndmask_b32_e32 v4, v1, v4, vcc_lo
	v_lshlrev_b32_e32 v4, 2, v4
	s_waitcnt lgkmcnt(0)
	v_add_f32_e32 v6, v5, v6
	v_xor_b32_e32 v5, 2, v1
	ds_bpermute_b32 v7, v4, v6
	v_cmp_gt_i32_e32 vcc_lo, 32, v5
	v_cndmask_b32_e32 v5, v1, v5, vcc_lo
	;; [unrolled: 7-line block ×3, first 2 shown]
	s_and_b32 vcc_lo, exec_lo, s19
	v_lshlrev_b32_e32 v6, 2, v1
	s_waitcnt lgkmcnt(0)
	v_add_f32_e32 v1, v7, v8
	v_lshrrev_b32_e32 v8, 5, v0
	ds_bpermute_b32 v7, v6, v1
	s_waitcnt lgkmcnt(0)
	v_add_f32_e32 v1, v1, v7
	v_lshl_add_u32 v7, v8, 2, 0
	s_cbranch_vccz .LBB4_11
; %bb.10:
	s_mov_b32 s3, 0
	ds_write_b32 v7, v1
.LBB4_11:
	s_andn2_b32 vcc_lo, exec_lo, s3
	s_cbranch_vccnz .LBB4_13
; %bb.12:
	ds_bpermute_b32 v8, v2, v11
	s_waitcnt lgkmcnt(0)
	v_add_f32_e32 v8, v11, v8
	ds_bpermute_b32 v9, v3, v8
	s_waitcnt lgkmcnt(0)
	v_add_f32_e32 v8, v8, v9
	;; [unrolled: 3-line block ×5, first 2 shown]
	ds_write2_b32 v7, v1, v11 offset1:32
.LBB4_13:
	s_waitcnt lgkmcnt(0)
	s_barrier
	buffer_gl0_inv
	s_and_saveexec_b32 s3, s2
	s_cbranch_execz .LBB4_17
; %bb.14:
	ds_read_b32 v1, v12
	s_andn2_b32 vcc_lo, exec_lo, s1
	s_waitcnt lgkmcnt(0)
	ds_bpermute_b32 v7, v2, v1
	s_waitcnt lgkmcnt(0)
	v_add_f32_e32 v1, v1, v7
	ds_bpermute_b32 v7, v3, v1
	s_waitcnt lgkmcnt(0)
	v_add_f32_e32 v1, v1, v7
	ds_bpermute_b32 v7, v4, v1
	s_waitcnt lgkmcnt(0)
	v_add_f32_e32 v1, v1, v7
	ds_bpermute_b32 v7, v5, v1
	s_waitcnt lgkmcnt(0)
	v_add_f32_e32 v1, v1, v7
	ds_bpermute_b32 v7, v6, v1
	s_cbranch_vccnz .LBB4_16
; %bb.15:
	ds_read_b32 v8, v12 offset:128
	s_waitcnt lgkmcnt(0)
	ds_bpermute_b32 v2, v2, v8
	s_waitcnt lgkmcnt(0)
	v_add_f32_e32 v2, v8, v2
	ds_bpermute_b32 v3, v3, v2
	s_waitcnt lgkmcnt(0)
	v_add_f32_e32 v2, v2, v3
	;; [unrolled: 3-line block ×5, first 2 shown]
.LBB4_16:
	s_waitcnt lgkmcnt(0)
	v_add_f32_e32 v1, v1, v7
.LBB4_17:
	s_or_b32 exec_lo, exec_lo, s3
	s_barrier
	buffer_gl0_inv
	s_mov_b32 s2, exec_lo
	v_cmpx_eq_u32_e32 0, v0
	s_cbranch_execz .LBB4_41
; %bb.18:
	s_cmp_eq_u64 s[26:27], 0
	s_cselect_b32 s10, -1, 0
	s_cmp_eq_u64 s[24:25], 0
	s_cselect_b32 s2, s0, s7
	s_mul_i32 s2, s2, s30
	s_ashr_i32 s3, s2, 31
	s_and_b32 vcc_lo, exec_lo, s10
	s_cbranch_vccnz .LBB4_20
; %bb.19:
	s_cselect_b32 s7, 0, s27
	s_cselect_b32 s12, 0, s26
	s_lshl_b64 s[10:11], s[2:3], 2
	s_add_u32 s12, s12, s10
	s_addc_u32 s13, s7, s11
	s_ashr_i32 s7, s6, 31
	s_lshl_b64 s[10:11], s[6:7], 2
	s_add_u32 s10, s12, s10
	s_addc_u32 s11, s13, s11
	s_load_dword s7, s[10:11], 0x0
	s_waitcnt lgkmcnt(0)
	v_add_f32_e32 v1, s7, v1
.LBB4_20:
	s_andn2_b32 vcc_lo, exec_lo, s1
	s_cbranch_vccnz .LBB4_40
; %bb.21:
	s_cmp_lg_u64 s[38:39], 0
	s_cselect_b32 s7, -1, 0
	s_and_b32 s1, s7, s1
	s_andn2_b32 vcc_lo, exec_lo, s1
	s_cbranch_vccnz .LBB4_23
; %bb.22:
	s_and_b32 s7, s7, exec_lo
	s_cselect_b32 s7, s39, 0
	s_cselect_b32 s10, s38, 0
	s_and_b32 s1, s1, exec_lo
	s_cselect_b32 s3, s3, 0
	s_cselect_b32 s2, s2, 0
	s_lshl_b64 s[2:3], s[2:3], 2
	s_add_u32 s1, s10, s2
	s_addc_u32 s10, s7, s3
	s_ashr_i32 s7, s6, 31
	s_lshl_b64 s[2:3], s[6:7], 2
	s_add_u32 s2, s1, s2
	s_addc_u32 s3, s10, s3
	s_load_dword s1, s[2:3], 0x0
	s_waitcnt lgkmcnt(0)
	v_add_f32_e32 v11, s1, v11
.LBB4_23:
	s_cmp_lt_i32 s9, 2
	s_cbranch_scc1 .LBB4_28
; %bb.24:
	s_cmp_lt_i32 s9, 3
	s_cbranch_scc1 .LBB4_29
; %bb.25:
	v_mov_b32_e32 v0, v1
	s_cmp_eq_u32 s9, 3
	s_cbranch_scc0 .LBB4_27
; %bb.26:
	v_max_f32_e32 v0, v11, v11
	v_min_f32_e32 v0, 0x40e00000, v0
	v_mul_f32_e32 v2, 0xbfd9db23, v0
	v_mul_f32_e32 v3, 0x3fb8aa3b, v2
	v_cmp_ngt_f32_e32 vcc_lo, 0xc2ce8ed0, v2
	v_fma_f32 v4, 0x3fb8aa3b, v2, -v3
	v_rndne_f32_e32 v5, v3
	v_fmamk_f32 v4, v2, 0x32a5705f, v4
	v_sub_f32_e32 v3, v3, v5
	v_add_f32_e32 v3, v3, v4
	v_cvt_i32_f32_e32 v4, v5
	v_exp_f32_e32 v3, v3
	v_ldexp_f32 v3, v3, v4
	v_cndmask_b32_e32 v3, 0, v3, vcc_lo
	v_cmp_nlt_f32_e32 vcc_lo, 0x42b17218, v2
	v_cndmask_b32_e32 v2, 0x7f800000, v3, vcc_lo
	v_add_f32_e32 v2, 1.0, v2
	v_div_scale_f32 v3, null, v2, v2, v0
	v_div_scale_f32 v6, vcc_lo, v0, v2, v0
	v_rcp_f32_e32 v4, v3
	v_fma_f32 v5, -v3, v4, 1.0
	v_fmac_f32_e32 v4, v5, v4
	v_mul_f32_e32 v5, v6, v4
	v_fma_f32 v7, -v3, v5, v6
	v_fmac_f32_e32 v5, v7, v4
	v_max_f32_e32 v7, v1, v1
	v_fma_f32 v3, -v3, v5, v6
	v_min_f32_e32 v6, 0x40e00000, v7
	v_div_fmas_f32 v3, v3, v4, v5
	v_max_f32_e32 v4, 0xc0e00000, v6
	v_div_fixup_f32 v0, v3, v2, v0
	v_add_f32_e32 v2, 1.0, v4
	v_mul_f32_e32 v0, v2, v0
.LBB4_27:
	s_cbranch_execz .LBB4_30
	s_branch .LBB4_31
.LBB4_28:
                                        ; implicit-def: $vgpr0
	s_branch .LBB4_32
.LBB4_29:
                                        ; implicit-def: $vgpr0
.LBB4_30:
	v_mul_f32_e32 v0, 0xbfb8aa3b, v11
	v_cmp_nlt_f32_e32 vcc_lo, 0x42ce8ed0, v11
	v_rndne_f32_e32 v2, v0
	v_fma_f32 v3, 0xbfb8aa3b, v11, -v0
	v_sub_f32_e32 v0, v0, v2
	v_fmamk_f32 v3, v11, 0xb2a5705f, v3
	v_cvt_i32_f32_e32 v2, v2
	v_add_f32_e32 v0, v0, v3
	v_exp_f32_e32 v0, v0
	v_ldexp_f32 v0, v0, v2
	v_cndmask_b32_e32 v0, 0, v0, vcc_lo
	v_cmp_ngt_f32_e32 vcc_lo, 0xc2b17218, v11
	v_cndmask_b32_e32 v0, 0x7f800000, v0, vcc_lo
	v_add_f32_e32 v0, 1.0, v0
	v_div_scale_f32 v2, null, v0, v0, v11
	v_rcp_f32_e32 v3, v2
	v_fma_f32 v4, -v2, v3, 1.0
	v_fmac_f32_e32 v3, v4, v3
	v_div_scale_f32 v4, vcc_lo, v11, v0, v11
	v_mul_f32_e32 v5, v4, v3
	v_fma_f32 v6, -v2, v5, v4
	v_fmac_f32_e32 v5, v6, v3
	v_fma_f32 v2, -v2, v5, v4
	v_div_fmas_f32 v2, v2, v3, v5
	v_div_fixup_f32 v0, v2, v0, v11
	v_mul_f32_e32 v0, v1, v0
.LBB4_31:
	s_cbranch_execnz .LBB4_39
.LBB4_32:
	s_cmp_eq_u32 s9, 1
	s_cbranch_scc0 .LBB4_38
; %bb.33:
	v_mul_f32_e32 v0, 0x3d372713, v11
	v_mul_f32_e32 v2, 0x3f4c422a, v11
	v_fma_f32 v0, v11, v0, 1.0
	v_mul_f32_e32 v0, v2, v0
                                        ; implicit-def: $vgpr2
	v_cmp_ngt_f32_e64 s1, 0x3f200000, |v0|
	s_and_saveexec_b32 s2, s1
	s_xor_b32 s1, exec_lo, s2
	s_cbranch_execz .LBB4_35
; %bb.34:
	v_add_f32_e64 v2, |v0|, |v0|
	v_mul_f32_e32 v3, 0x3fb8aa3b, v2
	v_cmp_ngt_f32_e32 vcc_lo, 0xc2ce8ed0, v2
	v_rndne_f32_e32 v4, v3
	v_fma_f32 v5, 0x3fb8aa3b, v2, -v3
	v_sub_f32_e32 v3, v3, v4
	v_fmamk_f32 v5, v2, 0x32a5705f, v5
	v_cvt_i32_f32_e32 v4, v4
	v_add_f32_e32 v3, v3, v5
	v_exp_f32_e32 v3, v3
	v_ldexp_f32 v3, v3, v4
	v_cndmask_b32_e32 v3, 0, v3, vcc_lo
	v_cmp_nlt_f32_e32 vcc_lo, 0x42b17218, v2
	v_cndmask_b32_e32 v2, 0x7f800000, v3, vcc_lo
	v_add_f32_e32 v2, 1.0, v2
	v_rcp_f32_e32 v2, v2
	v_fma_f32 v2, v2, -2.0, 1.0
.LBB4_35:
	s_andn2_saveexec_b32 s1, s1
	s_cbranch_execz .LBB4_37
; %bb.36:
	v_mul_f32_e32 v2, v0, v0
	s_mov_b32 s2, 0xbbbac73d
	v_fmaak_f32 v3, s2, v2, 0x3ca908c9
	v_fmaak_f32 v3, v2, v3, 0xbd5c1c4e
	;; [unrolled: 1-line block ×4, first 2 shown]
	v_mul_f32_e64 v3, |v0|, v3
	v_fma_f32 v2, v2, v3, |v0|
.LBB4_37:
	s_or_b32 exec_lo, exec_lo, s1
	v_bfi_b32 v0, 0x7fffffff, v2, v0
	v_mul_f32_e32 v2, 0.5, v11
	v_add_f32_e32 v0, 1.0, v0
	v_mul_f32_e32 v0, v2, v0
	v_mul_f32_e32 v1, v1, v0
.LBB4_38:
	v_mov_b32_e32 v0, v1
.LBB4_39:
	v_mov_b32_e32 v1, v0
.LBB4_40:
	s_load_dwordx2 s[2:3], s[4:5], 0x38
	s_mul_i32 s0, s30, s0
	s_mul_i32 s4, s18, s8
	s_ashr_i32 s1, s0, 31
	v_mov_b32_e32 v0, 0
	s_lshl_b64 s[0:1], s[0:1], 2
	s_waitcnt lgkmcnt(0)
	s_add_u32 s2, s2, s0
	s_addc_u32 s3, s3, s1
	s_ashr_i32 s5, s4, 31
	s_lshl_b64 s[0:1], s[4:5], 2
	s_add_u32 s2, s2, s0
	s_addc_u32 s3, s3, s1
	s_ashr_i32 s7, s6, 31
	s_lshl_b64 s[0:1], s[6:7], 2
	s_add_u32 s0, s2, s0
	s_addc_u32 s1, s3, s1
	global_store_dword v0, v1, s[0:1]
.LBB4_41:
	s_endpgm
	.section	.rodata,"a",@progbits
	.p2align	6, 0x0
	.amdhsa_kernel _ZL13mul_mat_vec_fIffLi1ELi96ELb1ELb1EEvPKT_PKfPKi31ggml_cuda_mm_fusion_args_devicePfi15HIP_vector_typeIjLj3EEiiiSA_iiiSA_iiii
		.amdhsa_group_segment_fixed_size 0
		.amdhsa_private_segment_fixed_size 0
		.amdhsa_kernarg_size 144
		.amdhsa_user_sgpr_count 6
		.amdhsa_user_sgpr_private_segment_buffer 1
		.amdhsa_user_sgpr_dispatch_ptr 0
		.amdhsa_user_sgpr_queue_ptr 0
		.amdhsa_user_sgpr_kernarg_segment_ptr 1
		.amdhsa_user_sgpr_dispatch_id 0
		.amdhsa_user_sgpr_flat_scratch_init 0
		.amdhsa_user_sgpr_private_segment_size 0
		.amdhsa_wavefront_size32 1
		.amdhsa_uses_dynamic_stack 0
		.amdhsa_system_sgpr_private_segment_wavefront_offset 0
		.amdhsa_system_sgpr_workgroup_id_x 1
		.amdhsa_system_sgpr_workgroup_id_y 1
		.amdhsa_system_sgpr_workgroup_id_z 1
		.amdhsa_system_sgpr_workgroup_info 0
		.amdhsa_system_vgpr_workitem_id 0
		.amdhsa_next_free_vgpr 17
		.amdhsa_next_free_sgpr 40
		.amdhsa_reserve_vcc 1
		.amdhsa_reserve_flat_scratch 0
		.amdhsa_float_round_mode_32 0
		.amdhsa_float_round_mode_16_64 0
		.amdhsa_float_denorm_mode_32 3
		.amdhsa_float_denorm_mode_16_64 3
		.amdhsa_dx10_clamp 1
		.amdhsa_ieee_mode 1
		.amdhsa_fp16_overflow 0
		.amdhsa_workgroup_processor_mode 1
		.amdhsa_memory_ordered 1
		.amdhsa_forward_progress 1
		.amdhsa_shared_vgpr_count 0
		.amdhsa_exception_fp_ieee_invalid_op 0
		.amdhsa_exception_fp_denorm_src 0
		.amdhsa_exception_fp_ieee_div_zero 0
		.amdhsa_exception_fp_ieee_overflow 0
		.amdhsa_exception_fp_ieee_underflow 0
		.amdhsa_exception_fp_ieee_inexact 0
		.amdhsa_exception_int_div_zero 0
	.end_amdhsa_kernel
	.section	.text._ZL13mul_mat_vec_fIffLi1ELi96ELb1ELb1EEvPKT_PKfPKi31ggml_cuda_mm_fusion_args_devicePfi15HIP_vector_typeIjLj3EEiiiSA_iiiSA_iiii,"axG",@progbits,_ZL13mul_mat_vec_fIffLi1ELi96ELb1ELb1EEvPKT_PKfPKi31ggml_cuda_mm_fusion_args_devicePfi15HIP_vector_typeIjLj3EEiiiSA_iiiSA_iiii,comdat
.Lfunc_end4:
	.size	_ZL13mul_mat_vec_fIffLi1ELi96ELb1ELb1EEvPKT_PKfPKi31ggml_cuda_mm_fusion_args_devicePfi15HIP_vector_typeIjLj3EEiiiSA_iiiSA_iiii, .Lfunc_end4-_ZL13mul_mat_vec_fIffLi1ELi96ELb1ELb1EEvPKT_PKfPKi31ggml_cuda_mm_fusion_args_devicePfi15HIP_vector_typeIjLj3EEiiiSA_iiiSA_iiii
                                        ; -- End function
	.set _ZL13mul_mat_vec_fIffLi1ELi96ELb1ELb1EEvPKT_PKfPKi31ggml_cuda_mm_fusion_args_devicePfi15HIP_vector_typeIjLj3EEiiiSA_iiiSA_iiii.num_vgpr, 17
	.set _ZL13mul_mat_vec_fIffLi1ELi96ELb1ELb1EEvPKT_PKfPKi31ggml_cuda_mm_fusion_args_devicePfi15HIP_vector_typeIjLj3EEiiiSA_iiiSA_iiii.num_agpr, 0
	.set _ZL13mul_mat_vec_fIffLi1ELi96ELb1ELb1EEvPKT_PKfPKi31ggml_cuda_mm_fusion_args_devicePfi15HIP_vector_typeIjLj3EEiiiSA_iiiSA_iiii.numbered_sgpr, 40
	.set _ZL13mul_mat_vec_fIffLi1ELi96ELb1ELb1EEvPKT_PKfPKi31ggml_cuda_mm_fusion_args_devicePfi15HIP_vector_typeIjLj3EEiiiSA_iiiSA_iiii.num_named_barrier, 0
	.set _ZL13mul_mat_vec_fIffLi1ELi96ELb1ELb1EEvPKT_PKfPKi31ggml_cuda_mm_fusion_args_devicePfi15HIP_vector_typeIjLj3EEiiiSA_iiiSA_iiii.private_seg_size, 0
	.set _ZL13mul_mat_vec_fIffLi1ELi96ELb1ELb1EEvPKT_PKfPKi31ggml_cuda_mm_fusion_args_devicePfi15HIP_vector_typeIjLj3EEiiiSA_iiiSA_iiii.uses_vcc, 1
	.set _ZL13mul_mat_vec_fIffLi1ELi96ELb1ELb1EEvPKT_PKfPKi31ggml_cuda_mm_fusion_args_devicePfi15HIP_vector_typeIjLj3EEiiiSA_iiiSA_iiii.uses_flat_scratch, 0
	.set _ZL13mul_mat_vec_fIffLi1ELi96ELb1ELb1EEvPKT_PKfPKi31ggml_cuda_mm_fusion_args_devicePfi15HIP_vector_typeIjLj3EEiiiSA_iiiSA_iiii.has_dyn_sized_stack, 0
	.set _ZL13mul_mat_vec_fIffLi1ELi96ELb1ELb1EEvPKT_PKfPKi31ggml_cuda_mm_fusion_args_devicePfi15HIP_vector_typeIjLj3EEiiiSA_iiiSA_iiii.has_recursion, 0
	.set _ZL13mul_mat_vec_fIffLi1ELi96ELb1ELb1EEvPKT_PKfPKi31ggml_cuda_mm_fusion_args_devicePfi15HIP_vector_typeIjLj3EEiiiSA_iiiSA_iiii.has_indirect_call, 0
	.section	.AMDGPU.csdata,"",@progbits
; Kernel info:
; codeLenInByte = 2192
; TotalNumSgprs: 42
; NumVgprs: 17
; ScratchSize: 0
; MemoryBound: 0
; FloatMode: 240
; IeeeMode: 1
; LDSByteSize: 0 bytes/workgroup (compile time only)
; SGPRBlocks: 0
; VGPRBlocks: 2
; NumSGPRsForWavesPerEU: 42
; NumVGPRsForWavesPerEU: 17
; Occupancy: 16
; WaveLimiterHint : 1
; COMPUTE_PGM_RSRC2:SCRATCH_EN: 0
; COMPUTE_PGM_RSRC2:USER_SGPR: 6
; COMPUTE_PGM_RSRC2:TRAP_HANDLER: 0
; COMPUTE_PGM_RSRC2:TGID_X_EN: 1
; COMPUTE_PGM_RSRC2:TGID_Y_EN: 1
; COMPUTE_PGM_RSRC2:TGID_Z_EN: 1
; COMPUTE_PGM_RSRC2:TIDIG_COMP_CNT: 0
	.section	.text._ZL13mul_mat_vec_fIffLi1ELi96ELb0ELb1EEvPKT_PKfPKi31ggml_cuda_mm_fusion_args_devicePfi15HIP_vector_typeIjLj3EEiiiSA_iiiSA_iiii,"axG",@progbits,_ZL13mul_mat_vec_fIffLi1ELi96ELb0ELb1EEvPKT_PKfPKi31ggml_cuda_mm_fusion_args_devicePfi15HIP_vector_typeIjLj3EEiiiSA_iiiSA_iiii,comdat
	.globl	_ZL13mul_mat_vec_fIffLi1ELi96ELb0ELb1EEvPKT_PKfPKi31ggml_cuda_mm_fusion_args_devicePfi15HIP_vector_typeIjLj3EEiiiSA_iiiSA_iiii ; -- Begin function _ZL13mul_mat_vec_fIffLi1ELi96ELb0ELb1EEvPKT_PKfPKi31ggml_cuda_mm_fusion_args_devicePfi15HIP_vector_typeIjLj3EEiiiSA_iiiSA_iiii
	.p2align	8
	.type	_ZL13mul_mat_vec_fIffLi1ELi96ELb0ELb1EEvPKT_PKfPKi31ggml_cuda_mm_fusion_args_devicePfi15HIP_vector_typeIjLj3EEiiiSA_iiiSA_iiii,@function
_ZL13mul_mat_vec_fIffLi1ELi96ELb0ELb1EEvPKT_PKfPKi31ggml_cuda_mm_fusion_args_devicePfi15HIP_vector_typeIjLj3EEiiiSA_iiiSA_iiii: ; @_ZL13mul_mat_vec_fIffLi1ELi96ELb0ELb1EEvPKT_PKfPKi31ggml_cuda_mm_fusion_args_devicePfi15HIP_vector_typeIjLj3EEiiiSA_iiiSA_iiii
; %bb.0:
	s_clause 0x2
	s_load_dword s2, s[4:5], 0x8c
	s_load_dwordx2 s[0:1], s[4:5], 0x10
	s_load_dwordx8 s[12:19], s[4:5], 0x40
	v_cmp_gt_u32_e32 vcc_lo, 32, v0
	v_lshl_add_u32 v5, v0, 2, 0
	s_waitcnt lgkmcnt(0)
	s_mul_i32 s2, s2, s8
	s_add_i32 s2, s2, s7
	s_ashr_i32 s3, s2, 31
	s_lshl_b64 s[2:3], s[2:3], 2
	s_add_u32 s2, s0, s2
	s_addc_u32 s3, s1, s3
	s_and_saveexec_b32 s0, vcc_lo
; %bb.1:
	v_mov_b32_e32 v1, 0
	ds_write_b32 v5, v1
; %bb.2:
	s_or_b32 exec_lo, exec_lo, s0
	s_load_dwordx4 s[20:23], s[4:5], 0x68
	v_mov_b32_e32 v6, 0
	s_mov_b32 s9, exec_lo
	s_waitcnt lgkmcnt(0)
	s_barrier
	buffer_gl0_inv
	v_cmpx_gt_i32_e64 s12, v0
	s_cbranch_execz .LBB5_6
; %bb.3:
	s_load_dword s19, s[2:3], 0x0
	s_load_dwordx4 s[0:3], s[4:5], 0x0
	s_mul_hi_u32 s11, s13, s7
	s_mul_i32 s13, s8, s17
	s_add_i32 s17, s7, s11
	s_mul_i32 s10, s16, s6
	s_lshl_b32 s16, s13, 1
	s_lshr_b32 s13, s17, s14
	s_ashr_i32 s11, s10, 31
	s_mul_i32 s13, s13, s15
	s_ashr_i32 s17, s16, 31
	s_sub_i32 s13, s7, s13
	s_lshl_b64 s[10:11], s[10:11], 2
	v_lshlrev_b32_e32 v1, 3, v0
	v_mov_b32_e32 v6, 0
	s_waitcnt lgkmcnt(0)
	s_mul_i32 s14, s19, s20
	s_mul_i32 s20, s13, s21
	s_ashr_i32 s15, s14, 31
	s_ashr_i32 s21, s20, 31
	s_lshl_b64 s[14:15], s[14:15], 2
	s_add_u32 s0, s0, s14
	s_addc_u32 s1, s1, s15
	s_add_u32 s13, s0, s10
	s_addc_u32 s14, s1, s11
	s_lshl_b64 s[10:11], s[20:21], 2
	s_lshl_b64 s[0:1], s[16:17], 2
	s_add_u32 s2, s2, s10
	s_addc_u32 s3, s3, s11
	v_add_co_u32 v2, s13, s13, v1
	s_add_u32 s0, s2, s0
	v_add_co_ci_u32_e64 v3, null, s14, 0, s13
	s_addc_u32 s1, s3, s1
	v_add_co_u32 v4, s0, s0, v1
	v_add_co_ci_u32_e64 v7, null, s1, 0, s0
	v_add_co_u32 v1, s0, v2, 4
	v_add_co_ci_u32_e64 v2, null, 0, v3, s0
	;; [unrolled: 2-line block ×3, first 2 shown]
	v_mov_b32_e32 v7, v0
	s_mov_b32 s2, 0
	.p2align	6
.LBB5_4:                                ; =>This Inner Loop Header: Depth=1
	global_load_dwordx2 v[8:9], v[1:2], off offset:-4
	global_load_dwordx2 v[10:11], v[3:4], off offset:-4
	v_add_nc_u32_e32 v7, 0x60, v7
	v_add_co_u32 v1, s0, 0x300, v1
	v_add_co_ci_u32_e64 v2, null, 0, v2, s0
	v_add_co_u32 v3, s0, 0x300, v3
	v_cmp_le_i32_e64 s1, s12, v7
	v_add_co_ci_u32_e64 v4, null, 0, v4, s0
	s_or_b32 s2, s1, s2
	s_waitcnt vmcnt(0)
	v_fmac_f32_e32 v6, v8, v10
	v_fmac_f32_e32 v6, v9, v11
	s_andn2_b32 exec_lo, exec_lo, s2
	s_cbranch_execnz .LBB5_4
; %bb.5:
	s_or_b32 exec_lo, exec_lo, s2
.LBB5_6:
	s_or_b32 exec_lo, exec_lo, s9
	v_mbcnt_lo_u32_b32 v2, -1, 0
	v_xor_b32_e32 v1, 16, v2
	v_xor_b32_e32 v3, 8, v2
	v_cmp_gt_i32_e64 s0, 32, v1
	v_cndmask_b32_e64 v1, v2, v1, s0
	v_cmp_gt_i32_e64 s0, 32, v3
	v_lshlrev_b32_e32 v1, 2, v1
	v_cndmask_b32_e64 v3, v2, v3, s0
	ds_bpermute_b32 v4, v1, v6
	v_lshlrev_b32_e32 v3, 2, v3
	s_waitcnt lgkmcnt(0)
	v_add_f32_e32 v6, v6, v4
	v_xor_b32_e32 v4, 4, v2
	ds_bpermute_b32 v7, v3, v6
	v_cmp_gt_i32_e64 s0, 32, v4
	v_cndmask_b32_e64 v4, v2, v4, s0
	v_lshlrev_b32_e32 v4, 2, v4
	s_waitcnt lgkmcnt(0)
	v_add_f32_e32 v7, v6, v7
	v_xor_b32_e32 v6, 2, v2
	ds_bpermute_b32 v8, v4, v7
	v_cmp_gt_i32_e64 s0, 32, v6
	v_cndmask_b32_e64 v6, v2, v6, s0
	v_lshlrev_b32_e32 v6, 2, v6
	s_waitcnt lgkmcnt(0)
	v_add_f32_e32 v8, v7, v8
	v_xor_b32_e32 v7, 1, v2
	ds_bpermute_b32 v9, v6, v8
	v_cmp_gt_i32_e64 s0, 32, v7
	v_cndmask_b32_e64 v2, v2, v7, s0
	v_lshlrev_b32_e32 v7, 2, v2
	s_waitcnt lgkmcnt(0)
	v_add_f32_e32 v2, v8, v9
	v_lshrrev_b32_e32 v9, 3, v0
	ds_bpermute_b32 v8, v7, v2
	v_and_b32_e32 v9, 0x7c, v9
	v_add_nc_u32_e32 v9, 0, v9
	s_waitcnt lgkmcnt(0)
	v_add_f32_e32 v2, v2, v8
	ds_write_b32 v9, v2
	s_waitcnt lgkmcnt(0)
	s_barrier
	buffer_gl0_inv
	s_and_saveexec_b32 s0, vcc_lo
	s_cbranch_execz .LBB5_8
; %bb.7:
	ds_read_b32 v2, v5
	s_waitcnt lgkmcnt(0)
	ds_bpermute_b32 v1, v1, v2
	s_waitcnt lgkmcnt(0)
	v_add_f32_e32 v1, v2, v1
	ds_bpermute_b32 v2, v3, v1
	s_waitcnt lgkmcnt(0)
	v_add_f32_e32 v1, v1, v2
	;; [unrolled: 3-line block ×5, first 2 shown]
.LBB5_8:
	s_or_b32 exec_lo, exec_lo, s0
	s_barrier
	buffer_gl0_inv
	s_mov_b32 s0, exec_lo
	v_cmpx_eq_u32_e32 0, v0
	s_cbranch_execz .LBB5_10
; %bb.9:
	s_load_dwordx2 s[0:1], s[4:5], 0x38
	s_mul_i32 s2, s22, s7
	s_mul_i32 s4, s18, s8
	s_ashr_i32 s3, s2, 31
	v_mov_b32_e32 v0, 0
	s_lshl_b64 s[2:3], s[2:3], 2
	s_waitcnt lgkmcnt(0)
	s_add_u32 s2, s0, s2
	s_addc_u32 s3, s1, s3
	s_ashr_i32 s5, s4, 31
	s_lshl_b64 s[0:1], s[4:5], 2
	s_add_u32 s2, s2, s0
	s_addc_u32 s3, s3, s1
	s_ashr_i32 s7, s6, 31
	s_lshl_b64 s[0:1], s[6:7], 2
	s_add_u32 s0, s2, s0
	s_addc_u32 s1, s3, s1
	global_store_dword v0, v2, s[0:1]
.LBB5_10:
	s_endpgm
	.section	.rodata,"a",@progbits
	.p2align	6, 0x0
	.amdhsa_kernel _ZL13mul_mat_vec_fIffLi1ELi96ELb0ELb1EEvPKT_PKfPKi31ggml_cuda_mm_fusion_args_devicePfi15HIP_vector_typeIjLj3EEiiiSA_iiiSA_iiii
		.amdhsa_group_segment_fixed_size 0
		.amdhsa_private_segment_fixed_size 0
		.amdhsa_kernarg_size 144
		.amdhsa_user_sgpr_count 6
		.amdhsa_user_sgpr_private_segment_buffer 1
		.amdhsa_user_sgpr_dispatch_ptr 0
		.amdhsa_user_sgpr_queue_ptr 0
		.amdhsa_user_sgpr_kernarg_segment_ptr 1
		.amdhsa_user_sgpr_dispatch_id 0
		.amdhsa_user_sgpr_flat_scratch_init 0
		.amdhsa_user_sgpr_private_segment_size 0
		.amdhsa_wavefront_size32 1
		.amdhsa_uses_dynamic_stack 0
		.amdhsa_system_sgpr_private_segment_wavefront_offset 0
		.amdhsa_system_sgpr_workgroup_id_x 1
		.amdhsa_system_sgpr_workgroup_id_y 1
		.amdhsa_system_sgpr_workgroup_id_z 1
		.amdhsa_system_sgpr_workgroup_info 0
		.amdhsa_system_vgpr_workitem_id 0
		.amdhsa_next_free_vgpr 12
		.amdhsa_next_free_sgpr 24
		.amdhsa_reserve_vcc 1
		.amdhsa_reserve_flat_scratch 0
		.amdhsa_float_round_mode_32 0
		.amdhsa_float_round_mode_16_64 0
		.amdhsa_float_denorm_mode_32 3
		.amdhsa_float_denorm_mode_16_64 3
		.amdhsa_dx10_clamp 1
		.amdhsa_ieee_mode 1
		.amdhsa_fp16_overflow 0
		.amdhsa_workgroup_processor_mode 1
		.amdhsa_memory_ordered 1
		.amdhsa_forward_progress 1
		.amdhsa_shared_vgpr_count 0
		.amdhsa_exception_fp_ieee_invalid_op 0
		.amdhsa_exception_fp_denorm_src 0
		.amdhsa_exception_fp_ieee_div_zero 0
		.amdhsa_exception_fp_ieee_overflow 0
		.amdhsa_exception_fp_ieee_underflow 0
		.amdhsa_exception_fp_ieee_inexact 0
		.amdhsa_exception_int_div_zero 0
	.end_amdhsa_kernel
	.section	.text._ZL13mul_mat_vec_fIffLi1ELi96ELb0ELb1EEvPKT_PKfPKi31ggml_cuda_mm_fusion_args_devicePfi15HIP_vector_typeIjLj3EEiiiSA_iiiSA_iiii,"axG",@progbits,_ZL13mul_mat_vec_fIffLi1ELi96ELb0ELb1EEvPKT_PKfPKi31ggml_cuda_mm_fusion_args_devicePfi15HIP_vector_typeIjLj3EEiiiSA_iiiSA_iiii,comdat
.Lfunc_end5:
	.size	_ZL13mul_mat_vec_fIffLi1ELi96ELb0ELb1EEvPKT_PKfPKi31ggml_cuda_mm_fusion_args_devicePfi15HIP_vector_typeIjLj3EEiiiSA_iiiSA_iiii, .Lfunc_end5-_ZL13mul_mat_vec_fIffLi1ELi96ELb0ELb1EEvPKT_PKfPKi31ggml_cuda_mm_fusion_args_devicePfi15HIP_vector_typeIjLj3EEiiiSA_iiiSA_iiii
                                        ; -- End function
	.set _ZL13mul_mat_vec_fIffLi1ELi96ELb0ELb1EEvPKT_PKfPKi31ggml_cuda_mm_fusion_args_devicePfi15HIP_vector_typeIjLj3EEiiiSA_iiiSA_iiii.num_vgpr, 12
	.set _ZL13mul_mat_vec_fIffLi1ELi96ELb0ELb1EEvPKT_PKfPKi31ggml_cuda_mm_fusion_args_devicePfi15HIP_vector_typeIjLj3EEiiiSA_iiiSA_iiii.num_agpr, 0
	.set _ZL13mul_mat_vec_fIffLi1ELi96ELb0ELb1EEvPKT_PKfPKi31ggml_cuda_mm_fusion_args_devicePfi15HIP_vector_typeIjLj3EEiiiSA_iiiSA_iiii.numbered_sgpr, 24
	.set _ZL13mul_mat_vec_fIffLi1ELi96ELb0ELb1EEvPKT_PKfPKi31ggml_cuda_mm_fusion_args_devicePfi15HIP_vector_typeIjLj3EEiiiSA_iiiSA_iiii.num_named_barrier, 0
	.set _ZL13mul_mat_vec_fIffLi1ELi96ELb0ELb1EEvPKT_PKfPKi31ggml_cuda_mm_fusion_args_devicePfi15HIP_vector_typeIjLj3EEiiiSA_iiiSA_iiii.private_seg_size, 0
	.set _ZL13mul_mat_vec_fIffLi1ELi96ELb0ELb1EEvPKT_PKfPKi31ggml_cuda_mm_fusion_args_devicePfi15HIP_vector_typeIjLj3EEiiiSA_iiiSA_iiii.uses_vcc, 1
	.set _ZL13mul_mat_vec_fIffLi1ELi96ELb0ELb1EEvPKT_PKfPKi31ggml_cuda_mm_fusion_args_devicePfi15HIP_vector_typeIjLj3EEiiiSA_iiiSA_iiii.uses_flat_scratch, 0
	.set _ZL13mul_mat_vec_fIffLi1ELi96ELb0ELb1EEvPKT_PKfPKi31ggml_cuda_mm_fusion_args_devicePfi15HIP_vector_typeIjLj3EEiiiSA_iiiSA_iiii.has_dyn_sized_stack, 0
	.set _ZL13mul_mat_vec_fIffLi1ELi96ELb0ELb1EEvPKT_PKfPKi31ggml_cuda_mm_fusion_args_devicePfi15HIP_vector_typeIjLj3EEiiiSA_iiiSA_iiii.has_recursion, 0
	.set _ZL13mul_mat_vec_fIffLi1ELi96ELb0ELb1EEvPKT_PKfPKi31ggml_cuda_mm_fusion_args_devicePfi15HIP_vector_typeIjLj3EEiiiSA_iiiSA_iiii.has_indirect_call, 0
	.section	.AMDGPU.csdata,"",@progbits
; Kernel info:
; codeLenInByte = 948
; TotalNumSgprs: 26
; NumVgprs: 12
; ScratchSize: 0
; MemoryBound: 0
; FloatMode: 240
; IeeeMode: 1
; LDSByteSize: 0 bytes/workgroup (compile time only)
; SGPRBlocks: 0
; VGPRBlocks: 1
; NumSGPRsForWavesPerEU: 26
; NumVGPRsForWavesPerEU: 12
; Occupancy: 16
; WaveLimiterHint : 1
; COMPUTE_PGM_RSRC2:SCRATCH_EN: 0
; COMPUTE_PGM_RSRC2:USER_SGPR: 6
; COMPUTE_PGM_RSRC2:TRAP_HANDLER: 0
; COMPUTE_PGM_RSRC2:TGID_X_EN: 1
; COMPUTE_PGM_RSRC2:TGID_Y_EN: 1
; COMPUTE_PGM_RSRC2:TGID_Z_EN: 1
; COMPUTE_PGM_RSRC2:TIDIG_COMP_CNT: 0
	.section	.text._ZL13mul_mat_vec_fIffLi1ELi128ELb1ELb1EEvPKT_PKfPKi31ggml_cuda_mm_fusion_args_devicePfi15HIP_vector_typeIjLj3EEiiiSA_iiiSA_iiii,"axG",@progbits,_ZL13mul_mat_vec_fIffLi1ELi128ELb1ELb1EEvPKT_PKfPKi31ggml_cuda_mm_fusion_args_devicePfi15HIP_vector_typeIjLj3EEiiiSA_iiiSA_iiii,comdat
	.globl	_ZL13mul_mat_vec_fIffLi1ELi128ELb1ELb1EEvPKT_PKfPKi31ggml_cuda_mm_fusion_args_devicePfi15HIP_vector_typeIjLj3EEiiiSA_iiiSA_iiii ; -- Begin function _ZL13mul_mat_vec_fIffLi1ELi128ELb1ELb1EEvPKT_PKfPKi31ggml_cuda_mm_fusion_args_devicePfi15HIP_vector_typeIjLj3EEiiiSA_iiiSA_iiii
	.p2align	8
	.type	_ZL13mul_mat_vec_fIffLi1ELi128ELb1ELb1EEvPKT_PKfPKi31ggml_cuda_mm_fusion_args_devicePfi15HIP_vector_typeIjLj3EEiiiSA_iiiSA_iiii,@function
_ZL13mul_mat_vec_fIffLi1ELi128ELb1ELb1EEvPKT_PKfPKi31ggml_cuda_mm_fusion_args_devicePfi15HIP_vector_typeIjLj3EEiiiSA_iiiSA_iiii: ; @_ZL13mul_mat_vec_fIffLi1ELi128ELb1ELb1EEvPKT_PKfPKi31ggml_cuda_mm_fusion_args_devicePfi15HIP_vector_typeIjLj3EEiiiSA_iiiSA_iiii
; %bb.0:
	s_clause 0x3
	s_load_dword s1, s[4:5], 0x8c
	s_load_dwordx8 s[20:27], s[4:5], 0x0
	s_load_dwordx4 s[36:39], s[4:5], 0x20
	s_load_dwordx8 s[12:19], s[4:5], 0x40
	v_lshl_add_u32 v12, v0, 2, 0
	s_mov_b32 s0, s7
	s_waitcnt lgkmcnt(0)
	s_mul_i32 s1, s1, s8
	s_add_i32 s2, s1, s7
	s_ashr_i32 s3, s2, 31
	s_lshl_b64 s[2:3], s[2:3], 2
	s_add_u32 s10, s24, s2
	s_addc_u32 s11, s25, s3
	s_cmp_lg_u64 s[36:37], 0
	v_cmp_gt_u32_e64 s2, 32, v0
	s_cselect_b32 s1, -1, 0
	s_cmp_eq_u64 s[36:37], 0
	s_cselect_b32 s19, -1, 0
	s_and_saveexec_b32 s3, s2
	s_cbranch_execz .LBB6_3
; %bb.1:
	v_mov_b32_e32 v1, 0
	s_andn2_b32 vcc_lo, exec_lo, s1
	ds_write_b32 v12, v1
	s_cbranch_vccnz .LBB6_3
; %bb.2:
	ds_write_b32 v12, v1 offset:128
.LBB6_3:
	s_or_b32 exec_lo, exec_lo, s3
	s_load_dword s7, s[10:11], 0x0
	s_load_dwordx4 s[28:31], s[4:5], 0x68
	v_mov_b32_e32 v11, 0
	v_mov_b32_e32 v13, 0
	s_mov_b32 s9, exec_lo
	s_waitcnt lgkmcnt(0)
	s_barrier
	buffer_gl0_inv
	v_cmpx_gt_i32_e64 s12, v0
	s_cbranch_execz .LBB6_9
; %bb.4:
	s_mul_hi_u32 s3, s13, s0
	s_mul_i32 s10, s7, s28
	s_add_i32 s3, s0, s3
	s_mul_i32 s11, s16, s6
	s_lshr_b32 s3, s3, s14
	s_ashr_i32 s13, s10, 31
	s_mul_i32 s3, s3, s15
	s_ashr_i32 s14, s11, 31
	s_sub_i32 s3, s0, s3
	s_add_u32 s10, s10, s11
	s_addc_u32 s11, s13, s14
	s_mul_i32 s13, s8, s17
	s_mul_i32 s14, s3, s29
	s_lshl_b32 s16, s13, 1
	s_ashr_i32 s15, s14, 31
	s_ashr_i32 s17, s16, 31
	s_and_b32 s3, s1, exec_lo
	s_cselect_b32 s29, s11, 0
	s_cselect_b32 s28, s10, 0
	v_lshlrev_b32_e32 v3, 3, v0
	s_cselect_b32 s3, s37, 0
	s_cselect_b32 s13, s36, 0
	s_lshl_b64 s[28:29], s[28:29], 2
	v_mov_b32_e32 v11, 0
	s_add_u32 s13, s13, s28
	s_addc_u32 s3, s3, s29
	v_add_co_u32 v1, s13, s13, v3
	s_lshl_b64 s[14:15], s[14:15], 2
	s_lshl_b64 s[16:17], s[16:17], 2
	v_add_co_ci_u32_e64 v2, null, s3, 0, s13
	s_add_u32 s3, s22, s14
	s_addc_u32 s13, s23, s15
	s_add_u32 s3, s3, s16
	s_addc_u32 s13, s13, s17
	s_lshl_b64 s[10:11], s[10:11], 2
	v_add_co_u32 v4, s3, s3, v3
	v_add_co_ci_u32_e64 v5, null, s13, 0, s3
	s_add_u32 s3, s20, s10
	s_addc_u32 s10, s21, s11
	v_add_co_u32 v6, s3, s3, v3
	v_add_co_u32 v1, vcc_lo, v1, 4
	v_add_co_ci_u32_e64 v7, null, s10, 0, s3
	v_add_co_ci_u32_e64 v2, null, 0, v2, vcc_lo
	v_add_co_u32 v3, vcc_lo, v4, 4
	v_add_co_ci_u32_e64 v4, null, 0, v5, vcc_lo
	v_add_co_u32 v5, vcc_lo, v6, 4
	v_add_co_ci_u32_e64 v6, null, 0, v7, vcc_lo
	v_mov_b32_e32 v14, v0
	v_mov_b32_e32 v13, 0
	s_mov_b32 s10, 0
	s_inst_prefetch 0x1
	s_branch .LBB6_6
	.p2align	6
.LBB6_5:                                ;   in Loop: Header=BB6_6 Depth=1
	global_load_dwordx2 v[15:16], v[3:4], off offset:-4
	v_add_nc_u32_e32 v14, 0x80, v14
	v_add_co_u32 v1, vcc_lo, 0x400, v1
	v_add_co_ci_u32_e64 v2, null, 0, v2, vcc_lo
	v_add_co_u32 v3, vcc_lo, 0x400, v3
	v_add_co_ci_u32_e64 v4, null, 0, v4, vcc_lo
	v_cmp_le_i32_e32 vcc_lo, s12, v14
	v_add_co_u32 v5, s3, 0x400, v5
	v_add_co_ci_u32_e64 v6, null, 0, v6, s3
	s_or_b32 s10, vcc_lo, s10
	s_waitcnt vmcnt(0)
	v_fma_f32 v9, v9, v15, v11
	v_fmac_f32_e32 v13, v7, v15
	v_fmac_f32_e32 v9, v10, v16
	;; [unrolled: 1-line block ×3, first 2 shown]
	v_cndmask_b32_e64 v11, v11, v9, s1
	s_andn2_b32 exec_lo, exec_lo, s10
	s_cbranch_execz .LBB6_8
.LBB6_6:                                ; =>This Inner Loop Header: Depth=1
	global_load_dwordx2 v[7:8], v[5:6], off offset:-4
	v_mov_b32_e32 v10, 0
	v_mov_b32_e32 v9, 0
	s_andn2_b32 vcc_lo, exec_lo, s1
	s_cbranch_vccnz .LBB6_5
; %bb.7:                                ;   in Loop: Header=BB6_6 Depth=1
	global_load_dwordx2 v[9:10], v[1:2], off offset:-4
	s_branch .LBB6_5
.LBB6_8:
	s_inst_prefetch 0x2
	s_or_b32 exec_lo, exec_lo, s10
.LBB6_9:
	s_or_b32 exec_lo, exec_lo, s9
	v_mbcnt_lo_u32_b32 v1, -1, 0
	s_load_dword s9, s[4:5], 0x30
	s_mov_b32 s3, -1
	v_xor_b32_e32 v2, 16, v1
	v_xor_b32_e32 v3, 8, v1
	v_cmp_gt_i32_e32 vcc_lo, 32, v2
	v_cndmask_b32_e32 v2, v1, v2, vcc_lo
	v_cmp_gt_i32_e32 vcc_lo, 32, v3
	v_lshlrev_b32_e32 v2, 2, v2
	v_cndmask_b32_e32 v3, v1, v3, vcc_lo
	ds_bpermute_b32 v4, v2, v13
	v_lshlrev_b32_e32 v3, 2, v3
	s_waitcnt lgkmcnt(0)
	v_add_f32_e32 v5, v13, v4
	v_xor_b32_e32 v4, 4, v1
	ds_bpermute_b32 v6, v3, v5
	v_cmp_gt_i32_e32 vcc_lo, 32, v4
	v_cndmask_b32_e32 v4, v1, v4, vcc_lo
	v_lshlrev_b32_e32 v4, 2, v4
	s_waitcnt lgkmcnt(0)
	v_add_f32_e32 v6, v5, v6
	v_xor_b32_e32 v5, 2, v1
	ds_bpermute_b32 v7, v4, v6
	v_cmp_gt_i32_e32 vcc_lo, 32, v5
	v_cndmask_b32_e32 v5, v1, v5, vcc_lo
	;; [unrolled: 7-line block ×3, first 2 shown]
	s_and_b32 vcc_lo, exec_lo, s19
	v_lshlrev_b32_e32 v6, 2, v1
	s_waitcnt lgkmcnt(0)
	v_add_f32_e32 v1, v7, v8
	v_lshrrev_b32_e32 v8, 5, v0
	ds_bpermute_b32 v7, v6, v1
	s_waitcnt lgkmcnt(0)
	v_add_f32_e32 v1, v1, v7
	v_lshl_add_u32 v7, v8, 2, 0
	s_cbranch_vccz .LBB6_11
; %bb.10:
	s_mov_b32 s3, 0
	ds_write_b32 v7, v1
.LBB6_11:
	s_andn2_b32 vcc_lo, exec_lo, s3
	s_cbranch_vccnz .LBB6_13
; %bb.12:
	ds_bpermute_b32 v8, v2, v11
	s_waitcnt lgkmcnt(0)
	v_add_f32_e32 v8, v11, v8
	ds_bpermute_b32 v9, v3, v8
	s_waitcnt lgkmcnt(0)
	v_add_f32_e32 v8, v8, v9
	;; [unrolled: 3-line block ×5, first 2 shown]
	ds_write2_b32 v7, v1, v11 offset1:32
.LBB6_13:
	s_waitcnt lgkmcnt(0)
	s_barrier
	buffer_gl0_inv
	s_and_saveexec_b32 s3, s2
	s_cbranch_execz .LBB6_17
; %bb.14:
	ds_read_b32 v1, v12
	s_andn2_b32 vcc_lo, exec_lo, s1
	s_waitcnt lgkmcnt(0)
	ds_bpermute_b32 v7, v2, v1
	s_waitcnt lgkmcnt(0)
	v_add_f32_e32 v1, v1, v7
	ds_bpermute_b32 v7, v3, v1
	s_waitcnt lgkmcnt(0)
	v_add_f32_e32 v1, v1, v7
	;; [unrolled: 3-line block ×4, first 2 shown]
	ds_bpermute_b32 v7, v6, v1
	s_cbranch_vccnz .LBB6_16
; %bb.15:
	ds_read_b32 v8, v12 offset:128
	s_waitcnt lgkmcnt(0)
	ds_bpermute_b32 v2, v2, v8
	s_waitcnt lgkmcnt(0)
	v_add_f32_e32 v2, v8, v2
	ds_bpermute_b32 v3, v3, v2
	s_waitcnt lgkmcnt(0)
	v_add_f32_e32 v2, v2, v3
	;; [unrolled: 3-line block ×5, first 2 shown]
.LBB6_16:
	s_waitcnt lgkmcnt(0)
	v_add_f32_e32 v1, v1, v7
.LBB6_17:
	s_or_b32 exec_lo, exec_lo, s3
	s_barrier
	buffer_gl0_inv
	s_mov_b32 s2, exec_lo
	v_cmpx_eq_u32_e32 0, v0
	s_cbranch_execz .LBB6_41
; %bb.18:
	s_cmp_eq_u64 s[26:27], 0
	s_cselect_b32 s10, -1, 0
	s_cmp_eq_u64 s[24:25], 0
	s_cselect_b32 s2, s0, s7
	s_mul_i32 s2, s2, s30
	s_ashr_i32 s3, s2, 31
	s_and_b32 vcc_lo, exec_lo, s10
	s_cbranch_vccnz .LBB6_20
; %bb.19:
	s_cselect_b32 s7, 0, s27
	s_cselect_b32 s12, 0, s26
	s_lshl_b64 s[10:11], s[2:3], 2
	s_add_u32 s12, s12, s10
	s_addc_u32 s13, s7, s11
	s_ashr_i32 s7, s6, 31
	s_lshl_b64 s[10:11], s[6:7], 2
	s_add_u32 s10, s12, s10
	s_addc_u32 s11, s13, s11
	s_load_dword s7, s[10:11], 0x0
	s_waitcnt lgkmcnt(0)
	v_add_f32_e32 v1, s7, v1
.LBB6_20:
	s_andn2_b32 vcc_lo, exec_lo, s1
	s_cbranch_vccnz .LBB6_40
; %bb.21:
	s_cmp_lg_u64 s[38:39], 0
	s_cselect_b32 s7, -1, 0
	s_and_b32 s1, s7, s1
	s_andn2_b32 vcc_lo, exec_lo, s1
	s_cbranch_vccnz .LBB6_23
; %bb.22:
	s_and_b32 s7, s7, exec_lo
	s_cselect_b32 s7, s39, 0
	s_cselect_b32 s10, s38, 0
	s_and_b32 s1, s1, exec_lo
	s_cselect_b32 s3, s3, 0
	s_cselect_b32 s2, s2, 0
	s_lshl_b64 s[2:3], s[2:3], 2
	s_add_u32 s1, s10, s2
	s_addc_u32 s10, s7, s3
	s_ashr_i32 s7, s6, 31
	s_lshl_b64 s[2:3], s[6:7], 2
	s_add_u32 s2, s1, s2
	s_addc_u32 s3, s10, s3
	s_load_dword s1, s[2:3], 0x0
	s_waitcnt lgkmcnt(0)
	v_add_f32_e32 v11, s1, v11
.LBB6_23:
	s_cmp_lt_i32 s9, 2
	s_cbranch_scc1 .LBB6_28
; %bb.24:
	s_cmp_lt_i32 s9, 3
	s_cbranch_scc1 .LBB6_29
; %bb.25:
	v_mov_b32_e32 v0, v1
	s_cmp_eq_u32 s9, 3
	s_cbranch_scc0 .LBB6_27
; %bb.26:
	v_max_f32_e32 v0, v11, v11
	v_min_f32_e32 v0, 0x40e00000, v0
	v_mul_f32_e32 v2, 0xbfd9db23, v0
	v_mul_f32_e32 v3, 0x3fb8aa3b, v2
	v_cmp_ngt_f32_e32 vcc_lo, 0xc2ce8ed0, v2
	v_fma_f32 v4, 0x3fb8aa3b, v2, -v3
	v_rndne_f32_e32 v5, v3
	v_fmamk_f32 v4, v2, 0x32a5705f, v4
	v_sub_f32_e32 v3, v3, v5
	v_add_f32_e32 v3, v3, v4
	v_cvt_i32_f32_e32 v4, v5
	v_exp_f32_e32 v3, v3
	v_ldexp_f32 v3, v3, v4
	v_cndmask_b32_e32 v3, 0, v3, vcc_lo
	v_cmp_nlt_f32_e32 vcc_lo, 0x42b17218, v2
	v_cndmask_b32_e32 v2, 0x7f800000, v3, vcc_lo
	v_add_f32_e32 v2, 1.0, v2
	v_div_scale_f32 v3, null, v2, v2, v0
	v_div_scale_f32 v6, vcc_lo, v0, v2, v0
	v_rcp_f32_e32 v4, v3
	v_fma_f32 v5, -v3, v4, 1.0
	v_fmac_f32_e32 v4, v5, v4
	v_mul_f32_e32 v5, v6, v4
	v_fma_f32 v7, -v3, v5, v6
	v_fmac_f32_e32 v5, v7, v4
	v_max_f32_e32 v7, v1, v1
	v_fma_f32 v3, -v3, v5, v6
	v_min_f32_e32 v6, 0x40e00000, v7
	v_div_fmas_f32 v3, v3, v4, v5
	v_max_f32_e32 v4, 0xc0e00000, v6
	v_div_fixup_f32 v0, v3, v2, v0
	v_add_f32_e32 v2, 1.0, v4
	v_mul_f32_e32 v0, v2, v0
.LBB6_27:
	s_cbranch_execz .LBB6_30
	s_branch .LBB6_31
.LBB6_28:
                                        ; implicit-def: $vgpr0
	s_branch .LBB6_32
.LBB6_29:
                                        ; implicit-def: $vgpr0
.LBB6_30:
	v_mul_f32_e32 v0, 0xbfb8aa3b, v11
	v_cmp_nlt_f32_e32 vcc_lo, 0x42ce8ed0, v11
	v_rndne_f32_e32 v2, v0
	v_fma_f32 v3, 0xbfb8aa3b, v11, -v0
	v_sub_f32_e32 v0, v0, v2
	v_fmamk_f32 v3, v11, 0xb2a5705f, v3
	v_cvt_i32_f32_e32 v2, v2
	v_add_f32_e32 v0, v0, v3
	v_exp_f32_e32 v0, v0
	v_ldexp_f32 v0, v0, v2
	v_cndmask_b32_e32 v0, 0, v0, vcc_lo
	v_cmp_ngt_f32_e32 vcc_lo, 0xc2b17218, v11
	v_cndmask_b32_e32 v0, 0x7f800000, v0, vcc_lo
	v_add_f32_e32 v0, 1.0, v0
	v_div_scale_f32 v2, null, v0, v0, v11
	v_rcp_f32_e32 v3, v2
	v_fma_f32 v4, -v2, v3, 1.0
	v_fmac_f32_e32 v3, v4, v3
	v_div_scale_f32 v4, vcc_lo, v11, v0, v11
	v_mul_f32_e32 v5, v4, v3
	v_fma_f32 v6, -v2, v5, v4
	v_fmac_f32_e32 v5, v6, v3
	v_fma_f32 v2, -v2, v5, v4
	v_div_fmas_f32 v2, v2, v3, v5
	v_div_fixup_f32 v0, v2, v0, v11
	v_mul_f32_e32 v0, v1, v0
.LBB6_31:
	s_cbranch_execnz .LBB6_39
.LBB6_32:
	s_cmp_eq_u32 s9, 1
	s_cbranch_scc0 .LBB6_38
; %bb.33:
	v_mul_f32_e32 v0, 0x3d372713, v11
	v_mul_f32_e32 v2, 0x3f4c422a, v11
	v_fma_f32 v0, v11, v0, 1.0
	v_mul_f32_e32 v0, v2, v0
                                        ; implicit-def: $vgpr2
	v_cmp_ngt_f32_e64 s1, 0x3f200000, |v0|
	s_and_saveexec_b32 s2, s1
	s_xor_b32 s1, exec_lo, s2
	s_cbranch_execz .LBB6_35
; %bb.34:
	v_add_f32_e64 v2, |v0|, |v0|
	v_mul_f32_e32 v3, 0x3fb8aa3b, v2
	v_cmp_ngt_f32_e32 vcc_lo, 0xc2ce8ed0, v2
	v_rndne_f32_e32 v4, v3
	v_fma_f32 v5, 0x3fb8aa3b, v2, -v3
	v_sub_f32_e32 v3, v3, v4
	v_fmamk_f32 v5, v2, 0x32a5705f, v5
	v_cvt_i32_f32_e32 v4, v4
	v_add_f32_e32 v3, v3, v5
	v_exp_f32_e32 v3, v3
	v_ldexp_f32 v3, v3, v4
	v_cndmask_b32_e32 v3, 0, v3, vcc_lo
	v_cmp_nlt_f32_e32 vcc_lo, 0x42b17218, v2
	v_cndmask_b32_e32 v2, 0x7f800000, v3, vcc_lo
	v_add_f32_e32 v2, 1.0, v2
	v_rcp_f32_e32 v2, v2
	v_fma_f32 v2, v2, -2.0, 1.0
.LBB6_35:
	s_andn2_saveexec_b32 s1, s1
	s_cbranch_execz .LBB6_37
; %bb.36:
	v_mul_f32_e32 v2, v0, v0
	s_mov_b32 s2, 0xbbbac73d
	v_fmaak_f32 v3, s2, v2, 0x3ca908c9
	v_fmaak_f32 v3, v2, v3, 0xbd5c1c4e
	;; [unrolled: 1-line block ×4, first 2 shown]
	v_mul_f32_e64 v3, |v0|, v3
	v_fma_f32 v2, v2, v3, |v0|
.LBB6_37:
	s_or_b32 exec_lo, exec_lo, s1
	v_bfi_b32 v0, 0x7fffffff, v2, v0
	v_mul_f32_e32 v2, 0.5, v11
	v_add_f32_e32 v0, 1.0, v0
	v_mul_f32_e32 v0, v2, v0
	v_mul_f32_e32 v1, v1, v0
.LBB6_38:
	v_mov_b32_e32 v0, v1
.LBB6_39:
	v_mov_b32_e32 v1, v0
.LBB6_40:
	s_load_dwordx2 s[2:3], s[4:5], 0x38
	s_mul_i32 s0, s30, s0
	s_mul_i32 s4, s18, s8
	s_ashr_i32 s1, s0, 31
	v_mov_b32_e32 v0, 0
	s_lshl_b64 s[0:1], s[0:1], 2
	s_waitcnt lgkmcnt(0)
	s_add_u32 s2, s2, s0
	s_addc_u32 s3, s3, s1
	s_ashr_i32 s5, s4, 31
	s_lshl_b64 s[0:1], s[4:5], 2
	s_add_u32 s2, s2, s0
	s_addc_u32 s3, s3, s1
	s_ashr_i32 s7, s6, 31
	s_lshl_b64 s[0:1], s[6:7], 2
	s_add_u32 s0, s2, s0
	s_addc_u32 s1, s3, s1
	global_store_dword v0, v1, s[0:1]
.LBB6_41:
	s_endpgm
	.section	.rodata,"a",@progbits
	.p2align	6, 0x0
	.amdhsa_kernel _ZL13mul_mat_vec_fIffLi1ELi128ELb1ELb1EEvPKT_PKfPKi31ggml_cuda_mm_fusion_args_devicePfi15HIP_vector_typeIjLj3EEiiiSA_iiiSA_iiii
		.amdhsa_group_segment_fixed_size 0
		.amdhsa_private_segment_fixed_size 0
		.amdhsa_kernarg_size 144
		.amdhsa_user_sgpr_count 6
		.amdhsa_user_sgpr_private_segment_buffer 1
		.amdhsa_user_sgpr_dispatch_ptr 0
		.amdhsa_user_sgpr_queue_ptr 0
		.amdhsa_user_sgpr_kernarg_segment_ptr 1
		.amdhsa_user_sgpr_dispatch_id 0
		.amdhsa_user_sgpr_flat_scratch_init 0
		.amdhsa_user_sgpr_private_segment_size 0
		.amdhsa_wavefront_size32 1
		.amdhsa_uses_dynamic_stack 0
		.amdhsa_system_sgpr_private_segment_wavefront_offset 0
		.amdhsa_system_sgpr_workgroup_id_x 1
		.amdhsa_system_sgpr_workgroup_id_y 1
		.amdhsa_system_sgpr_workgroup_id_z 1
		.amdhsa_system_sgpr_workgroup_info 0
		.amdhsa_system_vgpr_workitem_id 0
		.amdhsa_next_free_vgpr 17
		.amdhsa_next_free_sgpr 40
		.amdhsa_reserve_vcc 1
		.amdhsa_reserve_flat_scratch 0
		.amdhsa_float_round_mode_32 0
		.amdhsa_float_round_mode_16_64 0
		.amdhsa_float_denorm_mode_32 3
		.amdhsa_float_denorm_mode_16_64 3
		.amdhsa_dx10_clamp 1
		.amdhsa_ieee_mode 1
		.amdhsa_fp16_overflow 0
		.amdhsa_workgroup_processor_mode 1
		.amdhsa_memory_ordered 1
		.amdhsa_forward_progress 1
		.amdhsa_shared_vgpr_count 0
		.amdhsa_exception_fp_ieee_invalid_op 0
		.amdhsa_exception_fp_denorm_src 0
		.amdhsa_exception_fp_ieee_div_zero 0
		.amdhsa_exception_fp_ieee_overflow 0
		.amdhsa_exception_fp_ieee_underflow 0
		.amdhsa_exception_fp_ieee_inexact 0
		.amdhsa_exception_int_div_zero 0
	.end_amdhsa_kernel
	.section	.text._ZL13mul_mat_vec_fIffLi1ELi128ELb1ELb1EEvPKT_PKfPKi31ggml_cuda_mm_fusion_args_devicePfi15HIP_vector_typeIjLj3EEiiiSA_iiiSA_iiii,"axG",@progbits,_ZL13mul_mat_vec_fIffLi1ELi128ELb1ELb1EEvPKT_PKfPKi31ggml_cuda_mm_fusion_args_devicePfi15HIP_vector_typeIjLj3EEiiiSA_iiiSA_iiii,comdat
.Lfunc_end6:
	.size	_ZL13mul_mat_vec_fIffLi1ELi128ELb1ELb1EEvPKT_PKfPKi31ggml_cuda_mm_fusion_args_devicePfi15HIP_vector_typeIjLj3EEiiiSA_iiiSA_iiii, .Lfunc_end6-_ZL13mul_mat_vec_fIffLi1ELi128ELb1ELb1EEvPKT_PKfPKi31ggml_cuda_mm_fusion_args_devicePfi15HIP_vector_typeIjLj3EEiiiSA_iiiSA_iiii
                                        ; -- End function
	.set _ZL13mul_mat_vec_fIffLi1ELi128ELb1ELb1EEvPKT_PKfPKi31ggml_cuda_mm_fusion_args_devicePfi15HIP_vector_typeIjLj3EEiiiSA_iiiSA_iiii.num_vgpr, 17
	.set _ZL13mul_mat_vec_fIffLi1ELi128ELb1ELb1EEvPKT_PKfPKi31ggml_cuda_mm_fusion_args_devicePfi15HIP_vector_typeIjLj3EEiiiSA_iiiSA_iiii.num_agpr, 0
	.set _ZL13mul_mat_vec_fIffLi1ELi128ELb1ELb1EEvPKT_PKfPKi31ggml_cuda_mm_fusion_args_devicePfi15HIP_vector_typeIjLj3EEiiiSA_iiiSA_iiii.numbered_sgpr, 40
	.set _ZL13mul_mat_vec_fIffLi1ELi128ELb1ELb1EEvPKT_PKfPKi31ggml_cuda_mm_fusion_args_devicePfi15HIP_vector_typeIjLj3EEiiiSA_iiiSA_iiii.num_named_barrier, 0
	.set _ZL13mul_mat_vec_fIffLi1ELi128ELb1ELb1EEvPKT_PKfPKi31ggml_cuda_mm_fusion_args_devicePfi15HIP_vector_typeIjLj3EEiiiSA_iiiSA_iiii.private_seg_size, 0
	.set _ZL13mul_mat_vec_fIffLi1ELi128ELb1ELb1EEvPKT_PKfPKi31ggml_cuda_mm_fusion_args_devicePfi15HIP_vector_typeIjLj3EEiiiSA_iiiSA_iiii.uses_vcc, 1
	.set _ZL13mul_mat_vec_fIffLi1ELi128ELb1ELb1EEvPKT_PKfPKi31ggml_cuda_mm_fusion_args_devicePfi15HIP_vector_typeIjLj3EEiiiSA_iiiSA_iiii.uses_flat_scratch, 0
	.set _ZL13mul_mat_vec_fIffLi1ELi128ELb1ELb1EEvPKT_PKfPKi31ggml_cuda_mm_fusion_args_devicePfi15HIP_vector_typeIjLj3EEiiiSA_iiiSA_iiii.has_dyn_sized_stack, 0
	.set _ZL13mul_mat_vec_fIffLi1ELi128ELb1ELb1EEvPKT_PKfPKi31ggml_cuda_mm_fusion_args_devicePfi15HIP_vector_typeIjLj3EEiiiSA_iiiSA_iiii.has_recursion, 0
	.set _ZL13mul_mat_vec_fIffLi1ELi128ELb1ELb1EEvPKT_PKfPKi31ggml_cuda_mm_fusion_args_devicePfi15HIP_vector_typeIjLj3EEiiiSA_iiiSA_iiii.has_indirect_call, 0
	.section	.AMDGPU.csdata,"",@progbits
; Kernel info:
; codeLenInByte = 2192
; TotalNumSgprs: 42
; NumVgprs: 17
; ScratchSize: 0
; MemoryBound: 0
; FloatMode: 240
; IeeeMode: 1
; LDSByteSize: 0 bytes/workgroup (compile time only)
; SGPRBlocks: 0
; VGPRBlocks: 2
; NumSGPRsForWavesPerEU: 42
; NumVGPRsForWavesPerEU: 17
; Occupancy: 16
; WaveLimiterHint : 1
; COMPUTE_PGM_RSRC2:SCRATCH_EN: 0
; COMPUTE_PGM_RSRC2:USER_SGPR: 6
; COMPUTE_PGM_RSRC2:TRAP_HANDLER: 0
; COMPUTE_PGM_RSRC2:TGID_X_EN: 1
; COMPUTE_PGM_RSRC2:TGID_Y_EN: 1
; COMPUTE_PGM_RSRC2:TGID_Z_EN: 1
; COMPUTE_PGM_RSRC2:TIDIG_COMP_CNT: 0
	.section	.text._ZL13mul_mat_vec_fIffLi1ELi128ELb0ELb1EEvPKT_PKfPKi31ggml_cuda_mm_fusion_args_devicePfi15HIP_vector_typeIjLj3EEiiiSA_iiiSA_iiii,"axG",@progbits,_ZL13mul_mat_vec_fIffLi1ELi128ELb0ELb1EEvPKT_PKfPKi31ggml_cuda_mm_fusion_args_devicePfi15HIP_vector_typeIjLj3EEiiiSA_iiiSA_iiii,comdat
	.globl	_ZL13mul_mat_vec_fIffLi1ELi128ELb0ELb1EEvPKT_PKfPKi31ggml_cuda_mm_fusion_args_devicePfi15HIP_vector_typeIjLj3EEiiiSA_iiiSA_iiii ; -- Begin function _ZL13mul_mat_vec_fIffLi1ELi128ELb0ELb1EEvPKT_PKfPKi31ggml_cuda_mm_fusion_args_devicePfi15HIP_vector_typeIjLj3EEiiiSA_iiiSA_iiii
	.p2align	8
	.type	_ZL13mul_mat_vec_fIffLi1ELi128ELb0ELb1EEvPKT_PKfPKi31ggml_cuda_mm_fusion_args_devicePfi15HIP_vector_typeIjLj3EEiiiSA_iiiSA_iiii,@function
_ZL13mul_mat_vec_fIffLi1ELi128ELb0ELb1EEvPKT_PKfPKi31ggml_cuda_mm_fusion_args_devicePfi15HIP_vector_typeIjLj3EEiiiSA_iiiSA_iiii: ; @_ZL13mul_mat_vec_fIffLi1ELi128ELb0ELb1EEvPKT_PKfPKi31ggml_cuda_mm_fusion_args_devicePfi15HIP_vector_typeIjLj3EEiiiSA_iiiSA_iiii
; %bb.0:
	s_clause 0x2
	s_load_dword s2, s[4:5], 0x8c
	s_load_dwordx2 s[0:1], s[4:5], 0x10
	s_load_dwordx8 s[12:19], s[4:5], 0x40
	v_cmp_gt_u32_e32 vcc_lo, 32, v0
	v_lshl_add_u32 v5, v0, 2, 0
	s_waitcnt lgkmcnt(0)
	s_mul_i32 s2, s2, s8
	s_add_i32 s2, s2, s7
	s_ashr_i32 s3, s2, 31
	s_lshl_b64 s[2:3], s[2:3], 2
	s_add_u32 s2, s0, s2
	s_addc_u32 s3, s1, s3
	s_and_saveexec_b32 s0, vcc_lo
; %bb.1:
	v_mov_b32_e32 v1, 0
	ds_write_b32 v5, v1
; %bb.2:
	s_or_b32 exec_lo, exec_lo, s0
	s_load_dwordx4 s[20:23], s[4:5], 0x68
	v_mov_b32_e32 v6, 0
	s_mov_b32 s9, exec_lo
	s_waitcnt lgkmcnt(0)
	s_barrier
	buffer_gl0_inv
	v_cmpx_gt_i32_e64 s12, v0
	s_cbranch_execz .LBB7_6
; %bb.3:
	s_load_dword s19, s[2:3], 0x0
	s_load_dwordx4 s[0:3], s[4:5], 0x0
	s_mul_hi_u32 s11, s13, s7
	s_mul_i32 s13, s8, s17
	s_add_i32 s17, s7, s11
	s_mul_i32 s10, s16, s6
	s_lshl_b32 s16, s13, 1
	s_lshr_b32 s13, s17, s14
	s_ashr_i32 s11, s10, 31
	s_mul_i32 s13, s13, s15
	s_ashr_i32 s17, s16, 31
	s_sub_i32 s13, s7, s13
	s_lshl_b64 s[10:11], s[10:11], 2
	v_lshlrev_b32_e32 v1, 3, v0
	v_mov_b32_e32 v6, 0
	s_waitcnt lgkmcnt(0)
	s_mul_i32 s14, s19, s20
	s_mul_i32 s20, s13, s21
	s_ashr_i32 s15, s14, 31
	s_ashr_i32 s21, s20, 31
	s_lshl_b64 s[14:15], s[14:15], 2
	s_add_u32 s0, s0, s14
	s_addc_u32 s1, s1, s15
	s_add_u32 s13, s0, s10
	s_addc_u32 s14, s1, s11
	s_lshl_b64 s[10:11], s[20:21], 2
	s_lshl_b64 s[0:1], s[16:17], 2
	s_add_u32 s2, s2, s10
	s_addc_u32 s3, s3, s11
	v_add_co_u32 v2, s13, s13, v1
	s_add_u32 s0, s2, s0
	v_add_co_ci_u32_e64 v3, null, s14, 0, s13
	s_addc_u32 s1, s3, s1
	v_add_co_u32 v4, s0, s0, v1
	v_add_co_ci_u32_e64 v7, null, s1, 0, s0
	v_add_co_u32 v1, s0, v2, 4
	v_add_co_ci_u32_e64 v2, null, 0, v3, s0
	;; [unrolled: 2-line block ×3, first 2 shown]
	v_mov_b32_e32 v7, v0
	s_mov_b32 s2, 0
	.p2align	6
.LBB7_4:                                ; =>This Inner Loop Header: Depth=1
	global_load_dwordx2 v[8:9], v[1:2], off offset:-4
	global_load_dwordx2 v[10:11], v[3:4], off offset:-4
	v_add_nc_u32_e32 v7, 0x80, v7
	v_add_co_u32 v1, s0, 0x400, v1
	v_add_co_ci_u32_e64 v2, null, 0, v2, s0
	v_add_co_u32 v3, s0, 0x400, v3
	v_cmp_le_i32_e64 s1, s12, v7
	v_add_co_ci_u32_e64 v4, null, 0, v4, s0
	s_or_b32 s2, s1, s2
	s_waitcnt vmcnt(0)
	v_fmac_f32_e32 v6, v8, v10
	v_fmac_f32_e32 v6, v9, v11
	s_andn2_b32 exec_lo, exec_lo, s2
	s_cbranch_execnz .LBB7_4
; %bb.5:
	s_or_b32 exec_lo, exec_lo, s2
.LBB7_6:
	s_or_b32 exec_lo, exec_lo, s9
	v_mbcnt_lo_u32_b32 v2, -1, 0
	v_xor_b32_e32 v1, 16, v2
	v_xor_b32_e32 v3, 8, v2
	v_cmp_gt_i32_e64 s0, 32, v1
	v_cndmask_b32_e64 v1, v2, v1, s0
	v_cmp_gt_i32_e64 s0, 32, v3
	v_lshlrev_b32_e32 v1, 2, v1
	v_cndmask_b32_e64 v3, v2, v3, s0
	ds_bpermute_b32 v4, v1, v6
	v_lshlrev_b32_e32 v3, 2, v3
	s_waitcnt lgkmcnt(0)
	v_add_f32_e32 v6, v6, v4
	v_xor_b32_e32 v4, 4, v2
	ds_bpermute_b32 v7, v3, v6
	v_cmp_gt_i32_e64 s0, 32, v4
	v_cndmask_b32_e64 v4, v2, v4, s0
	v_lshlrev_b32_e32 v4, 2, v4
	s_waitcnt lgkmcnt(0)
	v_add_f32_e32 v7, v6, v7
	v_xor_b32_e32 v6, 2, v2
	ds_bpermute_b32 v8, v4, v7
	v_cmp_gt_i32_e64 s0, 32, v6
	v_cndmask_b32_e64 v6, v2, v6, s0
	v_lshlrev_b32_e32 v6, 2, v6
	s_waitcnt lgkmcnt(0)
	v_add_f32_e32 v8, v7, v8
	v_xor_b32_e32 v7, 1, v2
	ds_bpermute_b32 v9, v6, v8
	v_cmp_gt_i32_e64 s0, 32, v7
	v_cndmask_b32_e64 v2, v2, v7, s0
	v_lshlrev_b32_e32 v7, 2, v2
	s_waitcnt lgkmcnt(0)
	v_add_f32_e32 v2, v8, v9
	v_lshrrev_b32_e32 v9, 3, v0
	ds_bpermute_b32 v8, v7, v2
	v_and_b32_e32 v9, 0x7c, v9
	v_add_nc_u32_e32 v9, 0, v9
	s_waitcnt lgkmcnt(0)
	v_add_f32_e32 v2, v2, v8
	ds_write_b32 v9, v2
	s_waitcnt lgkmcnt(0)
	s_barrier
	buffer_gl0_inv
	s_and_saveexec_b32 s0, vcc_lo
	s_cbranch_execz .LBB7_8
; %bb.7:
	ds_read_b32 v2, v5
	s_waitcnt lgkmcnt(0)
	ds_bpermute_b32 v1, v1, v2
	s_waitcnt lgkmcnt(0)
	v_add_f32_e32 v1, v2, v1
	ds_bpermute_b32 v2, v3, v1
	s_waitcnt lgkmcnt(0)
	v_add_f32_e32 v1, v1, v2
	ds_bpermute_b32 v2, v4, v1
	s_waitcnt lgkmcnt(0)
	v_add_f32_e32 v1, v1, v2
	ds_bpermute_b32 v2, v6, v1
	s_waitcnt lgkmcnt(0)
	v_add_f32_e32 v1, v1, v2
	ds_bpermute_b32 v2, v7, v1
	s_waitcnt lgkmcnt(0)
	v_add_f32_e32 v2, v1, v2
.LBB7_8:
	s_or_b32 exec_lo, exec_lo, s0
	s_barrier
	buffer_gl0_inv
	s_mov_b32 s0, exec_lo
	v_cmpx_eq_u32_e32 0, v0
	s_cbranch_execz .LBB7_10
; %bb.9:
	s_load_dwordx2 s[0:1], s[4:5], 0x38
	s_mul_i32 s2, s22, s7
	s_mul_i32 s4, s18, s8
	s_ashr_i32 s3, s2, 31
	v_mov_b32_e32 v0, 0
	s_lshl_b64 s[2:3], s[2:3], 2
	s_waitcnt lgkmcnt(0)
	s_add_u32 s2, s0, s2
	s_addc_u32 s3, s1, s3
	s_ashr_i32 s5, s4, 31
	s_lshl_b64 s[0:1], s[4:5], 2
	s_add_u32 s2, s2, s0
	s_addc_u32 s3, s3, s1
	s_ashr_i32 s7, s6, 31
	s_lshl_b64 s[0:1], s[6:7], 2
	s_add_u32 s0, s2, s0
	s_addc_u32 s1, s3, s1
	global_store_dword v0, v2, s[0:1]
.LBB7_10:
	s_endpgm
	.section	.rodata,"a",@progbits
	.p2align	6, 0x0
	.amdhsa_kernel _ZL13mul_mat_vec_fIffLi1ELi128ELb0ELb1EEvPKT_PKfPKi31ggml_cuda_mm_fusion_args_devicePfi15HIP_vector_typeIjLj3EEiiiSA_iiiSA_iiii
		.amdhsa_group_segment_fixed_size 0
		.amdhsa_private_segment_fixed_size 0
		.amdhsa_kernarg_size 144
		.amdhsa_user_sgpr_count 6
		.amdhsa_user_sgpr_private_segment_buffer 1
		.amdhsa_user_sgpr_dispatch_ptr 0
		.amdhsa_user_sgpr_queue_ptr 0
		.amdhsa_user_sgpr_kernarg_segment_ptr 1
		.amdhsa_user_sgpr_dispatch_id 0
		.amdhsa_user_sgpr_flat_scratch_init 0
		.amdhsa_user_sgpr_private_segment_size 0
		.amdhsa_wavefront_size32 1
		.amdhsa_uses_dynamic_stack 0
		.amdhsa_system_sgpr_private_segment_wavefront_offset 0
		.amdhsa_system_sgpr_workgroup_id_x 1
		.amdhsa_system_sgpr_workgroup_id_y 1
		.amdhsa_system_sgpr_workgroup_id_z 1
		.amdhsa_system_sgpr_workgroup_info 0
		.amdhsa_system_vgpr_workitem_id 0
		.amdhsa_next_free_vgpr 12
		.amdhsa_next_free_sgpr 24
		.amdhsa_reserve_vcc 1
		.amdhsa_reserve_flat_scratch 0
		.amdhsa_float_round_mode_32 0
		.amdhsa_float_round_mode_16_64 0
		.amdhsa_float_denorm_mode_32 3
		.amdhsa_float_denorm_mode_16_64 3
		.amdhsa_dx10_clamp 1
		.amdhsa_ieee_mode 1
		.amdhsa_fp16_overflow 0
		.amdhsa_workgroup_processor_mode 1
		.amdhsa_memory_ordered 1
		.amdhsa_forward_progress 1
		.amdhsa_shared_vgpr_count 0
		.amdhsa_exception_fp_ieee_invalid_op 0
		.amdhsa_exception_fp_denorm_src 0
		.amdhsa_exception_fp_ieee_div_zero 0
		.amdhsa_exception_fp_ieee_overflow 0
		.amdhsa_exception_fp_ieee_underflow 0
		.amdhsa_exception_fp_ieee_inexact 0
		.amdhsa_exception_int_div_zero 0
	.end_amdhsa_kernel
	.section	.text._ZL13mul_mat_vec_fIffLi1ELi128ELb0ELb1EEvPKT_PKfPKi31ggml_cuda_mm_fusion_args_devicePfi15HIP_vector_typeIjLj3EEiiiSA_iiiSA_iiii,"axG",@progbits,_ZL13mul_mat_vec_fIffLi1ELi128ELb0ELb1EEvPKT_PKfPKi31ggml_cuda_mm_fusion_args_devicePfi15HIP_vector_typeIjLj3EEiiiSA_iiiSA_iiii,comdat
.Lfunc_end7:
	.size	_ZL13mul_mat_vec_fIffLi1ELi128ELb0ELb1EEvPKT_PKfPKi31ggml_cuda_mm_fusion_args_devicePfi15HIP_vector_typeIjLj3EEiiiSA_iiiSA_iiii, .Lfunc_end7-_ZL13mul_mat_vec_fIffLi1ELi128ELb0ELb1EEvPKT_PKfPKi31ggml_cuda_mm_fusion_args_devicePfi15HIP_vector_typeIjLj3EEiiiSA_iiiSA_iiii
                                        ; -- End function
	.set _ZL13mul_mat_vec_fIffLi1ELi128ELb0ELb1EEvPKT_PKfPKi31ggml_cuda_mm_fusion_args_devicePfi15HIP_vector_typeIjLj3EEiiiSA_iiiSA_iiii.num_vgpr, 12
	.set _ZL13mul_mat_vec_fIffLi1ELi128ELb0ELb1EEvPKT_PKfPKi31ggml_cuda_mm_fusion_args_devicePfi15HIP_vector_typeIjLj3EEiiiSA_iiiSA_iiii.num_agpr, 0
	.set _ZL13mul_mat_vec_fIffLi1ELi128ELb0ELb1EEvPKT_PKfPKi31ggml_cuda_mm_fusion_args_devicePfi15HIP_vector_typeIjLj3EEiiiSA_iiiSA_iiii.numbered_sgpr, 24
	.set _ZL13mul_mat_vec_fIffLi1ELi128ELb0ELb1EEvPKT_PKfPKi31ggml_cuda_mm_fusion_args_devicePfi15HIP_vector_typeIjLj3EEiiiSA_iiiSA_iiii.num_named_barrier, 0
	.set _ZL13mul_mat_vec_fIffLi1ELi128ELb0ELb1EEvPKT_PKfPKi31ggml_cuda_mm_fusion_args_devicePfi15HIP_vector_typeIjLj3EEiiiSA_iiiSA_iiii.private_seg_size, 0
	.set _ZL13mul_mat_vec_fIffLi1ELi128ELb0ELb1EEvPKT_PKfPKi31ggml_cuda_mm_fusion_args_devicePfi15HIP_vector_typeIjLj3EEiiiSA_iiiSA_iiii.uses_vcc, 1
	.set _ZL13mul_mat_vec_fIffLi1ELi128ELb0ELb1EEvPKT_PKfPKi31ggml_cuda_mm_fusion_args_devicePfi15HIP_vector_typeIjLj3EEiiiSA_iiiSA_iiii.uses_flat_scratch, 0
	.set _ZL13mul_mat_vec_fIffLi1ELi128ELb0ELb1EEvPKT_PKfPKi31ggml_cuda_mm_fusion_args_devicePfi15HIP_vector_typeIjLj3EEiiiSA_iiiSA_iiii.has_dyn_sized_stack, 0
	.set _ZL13mul_mat_vec_fIffLi1ELi128ELb0ELb1EEvPKT_PKfPKi31ggml_cuda_mm_fusion_args_devicePfi15HIP_vector_typeIjLj3EEiiiSA_iiiSA_iiii.has_recursion, 0
	.set _ZL13mul_mat_vec_fIffLi1ELi128ELb0ELb1EEvPKT_PKfPKi31ggml_cuda_mm_fusion_args_devicePfi15HIP_vector_typeIjLj3EEiiiSA_iiiSA_iiii.has_indirect_call, 0
	.section	.AMDGPU.csdata,"",@progbits
; Kernel info:
; codeLenInByte = 948
; TotalNumSgprs: 26
; NumVgprs: 12
; ScratchSize: 0
; MemoryBound: 0
; FloatMode: 240
; IeeeMode: 1
; LDSByteSize: 0 bytes/workgroup (compile time only)
; SGPRBlocks: 0
; VGPRBlocks: 1
; NumSGPRsForWavesPerEU: 26
; NumVGPRsForWavesPerEU: 12
; Occupancy: 16
; WaveLimiterHint : 1
; COMPUTE_PGM_RSRC2:SCRATCH_EN: 0
; COMPUTE_PGM_RSRC2:USER_SGPR: 6
; COMPUTE_PGM_RSRC2:TRAP_HANDLER: 0
; COMPUTE_PGM_RSRC2:TGID_X_EN: 1
; COMPUTE_PGM_RSRC2:TGID_Y_EN: 1
; COMPUTE_PGM_RSRC2:TGID_Z_EN: 1
; COMPUTE_PGM_RSRC2:TIDIG_COMP_CNT: 0
	.section	.text._ZL13mul_mat_vec_fIffLi1ELi160ELb1ELb1EEvPKT_PKfPKi31ggml_cuda_mm_fusion_args_devicePfi15HIP_vector_typeIjLj3EEiiiSA_iiiSA_iiii,"axG",@progbits,_ZL13mul_mat_vec_fIffLi1ELi160ELb1ELb1EEvPKT_PKfPKi31ggml_cuda_mm_fusion_args_devicePfi15HIP_vector_typeIjLj3EEiiiSA_iiiSA_iiii,comdat
	.globl	_ZL13mul_mat_vec_fIffLi1ELi160ELb1ELb1EEvPKT_PKfPKi31ggml_cuda_mm_fusion_args_devicePfi15HIP_vector_typeIjLj3EEiiiSA_iiiSA_iiii ; -- Begin function _ZL13mul_mat_vec_fIffLi1ELi160ELb1ELb1EEvPKT_PKfPKi31ggml_cuda_mm_fusion_args_devicePfi15HIP_vector_typeIjLj3EEiiiSA_iiiSA_iiii
	.p2align	8
	.type	_ZL13mul_mat_vec_fIffLi1ELi160ELb1ELb1EEvPKT_PKfPKi31ggml_cuda_mm_fusion_args_devicePfi15HIP_vector_typeIjLj3EEiiiSA_iiiSA_iiii,@function
_ZL13mul_mat_vec_fIffLi1ELi160ELb1ELb1EEvPKT_PKfPKi31ggml_cuda_mm_fusion_args_devicePfi15HIP_vector_typeIjLj3EEiiiSA_iiiSA_iiii: ; @_ZL13mul_mat_vec_fIffLi1ELi160ELb1ELb1EEvPKT_PKfPKi31ggml_cuda_mm_fusion_args_devicePfi15HIP_vector_typeIjLj3EEiiiSA_iiiSA_iiii
; %bb.0:
	s_clause 0x3
	s_load_dword s1, s[4:5], 0x8c
	s_load_dwordx8 s[20:27], s[4:5], 0x0
	s_load_dwordx4 s[36:39], s[4:5], 0x20
	s_load_dwordx8 s[12:19], s[4:5], 0x40
	v_lshl_add_u32 v12, v0, 2, 0
	s_mov_b32 s0, s7
	s_waitcnt lgkmcnt(0)
	s_mul_i32 s1, s1, s8
	s_add_i32 s2, s1, s7
	s_ashr_i32 s3, s2, 31
	s_lshl_b64 s[2:3], s[2:3], 2
	s_add_u32 s10, s24, s2
	s_addc_u32 s11, s25, s3
	s_cmp_lg_u64 s[36:37], 0
	v_cmp_gt_u32_e64 s2, 32, v0
	s_cselect_b32 s1, -1, 0
	s_cmp_eq_u64 s[36:37], 0
	s_cselect_b32 s19, -1, 0
	s_and_saveexec_b32 s3, s2
	s_cbranch_execz .LBB8_3
; %bb.1:
	v_mov_b32_e32 v1, 0
	s_andn2_b32 vcc_lo, exec_lo, s1
	ds_write_b32 v12, v1
	s_cbranch_vccnz .LBB8_3
; %bb.2:
	ds_write_b32 v12, v1 offset:128
.LBB8_3:
	s_or_b32 exec_lo, exec_lo, s3
	s_load_dword s7, s[10:11], 0x0
	s_load_dwordx4 s[28:31], s[4:5], 0x68
	v_mov_b32_e32 v11, 0
	v_mov_b32_e32 v13, 0
	s_mov_b32 s9, exec_lo
	s_waitcnt lgkmcnt(0)
	s_barrier
	buffer_gl0_inv
	v_cmpx_gt_i32_e64 s12, v0
	s_cbranch_execz .LBB8_9
; %bb.4:
	s_mul_hi_u32 s3, s13, s0
	s_mul_i32 s10, s7, s28
	s_add_i32 s3, s0, s3
	s_mul_i32 s11, s16, s6
	s_lshr_b32 s3, s3, s14
	s_ashr_i32 s13, s10, 31
	s_mul_i32 s3, s3, s15
	s_ashr_i32 s14, s11, 31
	s_sub_i32 s3, s0, s3
	s_add_u32 s10, s10, s11
	s_addc_u32 s11, s13, s14
	s_mul_i32 s13, s8, s17
	s_mul_i32 s14, s3, s29
	s_lshl_b32 s16, s13, 1
	s_ashr_i32 s15, s14, 31
	s_ashr_i32 s17, s16, 31
	s_and_b32 s3, s1, exec_lo
	s_cselect_b32 s29, s11, 0
	s_cselect_b32 s28, s10, 0
	v_lshlrev_b32_e32 v3, 3, v0
	s_cselect_b32 s3, s37, 0
	s_cselect_b32 s13, s36, 0
	s_lshl_b64 s[28:29], s[28:29], 2
	v_mov_b32_e32 v11, 0
	s_add_u32 s13, s13, s28
	s_addc_u32 s3, s3, s29
	v_add_co_u32 v1, s13, s13, v3
	s_lshl_b64 s[14:15], s[14:15], 2
	s_lshl_b64 s[16:17], s[16:17], 2
	v_add_co_ci_u32_e64 v2, null, s3, 0, s13
	s_add_u32 s3, s22, s14
	s_addc_u32 s13, s23, s15
	s_add_u32 s3, s3, s16
	s_addc_u32 s13, s13, s17
	s_lshl_b64 s[10:11], s[10:11], 2
	v_add_co_u32 v4, s3, s3, v3
	v_add_co_ci_u32_e64 v5, null, s13, 0, s3
	s_add_u32 s3, s20, s10
	s_addc_u32 s10, s21, s11
	v_add_co_u32 v6, s3, s3, v3
	v_add_co_u32 v1, vcc_lo, v1, 4
	v_add_co_ci_u32_e64 v7, null, s10, 0, s3
	v_add_co_ci_u32_e64 v2, null, 0, v2, vcc_lo
	v_add_co_u32 v3, vcc_lo, v4, 4
	v_add_co_ci_u32_e64 v4, null, 0, v5, vcc_lo
	v_add_co_u32 v5, vcc_lo, v6, 4
	v_add_co_ci_u32_e64 v6, null, 0, v7, vcc_lo
	v_mov_b32_e32 v14, v0
	v_mov_b32_e32 v13, 0
	s_mov_b32 s10, 0
	s_inst_prefetch 0x1
	s_branch .LBB8_6
	.p2align	6
.LBB8_5:                                ;   in Loop: Header=BB8_6 Depth=1
	global_load_dwordx2 v[15:16], v[3:4], off offset:-4
	v_add_nc_u32_e32 v14, 0xa0, v14
	v_add_co_u32 v1, vcc_lo, 0x500, v1
	v_add_co_ci_u32_e64 v2, null, 0, v2, vcc_lo
	v_add_co_u32 v3, vcc_lo, 0x500, v3
	v_add_co_ci_u32_e64 v4, null, 0, v4, vcc_lo
	v_cmp_le_i32_e32 vcc_lo, s12, v14
	v_add_co_u32 v5, s3, 0x500, v5
	v_add_co_ci_u32_e64 v6, null, 0, v6, s3
	s_or_b32 s10, vcc_lo, s10
	s_waitcnt vmcnt(0)
	v_fma_f32 v9, v9, v15, v11
	v_fmac_f32_e32 v13, v7, v15
	v_fmac_f32_e32 v9, v10, v16
	;; [unrolled: 1-line block ×3, first 2 shown]
	v_cndmask_b32_e64 v11, v11, v9, s1
	s_andn2_b32 exec_lo, exec_lo, s10
	s_cbranch_execz .LBB8_8
.LBB8_6:                                ; =>This Inner Loop Header: Depth=1
	global_load_dwordx2 v[7:8], v[5:6], off offset:-4
	v_mov_b32_e32 v10, 0
	v_mov_b32_e32 v9, 0
	s_andn2_b32 vcc_lo, exec_lo, s1
	s_cbranch_vccnz .LBB8_5
; %bb.7:                                ;   in Loop: Header=BB8_6 Depth=1
	global_load_dwordx2 v[9:10], v[1:2], off offset:-4
	s_branch .LBB8_5
.LBB8_8:
	s_inst_prefetch 0x2
	s_or_b32 exec_lo, exec_lo, s10
.LBB8_9:
	s_or_b32 exec_lo, exec_lo, s9
	v_mbcnt_lo_u32_b32 v1, -1, 0
	s_load_dword s9, s[4:5], 0x30
	s_mov_b32 s3, -1
	v_xor_b32_e32 v2, 16, v1
	v_xor_b32_e32 v3, 8, v1
	v_cmp_gt_i32_e32 vcc_lo, 32, v2
	v_cndmask_b32_e32 v2, v1, v2, vcc_lo
	v_cmp_gt_i32_e32 vcc_lo, 32, v3
	v_lshlrev_b32_e32 v2, 2, v2
	v_cndmask_b32_e32 v3, v1, v3, vcc_lo
	ds_bpermute_b32 v4, v2, v13
	v_lshlrev_b32_e32 v3, 2, v3
	s_waitcnt lgkmcnt(0)
	v_add_f32_e32 v5, v13, v4
	v_xor_b32_e32 v4, 4, v1
	ds_bpermute_b32 v6, v3, v5
	v_cmp_gt_i32_e32 vcc_lo, 32, v4
	v_cndmask_b32_e32 v4, v1, v4, vcc_lo
	v_lshlrev_b32_e32 v4, 2, v4
	s_waitcnt lgkmcnt(0)
	v_add_f32_e32 v6, v5, v6
	v_xor_b32_e32 v5, 2, v1
	ds_bpermute_b32 v7, v4, v6
	v_cmp_gt_i32_e32 vcc_lo, 32, v5
	v_cndmask_b32_e32 v5, v1, v5, vcc_lo
	;; [unrolled: 7-line block ×3, first 2 shown]
	s_and_b32 vcc_lo, exec_lo, s19
	v_lshlrev_b32_e32 v6, 2, v1
	s_waitcnt lgkmcnt(0)
	v_add_f32_e32 v1, v7, v8
	v_lshrrev_b32_e32 v8, 5, v0
	ds_bpermute_b32 v7, v6, v1
	s_waitcnt lgkmcnt(0)
	v_add_f32_e32 v1, v1, v7
	v_lshl_add_u32 v7, v8, 2, 0
	s_cbranch_vccz .LBB8_11
; %bb.10:
	s_mov_b32 s3, 0
	ds_write_b32 v7, v1
.LBB8_11:
	s_andn2_b32 vcc_lo, exec_lo, s3
	s_cbranch_vccnz .LBB8_13
; %bb.12:
	ds_bpermute_b32 v8, v2, v11
	s_waitcnt lgkmcnt(0)
	v_add_f32_e32 v8, v11, v8
	ds_bpermute_b32 v9, v3, v8
	s_waitcnt lgkmcnt(0)
	v_add_f32_e32 v8, v8, v9
	;; [unrolled: 3-line block ×5, first 2 shown]
	ds_write2_b32 v7, v1, v11 offset1:32
.LBB8_13:
	s_waitcnt lgkmcnt(0)
	s_barrier
	buffer_gl0_inv
	s_and_saveexec_b32 s3, s2
	s_cbranch_execz .LBB8_17
; %bb.14:
	ds_read_b32 v1, v12
	s_andn2_b32 vcc_lo, exec_lo, s1
	s_waitcnt lgkmcnt(0)
	ds_bpermute_b32 v7, v2, v1
	s_waitcnt lgkmcnt(0)
	v_add_f32_e32 v1, v1, v7
	ds_bpermute_b32 v7, v3, v1
	s_waitcnt lgkmcnt(0)
	v_add_f32_e32 v1, v1, v7
	;; [unrolled: 3-line block ×4, first 2 shown]
	ds_bpermute_b32 v7, v6, v1
	s_cbranch_vccnz .LBB8_16
; %bb.15:
	ds_read_b32 v8, v12 offset:128
	s_waitcnt lgkmcnt(0)
	ds_bpermute_b32 v2, v2, v8
	s_waitcnt lgkmcnt(0)
	v_add_f32_e32 v2, v8, v2
	ds_bpermute_b32 v3, v3, v2
	s_waitcnt lgkmcnt(0)
	v_add_f32_e32 v2, v2, v3
	;; [unrolled: 3-line block ×5, first 2 shown]
.LBB8_16:
	s_waitcnt lgkmcnt(0)
	v_add_f32_e32 v1, v1, v7
.LBB8_17:
	s_or_b32 exec_lo, exec_lo, s3
	s_barrier
	buffer_gl0_inv
	s_mov_b32 s2, exec_lo
	v_cmpx_eq_u32_e32 0, v0
	s_cbranch_execz .LBB8_41
; %bb.18:
	s_cmp_eq_u64 s[26:27], 0
	s_cselect_b32 s10, -1, 0
	s_cmp_eq_u64 s[24:25], 0
	s_cselect_b32 s2, s0, s7
	s_mul_i32 s2, s2, s30
	s_ashr_i32 s3, s2, 31
	s_and_b32 vcc_lo, exec_lo, s10
	s_cbranch_vccnz .LBB8_20
; %bb.19:
	s_cselect_b32 s7, 0, s27
	s_cselect_b32 s12, 0, s26
	s_lshl_b64 s[10:11], s[2:3], 2
	s_add_u32 s12, s12, s10
	s_addc_u32 s13, s7, s11
	s_ashr_i32 s7, s6, 31
	s_lshl_b64 s[10:11], s[6:7], 2
	s_add_u32 s10, s12, s10
	s_addc_u32 s11, s13, s11
	s_load_dword s7, s[10:11], 0x0
	s_waitcnt lgkmcnt(0)
	v_add_f32_e32 v1, s7, v1
.LBB8_20:
	s_andn2_b32 vcc_lo, exec_lo, s1
	s_cbranch_vccnz .LBB8_40
; %bb.21:
	s_cmp_lg_u64 s[38:39], 0
	s_cselect_b32 s7, -1, 0
	s_and_b32 s1, s7, s1
	s_andn2_b32 vcc_lo, exec_lo, s1
	s_cbranch_vccnz .LBB8_23
; %bb.22:
	s_and_b32 s7, s7, exec_lo
	s_cselect_b32 s7, s39, 0
	s_cselect_b32 s10, s38, 0
	s_and_b32 s1, s1, exec_lo
	s_cselect_b32 s3, s3, 0
	s_cselect_b32 s2, s2, 0
	s_lshl_b64 s[2:3], s[2:3], 2
	s_add_u32 s1, s10, s2
	s_addc_u32 s10, s7, s3
	s_ashr_i32 s7, s6, 31
	s_lshl_b64 s[2:3], s[6:7], 2
	s_add_u32 s2, s1, s2
	s_addc_u32 s3, s10, s3
	s_load_dword s1, s[2:3], 0x0
	s_waitcnt lgkmcnt(0)
	v_add_f32_e32 v11, s1, v11
.LBB8_23:
	s_cmp_lt_i32 s9, 2
	s_cbranch_scc1 .LBB8_28
; %bb.24:
	s_cmp_lt_i32 s9, 3
	s_cbranch_scc1 .LBB8_29
; %bb.25:
	v_mov_b32_e32 v0, v1
	s_cmp_eq_u32 s9, 3
	s_cbranch_scc0 .LBB8_27
; %bb.26:
	v_max_f32_e32 v0, v11, v11
	v_min_f32_e32 v0, 0x40e00000, v0
	v_mul_f32_e32 v2, 0xbfd9db23, v0
	v_mul_f32_e32 v3, 0x3fb8aa3b, v2
	v_cmp_ngt_f32_e32 vcc_lo, 0xc2ce8ed0, v2
	v_fma_f32 v4, 0x3fb8aa3b, v2, -v3
	v_rndne_f32_e32 v5, v3
	v_fmamk_f32 v4, v2, 0x32a5705f, v4
	v_sub_f32_e32 v3, v3, v5
	v_add_f32_e32 v3, v3, v4
	v_cvt_i32_f32_e32 v4, v5
	v_exp_f32_e32 v3, v3
	v_ldexp_f32 v3, v3, v4
	v_cndmask_b32_e32 v3, 0, v3, vcc_lo
	v_cmp_nlt_f32_e32 vcc_lo, 0x42b17218, v2
	v_cndmask_b32_e32 v2, 0x7f800000, v3, vcc_lo
	v_add_f32_e32 v2, 1.0, v2
	v_div_scale_f32 v3, null, v2, v2, v0
	v_div_scale_f32 v6, vcc_lo, v0, v2, v0
	v_rcp_f32_e32 v4, v3
	v_fma_f32 v5, -v3, v4, 1.0
	v_fmac_f32_e32 v4, v5, v4
	v_mul_f32_e32 v5, v6, v4
	v_fma_f32 v7, -v3, v5, v6
	v_fmac_f32_e32 v5, v7, v4
	v_max_f32_e32 v7, v1, v1
	v_fma_f32 v3, -v3, v5, v6
	v_min_f32_e32 v6, 0x40e00000, v7
	v_div_fmas_f32 v3, v3, v4, v5
	v_max_f32_e32 v4, 0xc0e00000, v6
	v_div_fixup_f32 v0, v3, v2, v0
	v_add_f32_e32 v2, 1.0, v4
	v_mul_f32_e32 v0, v2, v0
.LBB8_27:
	s_cbranch_execz .LBB8_30
	s_branch .LBB8_31
.LBB8_28:
                                        ; implicit-def: $vgpr0
	s_branch .LBB8_32
.LBB8_29:
                                        ; implicit-def: $vgpr0
.LBB8_30:
	v_mul_f32_e32 v0, 0xbfb8aa3b, v11
	v_cmp_nlt_f32_e32 vcc_lo, 0x42ce8ed0, v11
	v_rndne_f32_e32 v2, v0
	v_fma_f32 v3, 0xbfb8aa3b, v11, -v0
	v_sub_f32_e32 v0, v0, v2
	v_fmamk_f32 v3, v11, 0xb2a5705f, v3
	v_cvt_i32_f32_e32 v2, v2
	v_add_f32_e32 v0, v0, v3
	v_exp_f32_e32 v0, v0
	v_ldexp_f32 v0, v0, v2
	v_cndmask_b32_e32 v0, 0, v0, vcc_lo
	v_cmp_ngt_f32_e32 vcc_lo, 0xc2b17218, v11
	v_cndmask_b32_e32 v0, 0x7f800000, v0, vcc_lo
	v_add_f32_e32 v0, 1.0, v0
	v_div_scale_f32 v2, null, v0, v0, v11
	v_rcp_f32_e32 v3, v2
	v_fma_f32 v4, -v2, v3, 1.0
	v_fmac_f32_e32 v3, v4, v3
	v_div_scale_f32 v4, vcc_lo, v11, v0, v11
	v_mul_f32_e32 v5, v4, v3
	v_fma_f32 v6, -v2, v5, v4
	v_fmac_f32_e32 v5, v6, v3
	v_fma_f32 v2, -v2, v5, v4
	v_div_fmas_f32 v2, v2, v3, v5
	v_div_fixup_f32 v0, v2, v0, v11
	v_mul_f32_e32 v0, v1, v0
.LBB8_31:
	s_cbranch_execnz .LBB8_39
.LBB8_32:
	s_cmp_eq_u32 s9, 1
	s_cbranch_scc0 .LBB8_38
; %bb.33:
	v_mul_f32_e32 v0, 0x3d372713, v11
	v_mul_f32_e32 v2, 0x3f4c422a, v11
	v_fma_f32 v0, v11, v0, 1.0
	v_mul_f32_e32 v0, v2, v0
                                        ; implicit-def: $vgpr2
	v_cmp_ngt_f32_e64 s1, 0x3f200000, |v0|
	s_and_saveexec_b32 s2, s1
	s_xor_b32 s1, exec_lo, s2
	s_cbranch_execz .LBB8_35
; %bb.34:
	v_add_f32_e64 v2, |v0|, |v0|
	v_mul_f32_e32 v3, 0x3fb8aa3b, v2
	v_cmp_ngt_f32_e32 vcc_lo, 0xc2ce8ed0, v2
	v_rndne_f32_e32 v4, v3
	v_fma_f32 v5, 0x3fb8aa3b, v2, -v3
	v_sub_f32_e32 v3, v3, v4
	v_fmamk_f32 v5, v2, 0x32a5705f, v5
	v_cvt_i32_f32_e32 v4, v4
	v_add_f32_e32 v3, v3, v5
	v_exp_f32_e32 v3, v3
	v_ldexp_f32 v3, v3, v4
	v_cndmask_b32_e32 v3, 0, v3, vcc_lo
	v_cmp_nlt_f32_e32 vcc_lo, 0x42b17218, v2
	v_cndmask_b32_e32 v2, 0x7f800000, v3, vcc_lo
	v_add_f32_e32 v2, 1.0, v2
	v_rcp_f32_e32 v2, v2
	v_fma_f32 v2, v2, -2.0, 1.0
.LBB8_35:
	s_andn2_saveexec_b32 s1, s1
	s_cbranch_execz .LBB8_37
; %bb.36:
	v_mul_f32_e32 v2, v0, v0
	s_mov_b32 s2, 0xbbbac73d
	v_fmaak_f32 v3, s2, v2, 0x3ca908c9
	v_fmaak_f32 v3, v2, v3, 0xbd5c1c4e
	v_fmaak_f32 v3, v2, v3, 0x3e088382
	v_fmaak_f32 v3, v2, v3, 0xbeaaaa99
	v_mul_f32_e64 v3, |v0|, v3
	v_fma_f32 v2, v2, v3, |v0|
.LBB8_37:
	s_or_b32 exec_lo, exec_lo, s1
	v_bfi_b32 v0, 0x7fffffff, v2, v0
	v_mul_f32_e32 v2, 0.5, v11
	v_add_f32_e32 v0, 1.0, v0
	v_mul_f32_e32 v0, v2, v0
	v_mul_f32_e32 v1, v1, v0
.LBB8_38:
	v_mov_b32_e32 v0, v1
.LBB8_39:
	v_mov_b32_e32 v1, v0
.LBB8_40:
	s_load_dwordx2 s[2:3], s[4:5], 0x38
	s_mul_i32 s0, s30, s0
	s_mul_i32 s4, s18, s8
	s_ashr_i32 s1, s0, 31
	v_mov_b32_e32 v0, 0
	s_lshl_b64 s[0:1], s[0:1], 2
	s_waitcnt lgkmcnt(0)
	s_add_u32 s2, s2, s0
	s_addc_u32 s3, s3, s1
	s_ashr_i32 s5, s4, 31
	s_lshl_b64 s[0:1], s[4:5], 2
	s_add_u32 s2, s2, s0
	s_addc_u32 s3, s3, s1
	s_ashr_i32 s7, s6, 31
	s_lshl_b64 s[0:1], s[6:7], 2
	s_add_u32 s0, s2, s0
	s_addc_u32 s1, s3, s1
	global_store_dword v0, v1, s[0:1]
.LBB8_41:
	s_endpgm
	.section	.rodata,"a",@progbits
	.p2align	6, 0x0
	.amdhsa_kernel _ZL13mul_mat_vec_fIffLi1ELi160ELb1ELb1EEvPKT_PKfPKi31ggml_cuda_mm_fusion_args_devicePfi15HIP_vector_typeIjLj3EEiiiSA_iiiSA_iiii
		.amdhsa_group_segment_fixed_size 0
		.amdhsa_private_segment_fixed_size 0
		.amdhsa_kernarg_size 144
		.amdhsa_user_sgpr_count 6
		.amdhsa_user_sgpr_private_segment_buffer 1
		.amdhsa_user_sgpr_dispatch_ptr 0
		.amdhsa_user_sgpr_queue_ptr 0
		.amdhsa_user_sgpr_kernarg_segment_ptr 1
		.amdhsa_user_sgpr_dispatch_id 0
		.amdhsa_user_sgpr_flat_scratch_init 0
		.amdhsa_user_sgpr_private_segment_size 0
		.amdhsa_wavefront_size32 1
		.amdhsa_uses_dynamic_stack 0
		.amdhsa_system_sgpr_private_segment_wavefront_offset 0
		.amdhsa_system_sgpr_workgroup_id_x 1
		.amdhsa_system_sgpr_workgroup_id_y 1
		.amdhsa_system_sgpr_workgroup_id_z 1
		.amdhsa_system_sgpr_workgroup_info 0
		.amdhsa_system_vgpr_workitem_id 0
		.amdhsa_next_free_vgpr 17
		.amdhsa_next_free_sgpr 40
		.amdhsa_reserve_vcc 1
		.amdhsa_reserve_flat_scratch 0
		.amdhsa_float_round_mode_32 0
		.amdhsa_float_round_mode_16_64 0
		.amdhsa_float_denorm_mode_32 3
		.amdhsa_float_denorm_mode_16_64 3
		.amdhsa_dx10_clamp 1
		.amdhsa_ieee_mode 1
		.amdhsa_fp16_overflow 0
		.amdhsa_workgroup_processor_mode 1
		.amdhsa_memory_ordered 1
		.amdhsa_forward_progress 1
		.amdhsa_shared_vgpr_count 0
		.amdhsa_exception_fp_ieee_invalid_op 0
		.amdhsa_exception_fp_denorm_src 0
		.amdhsa_exception_fp_ieee_div_zero 0
		.amdhsa_exception_fp_ieee_overflow 0
		.amdhsa_exception_fp_ieee_underflow 0
		.amdhsa_exception_fp_ieee_inexact 0
		.amdhsa_exception_int_div_zero 0
	.end_amdhsa_kernel
	.section	.text._ZL13mul_mat_vec_fIffLi1ELi160ELb1ELb1EEvPKT_PKfPKi31ggml_cuda_mm_fusion_args_devicePfi15HIP_vector_typeIjLj3EEiiiSA_iiiSA_iiii,"axG",@progbits,_ZL13mul_mat_vec_fIffLi1ELi160ELb1ELb1EEvPKT_PKfPKi31ggml_cuda_mm_fusion_args_devicePfi15HIP_vector_typeIjLj3EEiiiSA_iiiSA_iiii,comdat
.Lfunc_end8:
	.size	_ZL13mul_mat_vec_fIffLi1ELi160ELb1ELb1EEvPKT_PKfPKi31ggml_cuda_mm_fusion_args_devicePfi15HIP_vector_typeIjLj3EEiiiSA_iiiSA_iiii, .Lfunc_end8-_ZL13mul_mat_vec_fIffLi1ELi160ELb1ELb1EEvPKT_PKfPKi31ggml_cuda_mm_fusion_args_devicePfi15HIP_vector_typeIjLj3EEiiiSA_iiiSA_iiii
                                        ; -- End function
	.set _ZL13mul_mat_vec_fIffLi1ELi160ELb1ELb1EEvPKT_PKfPKi31ggml_cuda_mm_fusion_args_devicePfi15HIP_vector_typeIjLj3EEiiiSA_iiiSA_iiii.num_vgpr, 17
	.set _ZL13mul_mat_vec_fIffLi1ELi160ELb1ELb1EEvPKT_PKfPKi31ggml_cuda_mm_fusion_args_devicePfi15HIP_vector_typeIjLj3EEiiiSA_iiiSA_iiii.num_agpr, 0
	.set _ZL13mul_mat_vec_fIffLi1ELi160ELb1ELb1EEvPKT_PKfPKi31ggml_cuda_mm_fusion_args_devicePfi15HIP_vector_typeIjLj3EEiiiSA_iiiSA_iiii.numbered_sgpr, 40
	.set _ZL13mul_mat_vec_fIffLi1ELi160ELb1ELb1EEvPKT_PKfPKi31ggml_cuda_mm_fusion_args_devicePfi15HIP_vector_typeIjLj3EEiiiSA_iiiSA_iiii.num_named_barrier, 0
	.set _ZL13mul_mat_vec_fIffLi1ELi160ELb1ELb1EEvPKT_PKfPKi31ggml_cuda_mm_fusion_args_devicePfi15HIP_vector_typeIjLj3EEiiiSA_iiiSA_iiii.private_seg_size, 0
	.set _ZL13mul_mat_vec_fIffLi1ELi160ELb1ELb1EEvPKT_PKfPKi31ggml_cuda_mm_fusion_args_devicePfi15HIP_vector_typeIjLj3EEiiiSA_iiiSA_iiii.uses_vcc, 1
	.set _ZL13mul_mat_vec_fIffLi1ELi160ELb1ELb1EEvPKT_PKfPKi31ggml_cuda_mm_fusion_args_devicePfi15HIP_vector_typeIjLj3EEiiiSA_iiiSA_iiii.uses_flat_scratch, 0
	.set _ZL13mul_mat_vec_fIffLi1ELi160ELb1ELb1EEvPKT_PKfPKi31ggml_cuda_mm_fusion_args_devicePfi15HIP_vector_typeIjLj3EEiiiSA_iiiSA_iiii.has_dyn_sized_stack, 0
	.set _ZL13mul_mat_vec_fIffLi1ELi160ELb1ELb1EEvPKT_PKfPKi31ggml_cuda_mm_fusion_args_devicePfi15HIP_vector_typeIjLj3EEiiiSA_iiiSA_iiii.has_recursion, 0
	.set _ZL13mul_mat_vec_fIffLi1ELi160ELb1ELb1EEvPKT_PKfPKi31ggml_cuda_mm_fusion_args_devicePfi15HIP_vector_typeIjLj3EEiiiSA_iiiSA_iiii.has_indirect_call, 0
	.section	.AMDGPU.csdata,"",@progbits
; Kernel info:
; codeLenInByte = 2192
; TotalNumSgprs: 42
; NumVgprs: 17
; ScratchSize: 0
; MemoryBound: 0
; FloatMode: 240
; IeeeMode: 1
; LDSByteSize: 0 bytes/workgroup (compile time only)
; SGPRBlocks: 0
; VGPRBlocks: 2
; NumSGPRsForWavesPerEU: 42
; NumVGPRsForWavesPerEU: 17
; Occupancy: 16
; WaveLimiterHint : 1
; COMPUTE_PGM_RSRC2:SCRATCH_EN: 0
; COMPUTE_PGM_RSRC2:USER_SGPR: 6
; COMPUTE_PGM_RSRC2:TRAP_HANDLER: 0
; COMPUTE_PGM_RSRC2:TGID_X_EN: 1
; COMPUTE_PGM_RSRC2:TGID_Y_EN: 1
; COMPUTE_PGM_RSRC2:TGID_Z_EN: 1
; COMPUTE_PGM_RSRC2:TIDIG_COMP_CNT: 0
	.section	.text._ZL13mul_mat_vec_fIffLi1ELi160ELb0ELb1EEvPKT_PKfPKi31ggml_cuda_mm_fusion_args_devicePfi15HIP_vector_typeIjLj3EEiiiSA_iiiSA_iiii,"axG",@progbits,_ZL13mul_mat_vec_fIffLi1ELi160ELb0ELb1EEvPKT_PKfPKi31ggml_cuda_mm_fusion_args_devicePfi15HIP_vector_typeIjLj3EEiiiSA_iiiSA_iiii,comdat
	.globl	_ZL13mul_mat_vec_fIffLi1ELi160ELb0ELb1EEvPKT_PKfPKi31ggml_cuda_mm_fusion_args_devicePfi15HIP_vector_typeIjLj3EEiiiSA_iiiSA_iiii ; -- Begin function _ZL13mul_mat_vec_fIffLi1ELi160ELb0ELb1EEvPKT_PKfPKi31ggml_cuda_mm_fusion_args_devicePfi15HIP_vector_typeIjLj3EEiiiSA_iiiSA_iiii
	.p2align	8
	.type	_ZL13mul_mat_vec_fIffLi1ELi160ELb0ELb1EEvPKT_PKfPKi31ggml_cuda_mm_fusion_args_devicePfi15HIP_vector_typeIjLj3EEiiiSA_iiiSA_iiii,@function
_ZL13mul_mat_vec_fIffLi1ELi160ELb0ELb1EEvPKT_PKfPKi31ggml_cuda_mm_fusion_args_devicePfi15HIP_vector_typeIjLj3EEiiiSA_iiiSA_iiii: ; @_ZL13mul_mat_vec_fIffLi1ELi160ELb0ELb1EEvPKT_PKfPKi31ggml_cuda_mm_fusion_args_devicePfi15HIP_vector_typeIjLj3EEiiiSA_iiiSA_iiii
; %bb.0:
	s_clause 0x2
	s_load_dword s2, s[4:5], 0x8c
	s_load_dwordx2 s[0:1], s[4:5], 0x10
	s_load_dwordx8 s[12:19], s[4:5], 0x40
	v_cmp_gt_u32_e32 vcc_lo, 32, v0
	v_lshl_add_u32 v5, v0, 2, 0
	s_waitcnt lgkmcnt(0)
	s_mul_i32 s2, s2, s8
	s_add_i32 s2, s2, s7
	s_ashr_i32 s3, s2, 31
	s_lshl_b64 s[2:3], s[2:3], 2
	s_add_u32 s2, s0, s2
	s_addc_u32 s3, s1, s3
	s_and_saveexec_b32 s0, vcc_lo
; %bb.1:
	v_mov_b32_e32 v1, 0
	ds_write_b32 v5, v1
; %bb.2:
	s_or_b32 exec_lo, exec_lo, s0
	s_load_dwordx4 s[20:23], s[4:5], 0x68
	v_mov_b32_e32 v6, 0
	s_mov_b32 s9, exec_lo
	s_waitcnt lgkmcnt(0)
	s_barrier
	buffer_gl0_inv
	v_cmpx_gt_i32_e64 s12, v0
	s_cbranch_execz .LBB9_6
; %bb.3:
	s_load_dword s19, s[2:3], 0x0
	s_load_dwordx4 s[0:3], s[4:5], 0x0
	s_mul_hi_u32 s11, s13, s7
	s_mul_i32 s13, s8, s17
	s_add_i32 s17, s7, s11
	s_mul_i32 s10, s16, s6
	s_lshl_b32 s16, s13, 1
	s_lshr_b32 s13, s17, s14
	s_ashr_i32 s11, s10, 31
	s_mul_i32 s13, s13, s15
	s_ashr_i32 s17, s16, 31
	s_sub_i32 s13, s7, s13
	s_lshl_b64 s[10:11], s[10:11], 2
	v_lshlrev_b32_e32 v1, 3, v0
	v_mov_b32_e32 v6, 0
	s_waitcnt lgkmcnt(0)
	s_mul_i32 s14, s19, s20
	s_mul_i32 s20, s13, s21
	s_ashr_i32 s15, s14, 31
	s_ashr_i32 s21, s20, 31
	s_lshl_b64 s[14:15], s[14:15], 2
	s_add_u32 s0, s0, s14
	s_addc_u32 s1, s1, s15
	s_add_u32 s13, s0, s10
	s_addc_u32 s14, s1, s11
	s_lshl_b64 s[10:11], s[20:21], 2
	s_lshl_b64 s[0:1], s[16:17], 2
	s_add_u32 s2, s2, s10
	s_addc_u32 s3, s3, s11
	v_add_co_u32 v2, s13, s13, v1
	s_add_u32 s0, s2, s0
	v_add_co_ci_u32_e64 v3, null, s14, 0, s13
	s_addc_u32 s1, s3, s1
	v_add_co_u32 v4, s0, s0, v1
	v_add_co_ci_u32_e64 v7, null, s1, 0, s0
	v_add_co_u32 v1, s0, v2, 4
	v_add_co_ci_u32_e64 v2, null, 0, v3, s0
	;; [unrolled: 2-line block ×3, first 2 shown]
	v_mov_b32_e32 v7, v0
	s_mov_b32 s2, 0
	.p2align	6
.LBB9_4:                                ; =>This Inner Loop Header: Depth=1
	global_load_dwordx2 v[8:9], v[1:2], off offset:-4
	global_load_dwordx2 v[10:11], v[3:4], off offset:-4
	v_add_nc_u32_e32 v7, 0xa0, v7
	v_add_co_u32 v1, s0, 0x500, v1
	v_add_co_ci_u32_e64 v2, null, 0, v2, s0
	v_add_co_u32 v3, s0, 0x500, v3
	v_cmp_le_i32_e64 s1, s12, v7
	v_add_co_ci_u32_e64 v4, null, 0, v4, s0
	s_or_b32 s2, s1, s2
	s_waitcnt vmcnt(0)
	v_fmac_f32_e32 v6, v8, v10
	v_fmac_f32_e32 v6, v9, v11
	s_andn2_b32 exec_lo, exec_lo, s2
	s_cbranch_execnz .LBB9_4
; %bb.5:
	s_or_b32 exec_lo, exec_lo, s2
.LBB9_6:
	s_or_b32 exec_lo, exec_lo, s9
	v_mbcnt_lo_u32_b32 v2, -1, 0
	v_xor_b32_e32 v1, 16, v2
	v_xor_b32_e32 v3, 8, v2
	v_cmp_gt_i32_e64 s0, 32, v1
	v_cndmask_b32_e64 v1, v2, v1, s0
	v_cmp_gt_i32_e64 s0, 32, v3
	v_lshlrev_b32_e32 v1, 2, v1
	v_cndmask_b32_e64 v3, v2, v3, s0
	ds_bpermute_b32 v4, v1, v6
	v_lshlrev_b32_e32 v3, 2, v3
	s_waitcnt lgkmcnt(0)
	v_add_f32_e32 v6, v6, v4
	v_xor_b32_e32 v4, 4, v2
	ds_bpermute_b32 v7, v3, v6
	v_cmp_gt_i32_e64 s0, 32, v4
	v_cndmask_b32_e64 v4, v2, v4, s0
	v_lshlrev_b32_e32 v4, 2, v4
	s_waitcnt lgkmcnt(0)
	v_add_f32_e32 v7, v6, v7
	v_xor_b32_e32 v6, 2, v2
	ds_bpermute_b32 v8, v4, v7
	v_cmp_gt_i32_e64 s0, 32, v6
	v_cndmask_b32_e64 v6, v2, v6, s0
	;; [unrolled: 7-line block ×3, first 2 shown]
	v_lshlrev_b32_e32 v7, 2, v2
	s_waitcnt lgkmcnt(0)
	v_add_f32_e32 v2, v8, v9
	v_lshrrev_b32_e32 v9, 3, v0
	ds_bpermute_b32 v8, v7, v2
	v_and_b32_e32 v9, 0x7c, v9
	v_add_nc_u32_e32 v9, 0, v9
	s_waitcnt lgkmcnt(0)
	v_add_f32_e32 v2, v2, v8
	ds_write_b32 v9, v2
	s_waitcnt lgkmcnt(0)
	s_barrier
	buffer_gl0_inv
	s_and_saveexec_b32 s0, vcc_lo
	s_cbranch_execz .LBB9_8
; %bb.7:
	ds_read_b32 v2, v5
	s_waitcnt lgkmcnt(0)
	ds_bpermute_b32 v1, v1, v2
	s_waitcnt lgkmcnt(0)
	v_add_f32_e32 v1, v2, v1
	ds_bpermute_b32 v2, v3, v1
	s_waitcnt lgkmcnt(0)
	v_add_f32_e32 v1, v1, v2
	;; [unrolled: 3-line block ×5, first 2 shown]
.LBB9_8:
	s_or_b32 exec_lo, exec_lo, s0
	s_barrier
	buffer_gl0_inv
	s_mov_b32 s0, exec_lo
	v_cmpx_eq_u32_e32 0, v0
	s_cbranch_execz .LBB9_10
; %bb.9:
	s_load_dwordx2 s[0:1], s[4:5], 0x38
	s_mul_i32 s2, s22, s7
	s_mul_i32 s4, s18, s8
	s_ashr_i32 s3, s2, 31
	v_mov_b32_e32 v0, 0
	s_lshl_b64 s[2:3], s[2:3], 2
	s_waitcnt lgkmcnt(0)
	s_add_u32 s2, s0, s2
	s_addc_u32 s3, s1, s3
	s_ashr_i32 s5, s4, 31
	s_lshl_b64 s[0:1], s[4:5], 2
	s_add_u32 s2, s2, s0
	s_addc_u32 s3, s3, s1
	s_ashr_i32 s7, s6, 31
	s_lshl_b64 s[0:1], s[6:7], 2
	s_add_u32 s0, s2, s0
	s_addc_u32 s1, s3, s1
	global_store_dword v0, v2, s[0:1]
.LBB9_10:
	s_endpgm
	.section	.rodata,"a",@progbits
	.p2align	6, 0x0
	.amdhsa_kernel _ZL13mul_mat_vec_fIffLi1ELi160ELb0ELb1EEvPKT_PKfPKi31ggml_cuda_mm_fusion_args_devicePfi15HIP_vector_typeIjLj3EEiiiSA_iiiSA_iiii
		.amdhsa_group_segment_fixed_size 0
		.amdhsa_private_segment_fixed_size 0
		.amdhsa_kernarg_size 144
		.amdhsa_user_sgpr_count 6
		.amdhsa_user_sgpr_private_segment_buffer 1
		.amdhsa_user_sgpr_dispatch_ptr 0
		.amdhsa_user_sgpr_queue_ptr 0
		.amdhsa_user_sgpr_kernarg_segment_ptr 1
		.amdhsa_user_sgpr_dispatch_id 0
		.amdhsa_user_sgpr_flat_scratch_init 0
		.amdhsa_user_sgpr_private_segment_size 0
		.amdhsa_wavefront_size32 1
		.amdhsa_uses_dynamic_stack 0
		.amdhsa_system_sgpr_private_segment_wavefront_offset 0
		.amdhsa_system_sgpr_workgroup_id_x 1
		.amdhsa_system_sgpr_workgroup_id_y 1
		.amdhsa_system_sgpr_workgroup_id_z 1
		.amdhsa_system_sgpr_workgroup_info 0
		.amdhsa_system_vgpr_workitem_id 0
		.amdhsa_next_free_vgpr 12
		.amdhsa_next_free_sgpr 24
		.amdhsa_reserve_vcc 1
		.amdhsa_reserve_flat_scratch 0
		.amdhsa_float_round_mode_32 0
		.amdhsa_float_round_mode_16_64 0
		.amdhsa_float_denorm_mode_32 3
		.amdhsa_float_denorm_mode_16_64 3
		.amdhsa_dx10_clamp 1
		.amdhsa_ieee_mode 1
		.amdhsa_fp16_overflow 0
		.amdhsa_workgroup_processor_mode 1
		.amdhsa_memory_ordered 1
		.amdhsa_forward_progress 1
		.amdhsa_shared_vgpr_count 0
		.amdhsa_exception_fp_ieee_invalid_op 0
		.amdhsa_exception_fp_denorm_src 0
		.amdhsa_exception_fp_ieee_div_zero 0
		.amdhsa_exception_fp_ieee_overflow 0
		.amdhsa_exception_fp_ieee_underflow 0
		.amdhsa_exception_fp_ieee_inexact 0
		.amdhsa_exception_int_div_zero 0
	.end_amdhsa_kernel
	.section	.text._ZL13mul_mat_vec_fIffLi1ELi160ELb0ELb1EEvPKT_PKfPKi31ggml_cuda_mm_fusion_args_devicePfi15HIP_vector_typeIjLj3EEiiiSA_iiiSA_iiii,"axG",@progbits,_ZL13mul_mat_vec_fIffLi1ELi160ELb0ELb1EEvPKT_PKfPKi31ggml_cuda_mm_fusion_args_devicePfi15HIP_vector_typeIjLj3EEiiiSA_iiiSA_iiii,comdat
.Lfunc_end9:
	.size	_ZL13mul_mat_vec_fIffLi1ELi160ELb0ELb1EEvPKT_PKfPKi31ggml_cuda_mm_fusion_args_devicePfi15HIP_vector_typeIjLj3EEiiiSA_iiiSA_iiii, .Lfunc_end9-_ZL13mul_mat_vec_fIffLi1ELi160ELb0ELb1EEvPKT_PKfPKi31ggml_cuda_mm_fusion_args_devicePfi15HIP_vector_typeIjLj3EEiiiSA_iiiSA_iiii
                                        ; -- End function
	.set _ZL13mul_mat_vec_fIffLi1ELi160ELb0ELb1EEvPKT_PKfPKi31ggml_cuda_mm_fusion_args_devicePfi15HIP_vector_typeIjLj3EEiiiSA_iiiSA_iiii.num_vgpr, 12
	.set _ZL13mul_mat_vec_fIffLi1ELi160ELb0ELb1EEvPKT_PKfPKi31ggml_cuda_mm_fusion_args_devicePfi15HIP_vector_typeIjLj3EEiiiSA_iiiSA_iiii.num_agpr, 0
	.set _ZL13mul_mat_vec_fIffLi1ELi160ELb0ELb1EEvPKT_PKfPKi31ggml_cuda_mm_fusion_args_devicePfi15HIP_vector_typeIjLj3EEiiiSA_iiiSA_iiii.numbered_sgpr, 24
	.set _ZL13mul_mat_vec_fIffLi1ELi160ELb0ELb1EEvPKT_PKfPKi31ggml_cuda_mm_fusion_args_devicePfi15HIP_vector_typeIjLj3EEiiiSA_iiiSA_iiii.num_named_barrier, 0
	.set _ZL13mul_mat_vec_fIffLi1ELi160ELb0ELb1EEvPKT_PKfPKi31ggml_cuda_mm_fusion_args_devicePfi15HIP_vector_typeIjLj3EEiiiSA_iiiSA_iiii.private_seg_size, 0
	.set _ZL13mul_mat_vec_fIffLi1ELi160ELb0ELb1EEvPKT_PKfPKi31ggml_cuda_mm_fusion_args_devicePfi15HIP_vector_typeIjLj3EEiiiSA_iiiSA_iiii.uses_vcc, 1
	.set _ZL13mul_mat_vec_fIffLi1ELi160ELb0ELb1EEvPKT_PKfPKi31ggml_cuda_mm_fusion_args_devicePfi15HIP_vector_typeIjLj3EEiiiSA_iiiSA_iiii.uses_flat_scratch, 0
	.set _ZL13mul_mat_vec_fIffLi1ELi160ELb0ELb1EEvPKT_PKfPKi31ggml_cuda_mm_fusion_args_devicePfi15HIP_vector_typeIjLj3EEiiiSA_iiiSA_iiii.has_dyn_sized_stack, 0
	.set _ZL13mul_mat_vec_fIffLi1ELi160ELb0ELb1EEvPKT_PKfPKi31ggml_cuda_mm_fusion_args_devicePfi15HIP_vector_typeIjLj3EEiiiSA_iiiSA_iiii.has_recursion, 0
	.set _ZL13mul_mat_vec_fIffLi1ELi160ELb0ELb1EEvPKT_PKfPKi31ggml_cuda_mm_fusion_args_devicePfi15HIP_vector_typeIjLj3EEiiiSA_iiiSA_iiii.has_indirect_call, 0
	.section	.AMDGPU.csdata,"",@progbits
; Kernel info:
; codeLenInByte = 948
; TotalNumSgprs: 26
; NumVgprs: 12
; ScratchSize: 0
; MemoryBound: 0
; FloatMode: 240
; IeeeMode: 1
; LDSByteSize: 0 bytes/workgroup (compile time only)
; SGPRBlocks: 0
; VGPRBlocks: 1
; NumSGPRsForWavesPerEU: 26
; NumVGPRsForWavesPerEU: 12
; Occupancy: 16
; WaveLimiterHint : 1
; COMPUTE_PGM_RSRC2:SCRATCH_EN: 0
; COMPUTE_PGM_RSRC2:USER_SGPR: 6
; COMPUTE_PGM_RSRC2:TRAP_HANDLER: 0
; COMPUTE_PGM_RSRC2:TGID_X_EN: 1
; COMPUTE_PGM_RSRC2:TGID_Y_EN: 1
; COMPUTE_PGM_RSRC2:TGID_Z_EN: 1
; COMPUTE_PGM_RSRC2:TIDIG_COMP_CNT: 0
	.section	.text._ZL13mul_mat_vec_fIffLi1ELi192ELb1ELb1EEvPKT_PKfPKi31ggml_cuda_mm_fusion_args_devicePfi15HIP_vector_typeIjLj3EEiiiSA_iiiSA_iiii,"axG",@progbits,_ZL13mul_mat_vec_fIffLi1ELi192ELb1ELb1EEvPKT_PKfPKi31ggml_cuda_mm_fusion_args_devicePfi15HIP_vector_typeIjLj3EEiiiSA_iiiSA_iiii,comdat
	.globl	_ZL13mul_mat_vec_fIffLi1ELi192ELb1ELb1EEvPKT_PKfPKi31ggml_cuda_mm_fusion_args_devicePfi15HIP_vector_typeIjLj3EEiiiSA_iiiSA_iiii ; -- Begin function _ZL13mul_mat_vec_fIffLi1ELi192ELb1ELb1EEvPKT_PKfPKi31ggml_cuda_mm_fusion_args_devicePfi15HIP_vector_typeIjLj3EEiiiSA_iiiSA_iiii
	.p2align	8
	.type	_ZL13mul_mat_vec_fIffLi1ELi192ELb1ELb1EEvPKT_PKfPKi31ggml_cuda_mm_fusion_args_devicePfi15HIP_vector_typeIjLj3EEiiiSA_iiiSA_iiii,@function
_ZL13mul_mat_vec_fIffLi1ELi192ELb1ELb1EEvPKT_PKfPKi31ggml_cuda_mm_fusion_args_devicePfi15HIP_vector_typeIjLj3EEiiiSA_iiiSA_iiii: ; @_ZL13mul_mat_vec_fIffLi1ELi192ELb1ELb1EEvPKT_PKfPKi31ggml_cuda_mm_fusion_args_devicePfi15HIP_vector_typeIjLj3EEiiiSA_iiiSA_iiii
; %bb.0:
	s_clause 0x3
	s_load_dword s1, s[4:5], 0x8c
	s_load_dwordx8 s[20:27], s[4:5], 0x0
	s_load_dwordx4 s[36:39], s[4:5], 0x20
	s_load_dwordx8 s[12:19], s[4:5], 0x40
	v_lshl_add_u32 v12, v0, 2, 0
	s_mov_b32 s0, s7
	s_waitcnt lgkmcnt(0)
	s_mul_i32 s1, s1, s8
	s_add_i32 s2, s1, s7
	s_ashr_i32 s3, s2, 31
	s_lshl_b64 s[2:3], s[2:3], 2
	s_add_u32 s10, s24, s2
	s_addc_u32 s11, s25, s3
	s_cmp_lg_u64 s[36:37], 0
	v_cmp_gt_u32_e64 s2, 32, v0
	s_cselect_b32 s1, -1, 0
	s_cmp_eq_u64 s[36:37], 0
	s_cselect_b32 s19, -1, 0
	s_and_saveexec_b32 s3, s2
	s_cbranch_execz .LBB10_3
; %bb.1:
	v_mov_b32_e32 v1, 0
	s_andn2_b32 vcc_lo, exec_lo, s1
	ds_write_b32 v12, v1
	s_cbranch_vccnz .LBB10_3
; %bb.2:
	ds_write_b32 v12, v1 offset:128
.LBB10_3:
	s_or_b32 exec_lo, exec_lo, s3
	s_load_dword s7, s[10:11], 0x0
	s_load_dwordx4 s[28:31], s[4:5], 0x68
	v_mov_b32_e32 v11, 0
	v_mov_b32_e32 v13, 0
	s_mov_b32 s9, exec_lo
	s_waitcnt lgkmcnt(0)
	s_barrier
	buffer_gl0_inv
	v_cmpx_gt_i32_e64 s12, v0
	s_cbranch_execz .LBB10_9
; %bb.4:
	s_mul_hi_u32 s3, s13, s0
	s_mul_i32 s10, s7, s28
	s_add_i32 s3, s0, s3
	s_mul_i32 s11, s16, s6
	s_lshr_b32 s3, s3, s14
	s_ashr_i32 s13, s10, 31
	s_mul_i32 s3, s3, s15
	s_ashr_i32 s14, s11, 31
	s_sub_i32 s3, s0, s3
	s_add_u32 s10, s10, s11
	s_addc_u32 s11, s13, s14
	s_mul_i32 s13, s8, s17
	s_mul_i32 s14, s3, s29
	s_lshl_b32 s16, s13, 1
	s_ashr_i32 s15, s14, 31
	s_ashr_i32 s17, s16, 31
	s_and_b32 s3, s1, exec_lo
	s_cselect_b32 s29, s11, 0
	s_cselect_b32 s28, s10, 0
	v_lshlrev_b32_e32 v3, 3, v0
	s_cselect_b32 s3, s37, 0
	s_cselect_b32 s13, s36, 0
	s_lshl_b64 s[28:29], s[28:29], 2
	v_mov_b32_e32 v11, 0
	s_add_u32 s13, s13, s28
	s_addc_u32 s3, s3, s29
	v_add_co_u32 v1, s13, s13, v3
	s_lshl_b64 s[14:15], s[14:15], 2
	s_lshl_b64 s[16:17], s[16:17], 2
	v_add_co_ci_u32_e64 v2, null, s3, 0, s13
	s_add_u32 s3, s22, s14
	s_addc_u32 s13, s23, s15
	s_add_u32 s3, s3, s16
	s_addc_u32 s13, s13, s17
	s_lshl_b64 s[10:11], s[10:11], 2
	v_add_co_u32 v4, s3, s3, v3
	v_add_co_ci_u32_e64 v5, null, s13, 0, s3
	s_add_u32 s3, s20, s10
	s_addc_u32 s10, s21, s11
	v_add_co_u32 v6, s3, s3, v3
	v_add_co_u32 v1, vcc_lo, v1, 4
	v_add_co_ci_u32_e64 v7, null, s10, 0, s3
	v_add_co_ci_u32_e64 v2, null, 0, v2, vcc_lo
	v_add_co_u32 v3, vcc_lo, v4, 4
	v_add_co_ci_u32_e64 v4, null, 0, v5, vcc_lo
	v_add_co_u32 v5, vcc_lo, v6, 4
	v_add_co_ci_u32_e64 v6, null, 0, v7, vcc_lo
	v_mov_b32_e32 v14, v0
	v_mov_b32_e32 v13, 0
	s_mov_b32 s10, 0
	s_inst_prefetch 0x1
	s_branch .LBB10_6
	.p2align	6
.LBB10_5:                               ;   in Loop: Header=BB10_6 Depth=1
	global_load_dwordx2 v[15:16], v[3:4], off offset:-4
	v_add_nc_u32_e32 v14, 0xc0, v14
	v_add_co_u32 v1, vcc_lo, 0x600, v1
	v_add_co_ci_u32_e64 v2, null, 0, v2, vcc_lo
	v_add_co_u32 v3, vcc_lo, 0x600, v3
	v_add_co_ci_u32_e64 v4, null, 0, v4, vcc_lo
	v_cmp_le_i32_e32 vcc_lo, s12, v14
	v_add_co_u32 v5, s3, 0x600, v5
	v_add_co_ci_u32_e64 v6, null, 0, v6, s3
	s_or_b32 s10, vcc_lo, s10
	s_waitcnt vmcnt(0)
	v_fma_f32 v9, v9, v15, v11
	v_fmac_f32_e32 v13, v7, v15
	v_fmac_f32_e32 v9, v10, v16
	v_fmac_f32_e32 v13, v8, v16
	v_cndmask_b32_e64 v11, v11, v9, s1
	s_andn2_b32 exec_lo, exec_lo, s10
	s_cbranch_execz .LBB10_8
.LBB10_6:                               ; =>This Inner Loop Header: Depth=1
	global_load_dwordx2 v[7:8], v[5:6], off offset:-4
	v_mov_b32_e32 v10, 0
	v_mov_b32_e32 v9, 0
	s_andn2_b32 vcc_lo, exec_lo, s1
	s_cbranch_vccnz .LBB10_5
; %bb.7:                                ;   in Loop: Header=BB10_6 Depth=1
	global_load_dwordx2 v[9:10], v[1:2], off offset:-4
	s_branch .LBB10_5
.LBB10_8:
	s_inst_prefetch 0x2
	s_or_b32 exec_lo, exec_lo, s10
.LBB10_9:
	s_or_b32 exec_lo, exec_lo, s9
	v_mbcnt_lo_u32_b32 v1, -1, 0
	s_load_dword s9, s[4:5], 0x30
	s_mov_b32 s3, -1
	v_xor_b32_e32 v2, 16, v1
	v_xor_b32_e32 v3, 8, v1
	v_cmp_gt_i32_e32 vcc_lo, 32, v2
	v_cndmask_b32_e32 v2, v1, v2, vcc_lo
	v_cmp_gt_i32_e32 vcc_lo, 32, v3
	v_lshlrev_b32_e32 v2, 2, v2
	v_cndmask_b32_e32 v3, v1, v3, vcc_lo
	ds_bpermute_b32 v4, v2, v13
	v_lshlrev_b32_e32 v3, 2, v3
	s_waitcnt lgkmcnt(0)
	v_add_f32_e32 v5, v13, v4
	v_xor_b32_e32 v4, 4, v1
	ds_bpermute_b32 v6, v3, v5
	v_cmp_gt_i32_e32 vcc_lo, 32, v4
	v_cndmask_b32_e32 v4, v1, v4, vcc_lo
	v_lshlrev_b32_e32 v4, 2, v4
	s_waitcnt lgkmcnt(0)
	v_add_f32_e32 v6, v5, v6
	v_xor_b32_e32 v5, 2, v1
	ds_bpermute_b32 v7, v4, v6
	v_cmp_gt_i32_e32 vcc_lo, 32, v5
	v_cndmask_b32_e32 v5, v1, v5, vcc_lo
	;; [unrolled: 7-line block ×3, first 2 shown]
	s_and_b32 vcc_lo, exec_lo, s19
	v_lshlrev_b32_e32 v6, 2, v1
	s_waitcnt lgkmcnt(0)
	v_add_f32_e32 v1, v7, v8
	v_lshrrev_b32_e32 v8, 5, v0
	ds_bpermute_b32 v7, v6, v1
	s_waitcnt lgkmcnt(0)
	v_add_f32_e32 v1, v1, v7
	v_lshl_add_u32 v7, v8, 2, 0
	s_cbranch_vccz .LBB10_11
; %bb.10:
	s_mov_b32 s3, 0
	ds_write_b32 v7, v1
.LBB10_11:
	s_andn2_b32 vcc_lo, exec_lo, s3
	s_cbranch_vccnz .LBB10_13
; %bb.12:
	ds_bpermute_b32 v8, v2, v11
	s_waitcnt lgkmcnt(0)
	v_add_f32_e32 v8, v11, v8
	ds_bpermute_b32 v9, v3, v8
	s_waitcnt lgkmcnt(0)
	v_add_f32_e32 v8, v8, v9
	;; [unrolled: 3-line block ×5, first 2 shown]
	ds_write2_b32 v7, v1, v11 offset1:32
.LBB10_13:
	s_waitcnt lgkmcnt(0)
	s_barrier
	buffer_gl0_inv
	s_and_saveexec_b32 s3, s2
	s_cbranch_execz .LBB10_17
; %bb.14:
	ds_read_b32 v1, v12
	s_andn2_b32 vcc_lo, exec_lo, s1
	s_waitcnt lgkmcnt(0)
	ds_bpermute_b32 v7, v2, v1
	s_waitcnt lgkmcnt(0)
	v_add_f32_e32 v1, v1, v7
	ds_bpermute_b32 v7, v3, v1
	s_waitcnt lgkmcnt(0)
	v_add_f32_e32 v1, v1, v7
	;; [unrolled: 3-line block ×4, first 2 shown]
	ds_bpermute_b32 v7, v6, v1
	s_cbranch_vccnz .LBB10_16
; %bb.15:
	ds_read_b32 v8, v12 offset:128
	s_waitcnt lgkmcnt(0)
	ds_bpermute_b32 v2, v2, v8
	s_waitcnt lgkmcnt(0)
	v_add_f32_e32 v2, v8, v2
	ds_bpermute_b32 v3, v3, v2
	s_waitcnt lgkmcnt(0)
	v_add_f32_e32 v2, v2, v3
	;; [unrolled: 3-line block ×5, first 2 shown]
.LBB10_16:
	s_waitcnt lgkmcnt(0)
	v_add_f32_e32 v1, v1, v7
.LBB10_17:
	s_or_b32 exec_lo, exec_lo, s3
	s_barrier
	buffer_gl0_inv
	s_mov_b32 s2, exec_lo
	v_cmpx_eq_u32_e32 0, v0
	s_cbranch_execz .LBB10_41
; %bb.18:
	s_cmp_eq_u64 s[26:27], 0
	s_cselect_b32 s10, -1, 0
	s_cmp_eq_u64 s[24:25], 0
	s_cselect_b32 s2, s0, s7
	s_mul_i32 s2, s2, s30
	s_ashr_i32 s3, s2, 31
	s_and_b32 vcc_lo, exec_lo, s10
	s_cbranch_vccnz .LBB10_20
; %bb.19:
	s_cselect_b32 s7, 0, s27
	s_cselect_b32 s12, 0, s26
	s_lshl_b64 s[10:11], s[2:3], 2
	s_add_u32 s12, s12, s10
	s_addc_u32 s13, s7, s11
	s_ashr_i32 s7, s6, 31
	s_lshl_b64 s[10:11], s[6:7], 2
	s_add_u32 s10, s12, s10
	s_addc_u32 s11, s13, s11
	s_load_dword s7, s[10:11], 0x0
	s_waitcnt lgkmcnt(0)
	v_add_f32_e32 v1, s7, v1
.LBB10_20:
	s_andn2_b32 vcc_lo, exec_lo, s1
	s_cbranch_vccnz .LBB10_40
; %bb.21:
	s_cmp_lg_u64 s[38:39], 0
	s_cselect_b32 s7, -1, 0
	s_and_b32 s1, s7, s1
	s_andn2_b32 vcc_lo, exec_lo, s1
	s_cbranch_vccnz .LBB10_23
; %bb.22:
	s_and_b32 s7, s7, exec_lo
	s_cselect_b32 s7, s39, 0
	s_cselect_b32 s10, s38, 0
	s_and_b32 s1, s1, exec_lo
	s_cselect_b32 s3, s3, 0
	s_cselect_b32 s2, s2, 0
	s_lshl_b64 s[2:3], s[2:3], 2
	s_add_u32 s1, s10, s2
	s_addc_u32 s10, s7, s3
	s_ashr_i32 s7, s6, 31
	s_lshl_b64 s[2:3], s[6:7], 2
	s_add_u32 s2, s1, s2
	s_addc_u32 s3, s10, s3
	s_load_dword s1, s[2:3], 0x0
	s_waitcnt lgkmcnt(0)
	v_add_f32_e32 v11, s1, v11
.LBB10_23:
	s_cmp_lt_i32 s9, 2
	s_cbranch_scc1 .LBB10_28
; %bb.24:
	s_cmp_lt_i32 s9, 3
	s_cbranch_scc1 .LBB10_29
; %bb.25:
	v_mov_b32_e32 v0, v1
	s_cmp_eq_u32 s9, 3
	s_cbranch_scc0 .LBB10_27
; %bb.26:
	v_max_f32_e32 v0, v11, v11
	v_min_f32_e32 v0, 0x40e00000, v0
	v_mul_f32_e32 v2, 0xbfd9db23, v0
	v_mul_f32_e32 v3, 0x3fb8aa3b, v2
	v_cmp_ngt_f32_e32 vcc_lo, 0xc2ce8ed0, v2
	v_fma_f32 v4, 0x3fb8aa3b, v2, -v3
	v_rndne_f32_e32 v5, v3
	v_fmamk_f32 v4, v2, 0x32a5705f, v4
	v_sub_f32_e32 v3, v3, v5
	v_add_f32_e32 v3, v3, v4
	v_cvt_i32_f32_e32 v4, v5
	v_exp_f32_e32 v3, v3
	v_ldexp_f32 v3, v3, v4
	v_cndmask_b32_e32 v3, 0, v3, vcc_lo
	v_cmp_nlt_f32_e32 vcc_lo, 0x42b17218, v2
	v_cndmask_b32_e32 v2, 0x7f800000, v3, vcc_lo
	v_add_f32_e32 v2, 1.0, v2
	v_div_scale_f32 v3, null, v2, v2, v0
	v_div_scale_f32 v6, vcc_lo, v0, v2, v0
	v_rcp_f32_e32 v4, v3
	v_fma_f32 v5, -v3, v4, 1.0
	v_fmac_f32_e32 v4, v5, v4
	v_mul_f32_e32 v5, v6, v4
	v_fma_f32 v7, -v3, v5, v6
	v_fmac_f32_e32 v5, v7, v4
	v_max_f32_e32 v7, v1, v1
	v_fma_f32 v3, -v3, v5, v6
	v_min_f32_e32 v6, 0x40e00000, v7
	v_div_fmas_f32 v3, v3, v4, v5
	v_max_f32_e32 v4, 0xc0e00000, v6
	v_div_fixup_f32 v0, v3, v2, v0
	v_add_f32_e32 v2, 1.0, v4
	v_mul_f32_e32 v0, v2, v0
.LBB10_27:
	s_cbranch_execz .LBB10_30
	s_branch .LBB10_31
.LBB10_28:
                                        ; implicit-def: $vgpr0
	s_branch .LBB10_32
.LBB10_29:
                                        ; implicit-def: $vgpr0
.LBB10_30:
	v_mul_f32_e32 v0, 0xbfb8aa3b, v11
	v_cmp_nlt_f32_e32 vcc_lo, 0x42ce8ed0, v11
	v_rndne_f32_e32 v2, v0
	v_fma_f32 v3, 0xbfb8aa3b, v11, -v0
	v_sub_f32_e32 v0, v0, v2
	v_fmamk_f32 v3, v11, 0xb2a5705f, v3
	v_cvt_i32_f32_e32 v2, v2
	v_add_f32_e32 v0, v0, v3
	v_exp_f32_e32 v0, v0
	v_ldexp_f32 v0, v0, v2
	v_cndmask_b32_e32 v0, 0, v0, vcc_lo
	v_cmp_ngt_f32_e32 vcc_lo, 0xc2b17218, v11
	v_cndmask_b32_e32 v0, 0x7f800000, v0, vcc_lo
	v_add_f32_e32 v0, 1.0, v0
	v_div_scale_f32 v2, null, v0, v0, v11
	v_rcp_f32_e32 v3, v2
	v_fma_f32 v4, -v2, v3, 1.0
	v_fmac_f32_e32 v3, v4, v3
	v_div_scale_f32 v4, vcc_lo, v11, v0, v11
	v_mul_f32_e32 v5, v4, v3
	v_fma_f32 v6, -v2, v5, v4
	v_fmac_f32_e32 v5, v6, v3
	v_fma_f32 v2, -v2, v5, v4
	v_div_fmas_f32 v2, v2, v3, v5
	v_div_fixup_f32 v0, v2, v0, v11
	v_mul_f32_e32 v0, v1, v0
.LBB10_31:
	s_cbranch_execnz .LBB10_39
.LBB10_32:
	s_cmp_eq_u32 s9, 1
	s_cbranch_scc0 .LBB10_38
; %bb.33:
	v_mul_f32_e32 v0, 0x3d372713, v11
	v_mul_f32_e32 v2, 0x3f4c422a, v11
	v_fma_f32 v0, v11, v0, 1.0
	v_mul_f32_e32 v0, v2, v0
                                        ; implicit-def: $vgpr2
	v_cmp_ngt_f32_e64 s1, 0x3f200000, |v0|
	s_and_saveexec_b32 s2, s1
	s_xor_b32 s1, exec_lo, s2
	s_cbranch_execz .LBB10_35
; %bb.34:
	v_add_f32_e64 v2, |v0|, |v0|
	v_mul_f32_e32 v3, 0x3fb8aa3b, v2
	v_cmp_ngt_f32_e32 vcc_lo, 0xc2ce8ed0, v2
	v_rndne_f32_e32 v4, v3
	v_fma_f32 v5, 0x3fb8aa3b, v2, -v3
	v_sub_f32_e32 v3, v3, v4
	v_fmamk_f32 v5, v2, 0x32a5705f, v5
	v_cvt_i32_f32_e32 v4, v4
	v_add_f32_e32 v3, v3, v5
	v_exp_f32_e32 v3, v3
	v_ldexp_f32 v3, v3, v4
	v_cndmask_b32_e32 v3, 0, v3, vcc_lo
	v_cmp_nlt_f32_e32 vcc_lo, 0x42b17218, v2
	v_cndmask_b32_e32 v2, 0x7f800000, v3, vcc_lo
	v_add_f32_e32 v2, 1.0, v2
	v_rcp_f32_e32 v2, v2
	v_fma_f32 v2, v2, -2.0, 1.0
.LBB10_35:
	s_andn2_saveexec_b32 s1, s1
	s_cbranch_execz .LBB10_37
; %bb.36:
	v_mul_f32_e32 v2, v0, v0
	s_mov_b32 s2, 0xbbbac73d
	v_fmaak_f32 v3, s2, v2, 0x3ca908c9
	v_fmaak_f32 v3, v2, v3, 0xbd5c1c4e
	;; [unrolled: 1-line block ×4, first 2 shown]
	v_mul_f32_e64 v3, |v0|, v3
	v_fma_f32 v2, v2, v3, |v0|
.LBB10_37:
	s_or_b32 exec_lo, exec_lo, s1
	v_bfi_b32 v0, 0x7fffffff, v2, v0
	v_mul_f32_e32 v2, 0.5, v11
	v_add_f32_e32 v0, 1.0, v0
	v_mul_f32_e32 v0, v2, v0
	v_mul_f32_e32 v1, v1, v0
.LBB10_38:
	v_mov_b32_e32 v0, v1
.LBB10_39:
	v_mov_b32_e32 v1, v0
.LBB10_40:
	s_load_dwordx2 s[2:3], s[4:5], 0x38
	s_mul_i32 s0, s30, s0
	s_mul_i32 s4, s18, s8
	s_ashr_i32 s1, s0, 31
	v_mov_b32_e32 v0, 0
	s_lshl_b64 s[0:1], s[0:1], 2
	s_waitcnt lgkmcnt(0)
	s_add_u32 s2, s2, s0
	s_addc_u32 s3, s3, s1
	s_ashr_i32 s5, s4, 31
	s_lshl_b64 s[0:1], s[4:5], 2
	s_add_u32 s2, s2, s0
	s_addc_u32 s3, s3, s1
	s_ashr_i32 s7, s6, 31
	s_lshl_b64 s[0:1], s[6:7], 2
	s_add_u32 s0, s2, s0
	s_addc_u32 s1, s3, s1
	global_store_dword v0, v1, s[0:1]
.LBB10_41:
	s_endpgm
	.section	.rodata,"a",@progbits
	.p2align	6, 0x0
	.amdhsa_kernel _ZL13mul_mat_vec_fIffLi1ELi192ELb1ELb1EEvPKT_PKfPKi31ggml_cuda_mm_fusion_args_devicePfi15HIP_vector_typeIjLj3EEiiiSA_iiiSA_iiii
		.amdhsa_group_segment_fixed_size 0
		.amdhsa_private_segment_fixed_size 0
		.amdhsa_kernarg_size 144
		.amdhsa_user_sgpr_count 6
		.amdhsa_user_sgpr_private_segment_buffer 1
		.amdhsa_user_sgpr_dispatch_ptr 0
		.amdhsa_user_sgpr_queue_ptr 0
		.amdhsa_user_sgpr_kernarg_segment_ptr 1
		.amdhsa_user_sgpr_dispatch_id 0
		.amdhsa_user_sgpr_flat_scratch_init 0
		.amdhsa_user_sgpr_private_segment_size 0
		.amdhsa_wavefront_size32 1
		.amdhsa_uses_dynamic_stack 0
		.amdhsa_system_sgpr_private_segment_wavefront_offset 0
		.amdhsa_system_sgpr_workgroup_id_x 1
		.amdhsa_system_sgpr_workgroup_id_y 1
		.amdhsa_system_sgpr_workgroup_id_z 1
		.amdhsa_system_sgpr_workgroup_info 0
		.amdhsa_system_vgpr_workitem_id 0
		.amdhsa_next_free_vgpr 17
		.amdhsa_next_free_sgpr 40
		.amdhsa_reserve_vcc 1
		.amdhsa_reserve_flat_scratch 0
		.amdhsa_float_round_mode_32 0
		.amdhsa_float_round_mode_16_64 0
		.amdhsa_float_denorm_mode_32 3
		.amdhsa_float_denorm_mode_16_64 3
		.amdhsa_dx10_clamp 1
		.amdhsa_ieee_mode 1
		.amdhsa_fp16_overflow 0
		.amdhsa_workgroup_processor_mode 1
		.amdhsa_memory_ordered 1
		.amdhsa_forward_progress 1
		.amdhsa_shared_vgpr_count 0
		.amdhsa_exception_fp_ieee_invalid_op 0
		.amdhsa_exception_fp_denorm_src 0
		.amdhsa_exception_fp_ieee_div_zero 0
		.amdhsa_exception_fp_ieee_overflow 0
		.amdhsa_exception_fp_ieee_underflow 0
		.amdhsa_exception_fp_ieee_inexact 0
		.amdhsa_exception_int_div_zero 0
	.end_amdhsa_kernel
	.section	.text._ZL13mul_mat_vec_fIffLi1ELi192ELb1ELb1EEvPKT_PKfPKi31ggml_cuda_mm_fusion_args_devicePfi15HIP_vector_typeIjLj3EEiiiSA_iiiSA_iiii,"axG",@progbits,_ZL13mul_mat_vec_fIffLi1ELi192ELb1ELb1EEvPKT_PKfPKi31ggml_cuda_mm_fusion_args_devicePfi15HIP_vector_typeIjLj3EEiiiSA_iiiSA_iiii,comdat
.Lfunc_end10:
	.size	_ZL13mul_mat_vec_fIffLi1ELi192ELb1ELb1EEvPKT_PKfPKi31ggml_cuda_mm_fusion_args_devicePfi15HIP_vector_typeIjLj3EEiiiSA_iiiSA_iiii, .Lfunc_end10-_ZL13mul_mat_vec_fIffLi1ELi192ELb1ELb1EEvPKT_PKfPKi31ggml_cuda_mm_fusion_args_devicePfi15HIP_vector_typeIjLj3EEiiiSA_iiiSA_iiii
                                        ; -- End function
	.set _ZL13mul_mat_vec_fIffLi1ELi192ELb1ELb1EEvPKT_PKfPKi31ggml_cuda_mm_fusion_args_devicePfi15HIP_vector_typeIjLj3EEiiiSA_iiiSA_iiii.num_vgpr, 17
	.set _ZL13mul_mat_vec_fIffLi1ELi192ELb1ELb1EEvPKT_PKfPKi31ggml_cuda_mm_fusion_args_devicePfi15HIP_vector_typeIjLj3EEiiiSA_iiiSA_iiii.num_agpr, 0
	.set _ZL13mul_mat_vec_fIffLi1ELi192ELb1ELb1EEvPKT_PKfPKi31ggml_cuda_mm_fusion_args_devicePfi15HIP_vector_typeIjLj3EEiiiSA_iiiSA_iiii.numbered_sgpr, 40
	.set _ZL13mul_mat_vec_fIffLi1ELi192ELb1ELb1EEvPKT_PKfPKi31ggml_cuda_mm_fusion_args_devicePfi15HIP_vector_typeIjLj3EEiiiSA_iiiSA_iiii.num_named_barrier, 0
	.set _ZL13mul_mat_vec_fIffLi1ELi192ELb1ELb1EEvPKT_PKfPKi31ggml_cuda_mm_fusion_args_devicePfi15HIP_vector_typeIjLj3EEiiiSA_iiiSA_iiii.private_seg_size, 0
	.set _ZL13mul_mat_vec_fIffLi1ELi192ELb1ELb1EEvPKT_PKfPKi31ggml_cuda_mm_fusion_args_devicePfi15HIP_vector_typeIjLj3EEiiiSA_iiiSA_iiii.uses_vcc, 1
	.set _ZL13mul_mat_vec_fIffLi1ELi192ELb1ELb1EEvPKT_PKfPKi31ggml_cuda_mm_fusion_args_devicePfi15HIP_vector_typeIjLj3EEiiiSA_iiiSA_iiii.uses_flat_scratch, 0
	.set _ZL13mul_mat_vec_fIffLi1ELi192ELb1ELb1EEvPKT_PKfPKi31ggml_cuda_mm_fusion_args_devicePfi15HIP_vector_typeIjLj3EEiiiSA_iiiSA_iiii.has_dyn_sized_stack, 0
	.set _ZL13mul_mat_vec_fIffLi1ELi192ELb1ELb1EEvPKT_PKfPKi31ggml_cuda_mm_fusion_args_devicePfi15HIP_vector_typeIjLj3EEiiiSA_iiiSA_iiii.has_recursion, 0
	.set _ZL13mul_mat_vec_fIffLi1ELi192ELb1ELb1EEvPKT_PKfPKi31ggml_cuda_mm_fusion_args_devicePfi15HIP_vector_typeIjLj3EEiiiSA_iiiSA_iiii.has_indirect_call, 0
	.section	.AMDGPU.csdata,"",@progbits
; Kernel info:
; codeLenInByte = 2192
; TotalNumSgprs: 42
; NumVgprs: 17
; ScratchSize: 0
; MemoryBound: 0
; FloatMode: 240
; IeeeMode: 1
; LDSByteSize: 0 bytes/workgroup (compile time only)
; SGPRBlocks: 0
; VGPRBlocks: 2
; NumSGPRsForWavesPerEU: 42
; NumVGPRsForWavesPerEU: 17
; Occupancy: 16
; WaveLimiterHint : 1
; COMPUTE_PGM_RSRC2:SCRATCH_EN: 0
; COMPUTE_PGM_RSRC2:USER_SGPR: 6
; COMPUTE_PGM_RSRC2:TRAP_HANDLER: 0
; COMPUTE_PGM_RSRC2:TGID_X_EN: 1
; COMPUTE_PGM_RSRC2:TGID_Y_EN: 1
; COMPUTE_PGM_RSRC2:TGID_Z_EN: 1
; COMPUTE_PGM_RSRC2:TIDIG_COMP_CNT: 0
	.section	.text._ZL13mul_mat_vec_fIffLi1ELi192ELb0ELb1EEvPKT_PKfPKi31ggml_cuda_mm_fusion_args_devicePfi15HIP_vector_typeIjLj3EEiiiSA_iiiSA_iiii,"axG",@progbits,_ZL13mul_mat_vec_fIffLi1ELi192ELb0ELb1EEvPKT_PKfPKi31ggml_cuda_mm_fusion_args_devicePfi15HIP_vector_typeIjLj3EEiiiSA_iiiSA_iiii,comdat
	.globl	_ZL13mul_mat_vec_fIffLi1ELi192ELb0ELb1EEvPKT_PKfPKi31ggml_cuda_mm_fusion_args_devicePfi15HIP_vector_typeIjLj3EEiiiSA_iiiSA_iiii ; -- Begin function _ZL13mul_mat_vec_fIffLi1ELi192ELb0ELb1EEvPKT_PKfPKi31ggml_cuda_mm_fusion_args_devicePfi15HIP_vector_typeIjLj3EEiiiSA_iiiSA_iiii
	.p2align	8
	.type	_ZL13mul_mat_vec_fIffLi1ELi192ELb0ELb1EEvPKT_PKfPKi31ggml_cuda_mm_fusion_args_devicePfi15HIP_vector_typeIjLj3EEiiiSA_iiiSA_iiii,@function
_ZL13mul_mat_vec_fIffLi1ELi192ELb0ELb1EEvPKT_PKfPKi31ggml_cuda_mm_fusion_args_devicePfi15HIP_vector_typeIjLj3EEiiiSA_iiiSA_iiii: ; @_ZL13mul_mat_vec_fIffLi1ELi192ELb0ELb1EEvPKT_PKfPKi31ggml_cuda_mm_fusion_args_devicePfi15HIP_vector_typeIjLj3EEiiiSA_iiiSA_iiii
; %bb.0:
	s_clause 0x2
	s_load_dword s2, s[4:5], 0x8c
	s_load_dwordx2 s[0:1], s[4:5], 0x10
	s_load_dwordx8 s[12:19], s[4:5], 0x40
	v_cmp_gt_u32_e32 vcc_lo, 32, v0
	v_lshl_add_u32 v5, v0, 2, 0
	s_waitcnt lgkmcnt(0)
	s_mul_i32 s2, s2, s8
	s_add_i32 s2, s2, s7
	s_ashr_i32 s3, s2, 31
	s_lshl_b64 s[2:3], s[2:3], 2
	s_add_u32 s2, s0, s2
	s_addc_u32 s3, s1, s3
	s_and_saveexec_b32 s0, vcc_lo
; %bb.1:
	v_mov_b32_e32 v1, 0
	ds_write_b32 v5, v1
; %bb.2:
	s_or_b32 exec_lo, exec_lo, s0
	s_load_dwordx4 s[20:23], s[4:5], 0x68
	v_mov_b32_e32 v6, 0
	s_mov_b32 s9, exec_lo
	s_waitcnt lgkmcnt(0)
	s_barrier
	buffer_gl0_inv
	v_cmpx_gt_i32_e64 s12, v0
	s_cbranch_execz .LBB11_6
; %bb.3:
	s_load_dword s19, s[2:3], 0x0
	s_load_dwordx4 s[0:3], s[4:5], 0x0
	s_mul_hi_u32 s11, s13, s7
	s_mul_i32 s13, s8, s17
	s_add_i32 s17, s7, s11
	s_mul_i32 s10, s16, s6
	s_lshl_b32 s16, s13, 1
	s_lshr_b32 s13, s17, s14
	s_ashr_i32 s11, s10, 31
	s_mul_i32 s13, s13, s15
	s_ashr_i32 s17, s16, 31
	s_sub_i32 s13, s7, s13
	s_lshl_b64 s[10:11], s[10:11], 2
	v_lshlrev_b32_e32 v1, 3, v0
	v_mov_b32_e32 v6, 0
	s_waitcnt lgkmcnt(0)
	s_mul_i32 s14, s19, s20
	s_mul_i32 s20, s13, s21
	s_ashr_i32 s15, s14, 31
	s_ashr_i32 s21, s20, 31
	s_lshl_b64 s[14:15], s[14:15], 2
	s_add_u32 s0, s0, s14
	s_addc_u32 s1, s1, s15
	s_add_u32 s13, s0, s10
	s_addc_u32 s14, s1, s11
	s_lshl_b64 s[10:11], s[20:21], 2
	s_lshl_b64 s[0:1], s[16:17], 2
	s_add_u32 s2, s2, s10
	s_addc_u32 s3, s3, s11
	v_add_co_u32 v2, s13, s13, v1
	s_add_u32 s0, s2, s0
	v_add_co_ci_u32_e64 v3, null, s14, 0, s13
	s_addc_u32 s1, s3, s1
	v_add_co_u32 v4, s0, s0, v1
	v_add_co_ci_u32_e64 v7, null, s1, 0, s0
	v_add_co_u32 v1, s0, v2, 4
	v_add_co_ci_u32_e64 v2, null, 0, v3, s0
	;; [unrolled: 2-line block ×3, first 2 shown]
	v_mov_b32_e32 v7, v0
	s_mov_b32 s2, 0
	.p2align	6
.LBB11_4:                               ; =>This Inner Loop Header: Depth=1
	global_load_dwordx2 v[8:9], v[1:2], off offset:-4
	global_load_dwordx2 v[10:11], v[3:4], off offset:-4
	v_add_nc_u32_e32 v7, 0xc0, v7
	v_add_co_u32 v1, s0, 0x600, v1
	v_add_co_ci_u32_e64 v2, null, 0, v2, s0
	v_add_co_u32 v3, s0, 0x600, v3
	v_cmp_le_i32_e64 s1, s12, v7
	v_add_co_ci_u32_e64 v4, null, 0, v4, s0
	s_or_b32 s2, s1, s2
	s_waitcnt vmcnt(0)
	v_fmac_f32_e32 v6, v8, v10
	v_fmac_f32_e32 v6, v9, v11
	s_andn2_b32 exec_lo, exec_lo, s2
	s_cbranch_execnz .LBB11_4
; %bb.5:
	s_or_b32 exec_lo, exec_lo, s2
.LBB11_6:
	s_or_b32 exec_lo, exec_lo, s9
	v_mbcnt_lo_u32_b32 v2, -1, 0
	v_xor_b32_e32 v1, 16, v2
	v_xor_b32_e32 v3, 8, v2
	v_cmp_gt_i32_e64 s0, 32, v1
	v_cndmask_b32_e64 v1, v2, v1, s0
	v_cmp_gt_i32_e64 s0, 32, v3
	v_lshlrev_b32_e32 v1, 2, v1
	v_cndmask_b32_e64 v3, v2, v3, s0
	ds_bpermute_b32 v4, v1, v6
	v_lshlrev_b32_e32 v3, 2, v3
	s_waitcnt lgkmcnt(0)
	v_add_f32_e32 v6, v6, v4
	v_xor_b32_e32 v4, 4, v2
	ds_bpermute_b32 v7, v3, v6
	v_cmp_gt_i32_e64 s0, 32, v4
	v_cndmask_b32_e64 v4, v2, v4, s0
	v_lshlrev_b32_e32 v4, 2, v4
	s_waitcnt lgkmcnt(0)
	v_add_f32_e32 v7, v6, v7
	v_xor_b32_e32 v6, 2, v2
	ds_bpermute_b32 v8, v4, v7
	v_cmp_gt_i32_e64 s0, 32, v6
	v_cndmask_b32_e64 v6, v2, v6, s0
	;; [unrolled: 7-line block ×3, first 2 shown]
	v_lshlrev_b32_e32 v7, 2, v2
	s_waitcnt lgkmcnt(0)
	v_add_f32_e32 v2, v8, v9
	v_lshrrev_b32_e32 v9, 3, v0
	ds_bpermute_b32 v8, v7, v2
	v_and_b32_e32 v9, 0x7c, v9
	v_add_nc_u32_e32 v9, 0, v9
	s_waitcnt lgkmcnt(0)
	v_add_f32_e32 v2, v2, v8
	ds_write_b32 v9, v2
	s_waitcnt lgkmcnt(0)
	s_barrier
	buffer_gl0_inv
	s_and_saveexec_b32 s0, vcc_lo
	s_cbranch_execz .LBB11_8
; %bb.7:
	ds_read_b32 v2, v5
	s_waitcnt lgkmcnt(0)
	ds_bpermute_b32 v1, v1, v2
	s_waitcnt lgkmcnt(0)
	v_add_f32_e32 v1, v2, v1
	ds_bpermute_b32 v2, v3, v1
	s_waitcnt lgkmcnt(0)
	v_add_f32_e32 v1, v1, v2
	;; [unrolled: 3-line block ×5, first 2 shown]
.LBB11_8:
	s_or_b32 exec_lo, exec_lo, s0
	s_barrier
	buffer_gl0_inv
	s_mov_b32 s0, exec_lo
	v_cmpx_eq_u32_e32 0, v0
	s_cbranch_execz .LBB11_10
; %bb.9:
	s_load_dwordx2 s[0:1], s[4:5], 0x38
	s_mul_i32 s2, s22, s7
	s_mul_i32 s4, s18, s8
	s_ashr_i32 s3, s2, 31
	v_mov_b32_e32 v0, 0
	s_lshl_b64 s[2:3], s[2:3], 2
	s_waitcnt lgkmcnt(0)
	s_add_u32 s2, s0, s2
	s_addc_u32 s3, s1, s3
	s_ashr_i32 s5, s4, 31
	s_lshl_b64 s[0:1], s[4:5], 2
	s_add_u32 s2, s2, s0
	s_addc_u32 s3, s3, s1
	s_ashr_i32 s7, s6, 31
	s_lshl_b64 s[0:1], s[6:7], 2
	s_add_u32 s0, s2, s0
	s_addc_u32 s1, s3, s1
	global_store_dword v0, v2, s[0:1]
.LBB11_10:
	s_endpgm
	.section	.rodata,"a",@progbits
	.p2align	6, 0x0
	.amdhsa_kernel _ZL13mul_mat_vec_fIffLi1ELi192ELb0ELb1EEvPKT_PKfPKi31ggml_cuda_mm_fusion_args_devicePfi15HIP_vector_typeIjLj3EEiiiSA_iiiSA_iiii
		.amdhsa_group_segment_fixed_size 0
		.amdhsa_private_segment_fixed_size 0
		.amdhsa_kernarg_size 144
		.amdhsa_user_sgpr_count 6
		.amdhsa_user_sgpr_private_segment_buffer 1
		.amdhsa_user_sgpr_dispatch_ptr 0
		.amdhsa_user_sgpr_queue_ptr 0
		.amdhsa_user_sgpr_kernarg_segment_ptr 1
		.amdhsa_user_sgpr_dispatch_id 0
		.amdhsa_user_sgpr_flat_scratch_init 0
		.amdhsa_user_sgpr_private_segment_size 0
		.amdhsa_wavefront_size32 1
		.amdhsa_uses_dynamic_stack 0
		.amdhsa_system_sgpr_private_segment_wavefront_offset 0
		.amdhsa_system_sgpr_workgroup_id_x 1
		.amdhsa_system_sgpr_workgroup_id_y 1
		.amdhsa_system_sgpr_workgroup_id_z 1
		.amdhsa_system_sgpr_workgroup_info 0
		.amdhsa_system_vgpr_workitem_id 0
		.amdhsa_next_free_vgpr 12
		.amdhsa_next_free_sgpr 24
		.amdhsa_reserve_vcc 1
		.amdhsa_reserve_flat_scratch 0
		.amdhsa_float_round_mode_32 0
		.amdhsa_float_round_mode_16_64 0
		.amdhsa_float_denorm_mode_32 3
		.amdhsa_float_denorm_mode_16_64 3
		.amdhsa_dx10_clamp 1
		.amdhsa_ieee_mode 1
		.amdhsa_fp16_overflow 0
		.amdhsa_workgroup_processor_mode 1
		.amdhsa_memory_ordered 1
		.amdhsa_forward_progress 1
		.amdhsa_shared_vgpr_count 0
		.amdhsa_exception_fp_ieee_invalid_op 0
		.amdhsa_exception_fp_denorm_src 0
		.amdhsa_exception_fp_ieee_div_zero 0
		.amdhsa_exception_fp_ieee_overflow 0
		.amdhsa_exception_fp_ieee_underflow 0
		.amdhsa_exception_fp_ieee_inexact 0
		.amdhsa_exception_int_div_zero 0
	.end_amdhsa_kernel
	.section	.text._ZL13mul_mat_vec_fIffLi1ELi192ELb0ELb1EEvPKT_PKfPKi31ggml_cuda_mm_fusion_args_devicePfi15HIP_vector_typeIjLj3EEiiiSA_iiiSA_iiii,"axG",@progbits,_ZL13mul_mat_vec_fIffLi1ELi192ELb0ELb1EEvPKT_PKfPKi31ggml_cuda_mm_fusion_args_devicePfi15HIP_vector_typeIjLj3EEiiiSA_iiiSA_iiii,comdat
.Lfunc_end11:
	.size	_ZL13mul_mat_vec_fIffLi1ELi192ELb0ELb1EEvPKT_PKfPKi31ggml_cuda_mm_fusion_args_devicePfi15HIP_vector_typeIjLj3EEiiiSA_iiiSA_iiii, .Lfunc_end11-_ZL13mul_mat_vec_fIffLi1ELi192ELb0ELb1EEvPKT_PKfPKi31ggml_cuda_mm_fusion_args_devicePfi15HIP_vector_typeIjLj3EEiiiSA_iiiSA_iiii
                                        ; -- End function
	.set _ZL13mul_mat_vec_fIffLi1ELi192ELb0ELb1EEvPKT_PKfPKi31ggml_cuda_mm_fusion_args_devicePfi15HIP_vector_typeIjLj3EEiiiSA_iiiSA_iiii.num_vgpr, 12
	.set _ZL13mul_mat_vec_fIffLi1ELi192ELb0ELb1EEvPKT_PKfPKi31ggml_cuda_mm_fusion_args_devicePfi15HIP_vector_typeIjLj3EEiiiSA_iiiSA_iiii.num_agpr, 0
	.set _ZL13mul_mat_vec_fIffLi1ELi192ELb0ELb1EEvPKT_PKfPKi31ggml_cuda_mm_fusion_args_devicePfi15HIP_vector_typeIjLj3EEiiiSA_iiiSA_iiii.numbered_sgpr, 24
	.set _ZL13mul_mat_vec_fIffLi1ELi192ELb0ELb1EEvPKT_PKfPKi31ggml_cuda_mm_fusion_args_devicePfi15HIP_vector_typeIjLj3EEiiiSA_iiiSA_iiii.num_named_barrier, 0
	.set _ZL13mul_mat_vec_fIffLi1ELi192ELb0ELb1EEvPKT_PKfPKi31ggml_cuda_mm_fusion_args_devicePfi15HIP_vector_typeIjLj3EEiiiSA_iiiSA_iiii.private_seg_size, 0
	.set _ZL13mul_mat_vec_fIffLi1ELi192ELb0ELb1EEvPKT_PKfPKi31ggml_cuda_mm_fusion_args_devicePfi15HIP_vector_typeIjLj3EEiiiSA_iiiSA_iiii.uses_vcc, 1
	.set _ZL13mul_mat_vec_fIffLi1ELi192ELb0ELb1EEvPKT_PKfPKi31ggml_cuda_mm_fusion_args_devicePfi15HIP_vector_typeIjLj3EEiiiSA_iiiSA_iiii.uses_flat_scratch, 0
	.set _ZL13mul_mat_vec_fIffLi1ELi192ELb0ELb1EEvPKT_PKfPKi31ggml_cuda_mm_fusion_args_devicePfi15HIP_vector_typeIjLj3EEiiiSA_iiiSA_iiii.has_dyn_sized_stack, 0
	.set _ZL13mul_mat_vec_fIffLi1ELi192ELb0ELb1EEvPKT_PKfPKi31ggml_cuda_mm_fusion_args_devicePfi15HIP_vector_typeIjLj3EEiiiSA_iiiSA_iiii.has_recursion, 0
	.set _ZL13mul_mat_vec_fIffLi1ELi192ELb0ELb1EEvPKT_PKfPKi31ggml_cuda_mm_fusion_args_devicePfi15HIP_vector_typeIjLj3EEiiiSA_iiiSA_iiii.has_indirect_call, 0
	.section	.AMDGPU.csdata,"",@progbits
; Kernel info:
; codeLenInByte = 948
; TotalNumSgprs: 26
; NumVgprs: 12
; ScratchSize: 0
; MemoryBound: 0
; FloatMode: 240
; IeeeMode: 1
; LDSByteSize: 0 bytes/workgroup (compile time only)
; SGPRBlocks: 0
; VGPRBlocks: 1
; NumSGPRsForWavesPerEU: 26
; NumVGPRsForWavesPerEU: 12
; Occupancy: 16
; WaveLimiterHint : 1
; COMPUTE_PGM_RSRC2:SCRATCH_EN: 0
; COMPUTE_PGM_RSRC2:USER_SGPR: 6
; COMPUTE_PGM_RSRC2:TRAP_HANDLER: 0
; COMPUTE_PGM_RSRC2:TGID_X_EN: 1
; COMPUTE_PGM_RSRC2:TGID_Y_EN: 1
; COMPUTE_PGM_RSRC2:TGID_Z_EN: 1
; COMPUTE_PGM_RSRC2:TIDIG_COMP_CNT: 0
	.section	.text._ZL13mul_mat_vec_fIffLi1ELi224ELb1ELb1EEvPKT_PKfPKi31ggml_cuda_mm_fusion_args_devicePfi15HIP_vector_typeIjLj3EEiiiSA_iiiSA_iiii,"axG",@progbits,_ZL13mul_mat_vec_fIffLi1ELi224ELb1ELb1EEvPKT_PKfPKi31ggml_cuda_mm_fusion_args_devicePfi15HIP_vector_typeIjLj3EEiiiSA_iiiSA_iiii,comdat
	.globl	_ZL13mul_mat_vec_fIffLi1ELi224ELb1ELb1EEvPKT_PKfPKi31ggml_cuda_mm_fusion_args_devicePfi15HIP_vector_typeIjLj3EEiiiSA_iiiSA_iiii ; -- Begin function _ZL13mul_mat_vec_fIffLi1ELi224ELb1ELb1EEvPKT_PKfPKi31ggml_cuda_mm_fusion_args_devicePfi15HIP_vector_typeIjLj3EEiiiSA_iiiSA_iiii
	.p2align	8
	.type	_ZL13mul_mat_vec_fIffLi1ELi224ELb1ELb1EEvPKT_PKfPKi31ggml_cuda_mm_fusion_args_devicePfi15HIP_vector_typeIjLj3EEiiiSA_iiiSA_iiii,@function
_ZL13mul_mat_vec_fIffLi1ELi224ELb1ELb1EEvPKT_PKfPKi31ggml_cuda_mm_fusion_args_devicePfi15HIP_vector_typeIjLj3EEiiiSA_iiiSA_iiii: ; @_ZL13mul_mat_vec_fIffLi1ELi224ELb1ELb1EEvPKT_PKfPKi31ggml_cuda_mm_fusion_args_devicePfi15HIP_vector_typeIjLj3EEiiiSA_iiiSA_iiii
; %bb.0:
	s_clause 0x3
	s_load_dword s1, s[4:5], 0x8c
	s_load_dwordx8 s[20:27], s[4:5], 0x0
	s_load_dwordx4 s[36:39], s[4:5], 0x20
	s_load_dwordx8 s[12:19], s[4:5], 0x40
	v_lshl_add_u32 v12, v0, 2, 0
	s_mov_b32 s0, s7
	s_waitcnt lgkmcnt(0)
	s_mul_i32 s1, s1, s8
	s_add_i32 s2, s1, s7
	s_ashr_i32 s3, s2, 31
	s_lshl_b64 s[2:3], s[2:3], 2
	s_add_u32 s10, s24, s2
	s_addc_u32 s11, s25, s3
	s_cmp_lg_u64 s[36:37], 0
	v_cmp_gt_u32_e64 s2, 32, v0
	s_cselect_b32 s1, -1, 0
	s_cmp_eq_u64 s[36:37], 0
	s_cselect_b32 s19, -1, 0
	s_and_saveexec_b32 s3, s2
	s_cbranch_execz .LBB12_3
; %bb.1:
	v_mov_b32_e32 v1, 0
	s_andn2_b32 vcc_lo, exec_lo, s1
	ds_write_b32 v12, v1
	s_cbranch_vccnz .LBB12_3
; %bb.2:
	ds_write_b32 v12, v1 offset:128
.LBB12_3:
	s_or_b32 exec_lo, exec_lo, s3
	s_load_dword s7, s[10:11], 0x0
	s_load_dwordx4 s[28:31], s[4:5], 0x68
	v_mov_b32_e32 v11, 0
	v_mov_b32_e32 v13, 0
	s_mov_b32 s9, exec_lo
	s_waitcnt lgkmcnt(0)
	s_barrier
	buffer_gl0_inv
	v_cmpx_gt_i32_e64 s12, v0
	s_cbranch_execz .LBB12_9
; %bb.4:
	s_mul_hi_u32 s3, s13, s0
	s_mul_i32 s10, s7, s28
	s_add_i32 s3, s0, s3
	s_mul_i32 s11, s16, s6
	s_lshr_b32 s3, s3, s14
	s_ashr_i32 s13, s10, 31
	s_mul_i32 s3, s3, s15
	s_ashr_i32 s14, s11, 31
	s_sub_i32 s3, s0, s3
	s_add_u32 s10, s10, s11
	s_addc_u32 s11, s13, s14
	s_mul_i32 s13, s8, s17
	s_mul_i32 s14, s3, s29
	s_lshl_b32 s16, s13, 1
	s_ashr_i32 s15, s14, 31
	s_ashr_i32 s17, s16, 31
	s_and_b32 s3, s1, exec_lo
	s_cselect_b32 s29, s11, 0
	s_cselect_b32 s28, s10, 0
	v_lshlrev_b32_e32 v3, 3, v0
	s_cselect_b32 s3, s37, 0
	s_cselect_b32 s13, s36, 0
	s_lshl_b64 s[28:29], s[28:29], 2
	v_mov_b32_e32 v11, 0
	s_add_u32 s13, s13, s28
	s_addc_u32 s3, s3, s29
	v_add_co_u32 v1, s13, s13, v3
	s_lshl_b64 s[14:15], s[14:15], 2
	s_lshl_b64 s[16:17], s[16:17], 2
	v_add_co_ci_u32_e64 v2, null, s3, 0, s13
	s_add_u32 s3, s22, s14
	s_addc_u32 s13, s23, s15
	s_add_u32 s3, s3, s16
	s_addc_u32 s13, s13, s17
	s_lshl_b64 s[10:11], s[10:11], 2
	v_add_co_u32 v4, s3, s3, v3
	v_add_co_ci_u32_e64 v5, null, s13, 0, s3
	s_add_u32 s3, s20, s10
	s_addc_u32 s10, s21, s11
	v_add_co_u32 v6, s3, s3, v3
	v_add_co_u32 v1, vcc_lo, v1, 4
	v_add_co_ci_u32_e64 v7, null, s10, 0, s3
	v_add_co_ci_u32_e64 v2, null, 0, v2, vcc_lo
	v_add_co_u32 v3, vcc_lo, v4, 4
	v_add_co_ci_u32_e64 v4, null, 0, v5, vcc_lo
	v_add_co_u32 v5, vcc_lo, v6, 4
	v_add_co_ci_u32_e64 v6, null, 0, v7, vcc_lo
	v_mov_b32_e32 v14, v0
	v_mov_b32_e32 v13, 0
	s_mov_b32 s10, 0
	s_inst_prefetch 0x1
	s_branch .LBB12_6
	.p2align	6
.LBB12_5:                               ;   in Loop: Header=BB12_6 Depth=1
	global_load_dwordx2 v[15:16], v[3:4], off offset:-4
	v_add_nc_u32_e32 v14, 0xe0, v14
	v_add_co_u32 v1, vcc_lo, 0x700, v1
	v_add_co_ci_u32_e64 v2, null, 0, v2, vcc_lo
	v_add_co_u32 v3, vcc_lo, 0x700, v3
	v_add_co_ci_u32_e64 v4, null, 0, v4, vcc_lo
	v_cmp_le_i32_e32 vcc_lo, s12, v14
	v_add_co_u32 v5, s3, 0x700, v5
	v_add_co_ci_u32_e64 v6, null, 0, v6, s3
	s_or_b32 s10, vcc_lo, s10
	s_waitcnt vmcnt(0)
	v_fma_f32 v9, v9, v15, v11
	v_fmac_f32_e32 v13, v7, v15
	v_fmac_f32_e32 v9, v10, v16
	v_fmac_f32_e32 v13, v8, v16
	v_cndmask_b32_e64 v11, v11, v9, s1
	s_andn2_b32 exec_lo, exec_lo, s10
	s_cbranch_execz .LBB12_8
.LBB12_6:                               ; =>This Inner Loop Header: Depth=1
	global_load_dwordx2 v[7:8], v[5:6], off offset:-4
	v_mov_b32_e32 v10, 0
	v_mov_b32_e32 v9, 0
	s_andn2_b32 vcc_lo, exec_lo, s1
	s_cbranch_vccnz .LBB12_5
; %bb.7:                                ;   in Loop: Header=BB12_6 Depth=1
	global_load_dwordx2 v[9:10], v[1:2], off offset:-4
	s_branch .LBB12_5
.LBB12_8:
	s_inst_prefetch 0x2
	s_or_b32 exec_lo, exec_lo, s10
.LBB12_9:
	s_or_b32 exec_lo, exec_lo, s9
	v_mbcnt_lo_u32_b32 v1, -1, 0
	s_load_dword s9, s[4:5], 0x30
	s_mov_b32 s3, -1
	v_xor_b32_e32 v2, 16, v1
	v_xor_b32_e32 v3, 8, v1
	v_cmp_gt_i32_e32 vcc_lo, 32, v2
	v_cndmask_b32_e32 v2, v1, v2, vcc_lo
	v_cmp_gt_i32_e32 vcc_lo, 32, v3
	v_lshlrev_b32_e32 v2, 2, v2
	v_cndmask_b32_e32 v3, v1, v3, vcc_lo
	ds_bpermute_b32 v4, v2, v13
	v_lshlrev_b32_e32 v3, 2, v3
	s_waitcnt lgkmcnt(0)
	v_add_f32_e32 v5, v13, v4
	v_xor_b32_e32 v4, 4, v1
	ds_bpermute_b32 v6, v3, v5
	v_cmp_gt_i32_e32 vcc_lo, 32, v4
	v_cndmask_b32_e32 v4, v1, v4, vcc_lo
	v_lshlrev_b32_e32 v4, 2, v4
	s_waitcnt lgkmcnt(0)
	v_add_f32_e32 v6, v5, v6
	v_xor_b32_e32 v5, 2, v1
	ds_bpermute_b32 v7, v4, v6
	v_cmp_gt_i32_e32 vcc_lo, 32, v5
	v_cndmask_b32_e32 v5, v1, v5, vcc_lo
	;; [unrolled: 7-line block ×3, first 2 shown]
	s_and_b32 vcc_lo, exec_lo, s19
	v_lshlrev_b32_e32 v6, 2, v1
	s_waitcnt lgkmcnt(0)
	v_add_f32_e32 v1, v7, v8
	v_lshrrev_b32_e32 v8, 5, v0
	ds_bpermute_b32 v7, v6, v1
	s_waitcnt lgkmcnt(0)
	v_add_f32_e32 v1, v1, v7
	v_lshl_add_u32 v7, v8, 2, 0
	s_cbranch_vccz .LBB12_11
; %bb.10:
	s_mov_b32 s3, 0
	ds_write_b32 v7, v1
.LBB12_11:
	s_andn2_b32 vcc_lo, exec_lo, s3
	s_cbranch_vccnz .LBB12_13
; %bb.12:
	ds_bpermute_b32 v8, v2, v11
	s_waitcnt lgkmcnt(0)
	v_add_f32_e32 v8, v11, v8
	ds_bpermute_b32 v9, v3, v8
	s_waitcnt lgkmcnt(0)
	v_add_f32_e32 v8, v8, v9
	;; [unrolled: 3-line block ×5, first 2 shown]
	ds_write2_b32 v7, v1, v11 offset1:32
.LBB12_13:
	s_waitcnt lgkmcnt(0)
	s_barrier
	buffer_gl0_inv
	s_and_saveexec_b32 s3, s2
	s_cbranch_execz .LBB12_17
; %bb.14:
	ds_read_b32 v1, v12
	s_andn2_b32 vcc_lo, exec_lo, s1
	s_waitcnt lgkmcnt(0)
	ds_bpermute_b32 v7, v2, v1
	s_waitcnt lgkmcnt(0)
	v_add_f32_e32 v1, v1, v7
	ds_bpermute_b32 v7, v3, v1
	s_waitcnt lgkmcnt(0)
	v_add_f32_e32 v1, v1, v7
	;; [unrolled: 3-line block ×4, first 2 shown]
	ds_bpermute_b32 v7, v6, v1
	s_cbranch_vccnz .LBB12_16
; %bb.15:
	ds_read_b32 v8, v12 offset:128
	s_waitcnt lgkmcnt(0)
	ds_bpermute_b32 v2, v2, v8
	s_waitcnt lgkmcnt(0)
	v_add_f32_e32 v2, v8, v2
	ds_bpermute_b32 v3, v3, v2
	s_waitcnt lgkmcnt(0)
	v_add_f32_e32 v2, v2, v3
	;; [unrolled: 3-line block ×5, first 2 shown]
.LBB12_16:
	s_waitcnt lgkmcnt(0)
	v_add_f32_e32 v1, v1, v7
.LBB12_17:
	s_or_b32 exec_lo, exec_lo, s3
	s_barrier
	buffer_gl0_inv
	s_mov_b32 s2, exec_lo
	v_cmpx_eq_u32_e32 0, v0
	s_cbranch_execz .LBB12_41
; %bb.18:
	s_cmp_eq_u64 s[26:27], 0
	s_cselect_b32 s10, -1, 0
	s_cmp_eq_u64 s[24:25], 0
	s_cselect_b32 s2, s0, s7
	s_mul_i32 s2, s2, s30
	s_ashr_i32 s3, s2, 31
	s_and_b32 vcc_lo, exec_lo, s10
	s_cbranch_vccnz .LBB12_20
; %bb.19:
	s_cselect_b32 s7, 0, s27
	s_cselect_b32 s12, 0, s26
	s_lshl_b64 s[10:11], s[2:3], 2
	s_add_u32 s12, s12, s10
	s_addc_u32 s13, s7, s11
	s_ashr_i32 s7, s6, 31
	s_lshl_b64 s[10:11], s[6:7], 2
	s_add_u32 s10, s12, s10
	s_addc_u32 s11, s13, s11
	s_load_dword s7, s[10:11], 0x0
	s_waitcnt lgkmcnt(0)
	v_add_f32_e32 v1, s7, v1
.LBB12_20:
	s_andn2_b32 vcc_lo, exec_lo, s1
	s_cbranch_vccnz .LBB12_40
; %bb.21:
	s_cmp_lg_u64 s[38:39], 0
	s_cselect_b32 s7, -1, 0
	s_and_b32 s1, s7, s1
	s_andn2_b32 vcc_lo, exec_lo, s1
	s_cbranch_vccnz .LBB12_23
; %bb.22:
	s_and_b32 s7, s7, exec_lo
	s_cselect_b32 s7, s39, 0
	s_cselect_b32 s10, s38, 0
	s_and_b32 s1, s1, exec_lo
	s_cselect_b32 s3, s3, 0
	s_cselect_b32 s2, s2, 0
	s_lshl_b64 s[2:3], s[2:3], 2
	s_add_u32 s1, s10, s2
	s_addc_u32 s10, s7, s3
	s_ashr_i32 s7, s6, 31
	s_lshl_b64 s[2:3], s[6:7], 2
	s_add_u32 s2, s1, s2
	s_addc_u32 s3, s10, s3
	s_load_dword s1, s[2:3], 0x0
	s_waitcnt lgkmcnt(0)
	v_add_f32_e32 v11, s1, v11
.LBB12_23:
	s_cmp_lt_i32 s9, 2
	s_cbranch_scc1 .LBB12_28
; %bb.24:
	s_cmp_lt_i32 s9, 3
	s_cbranch_scc1 .LBB12_29
; %bb.25:
	v_mov_b32_e32 v0, v1
	s_cmp_eq_u32 s9, 3
	s_cbranch_scc0 .LBB12_27
; %bb.26:
	v_max_f32_e32 v0, v11, v11
	v_min_f32_e32 v0, 0x40e00000, v0
	v_mul_f32_e32 v2, 0xbfd9db23, v0
	v_mul_f32_e32 v3, 0x3fb8aa3b, v2
	v_cmp_ngt_f32_e32 vcc_lo, 0xc2ce8ed0, v2
	v_fma_f32 v4, 0x3fb8aa3b, v2, -v3
	v_rndne_f32_e32 v5, v3
	v_fmamk_f32 v4, v2, 0x32a5705f, v4
	v_sub_f32_e32 v3, v3, v5
	v_add_f32_e32 v3, v3, v4
	v_cvt_i32_f32_e32 v4, v5
	v_exp_f32_e32 v3, v3
	v_ldexp_f32 v3, v3, v4
	v_cndmask_b32_e32 v3, 0, v3, vcc_lo
	v_cmp_nlt_f32_e32 vcc_lo, 0x42b17218, v2
	v_cndmask_b32_e32 v2, 0x7f800000, v3, vcc_lo
	v_add_f32_e32 v2, 1.0, v2
	v_div_scale_f32 v3, null, v2, v2, v0
	v_div_scale_f32 v6, vcc_lo, v0, v2, v0
	v_rcp_f32_e32 v4, v3
	v_fma_f32 v5, -v3, v4, 1.0
	v_fmac_f32_e32 v4, v5, v4
	v_mul_f32_e32 v5, v6, v4
	v_fma_f32 v7, -v3, v5, v6
	v_fmac_f32_e32 v5, v7, v4
	v_max_f32_e32 v7, v1, v1
	v_fma_f32 v3, -v3, v5, v6
	v_min_f32_e32 v6, 0x40e00000, v7
	v_div_fmas_f32 v3, v3, v4, v5
	v_max_f32_e32 v4, 0xc0e00000, v6
	v_div_fixup_f32 v0, v3, v2, v0
	v_add_f32_e32 v2, 1.0, v4
	v_mul_f32_e32 v0, v2, v0
.LBB12_27:
	s_cbranch_execz .LBB12_30
	s_branch .LBB12_31
.LBB12_28:
                                        ; implicit-def: $vgpr0
	s_branch .LBB12_32
.LBB12_29:
                                        ; implicit-def: $vgpr0
.LBB12_30:
	v_mul_f32_e32 v0, 0xbfb8aa3b, v11
	v_cmp_nlt_f32_e32 vcc_lo, 0x42ce8ed0, v11
	v_rndne_f32_e32 v2, v0
	v_fma_f32 v3, 0xbfb8aa3b, v11, -v0
	v_sub_f32_e32 v0, v0, v2
	v_fmamk_f32 v3, v11, 0xb2a5705f, v3
	v_cvt_i32_f32_e32 v2, v2
	v_add_f32_e32 v0, v0, v3
	v_exp_f32_e32 v0, v0
	v_ldexp_f32 v0, v0, v2
	v_cndmask_b32_e32 v0, 0, v0, vcc_lo
	v_cmp_ngt_f32_e32 vcc_lo, 0xc2b17218, v11
	v_cndmask_b32_e32 v0, 0x7f800000, v0, vcc_lo
	v_add_f32_e32 v0, 1.0, v0
	v_div_scale_f32 v2, null, v0, v0, v11
	v_rcp_f32_e32 v3, v2
	v_fma_f32 v4, -v2, v3, 1.0
	v_fmac_f32_e32 v3, v4, v3
	v_div_scale_f32 v4, vcc_lo, v11, v0, v11
	v_mul_f32_e32 v5, v4, v3
	v_fma_f32 v6, -v2, v5, v4
	v_fmac_f32_e32 v5, v6, v3
	v_fma_f32 v2, -v2, v5, v4
	v_div_fmas_f32 v2, v2, v3, v5
	v_div_fixup_f32 v0, v2, v0, v11
	v_mul_f32_e32 v0, v1, v0
.LBB12_31:
	s_cbranch_execnz .LBB12_39
.LBB12_32:
	s_cmp_eq_u32 s9, 1
	s_cbranch_scc0 .LBB12_38
; %bb.33:
	v_mul_f32_e32 v0, 0x3d372713, v11
	v_mul_f32_e32 v2, 0x3f4c422a, v11
	v_fma_f32 v0, v11, v0, 1.0
	v_mul_f32_e32 v0, v2, v0
                                        ; implicit-def: $vgpr2
	v_cmp_ngt_f32_e64 s1, 0x3f200000, |v0|
	s_and_saveexec_b32 s2, s1
	s_xor_b32 s1, exec_lo, s2
	s_cbranch_execz .LBB12_35
; %bb.34:
	v_add_f32_e64 v2, |v0|, |v0|
	v_mul_f32_e32 v3, 0x3fb8aa3b, v2
	v_cmp_ngt_f32_e32 vcc_lo, 0xc2ce8ed0, v2
	v_rndne_f32_e32 v4, v3
	v_fma_f32 v5, 0x3fb8aa3b, v2, -v3
	v_sub_f32_e32 v3, v3, v4
	v_fmamk_f32 v5, v2, 0x32a5705f, v5
	v_cvt_i32_f32_e32 v4, v4
	v_add_f32_e32 v3, v3, v5
	v_exp_f32_e32 v3, v3
	v_ldexp_f32 v3, v3, v4
	v_cndmask_b32_e32 v3, 0, v3, vcc_lo
	v_cmp_nlt_f32_e32 vcc_lo, 0x42b17218, v2
	v_cndmask_b32_e32 v2, 0x7f800000, v3, vcc_lo
	v_add_f32_e32 v2, 1.0, v2
	v_rcp_f32_e32 v2, v2
	v_fma_f32 v2, v2, -2.0, 1.0
.LBB12_35:
	s_andn2_saveexec_b32 s1, s1
	s_cbranch_execz .LBB12_37
; %bb.36:
	v_mul_f32_e32 v2, v0, v0
	s_mov_b32 s2, 0xbbbac73d
	v_fmaak_f32 v3, s2, v2, 0x3ca908c9
	v_fmaak_f32 v3, v2, v3, 0xbd5c1c4e
	;; [unrolled: 1-line block ×4, first 2 shown]
	v_mul_f32_e64 v3, |v0|, v3
	v_fma_f32 v2, v2, v3, |v0|
.LBB12_37:
	s_or_b32 exec_lo, exec_lo, s1
	v_bfi_b32 v0, 0x7fffffff, v2, v0
	v_mul_f32_e32 v2, 0.5, v11
	v_add_f32_e32 v0, 1.0, v0
	v_mul_f32_e32 v0, v2, v0
	v_mul_f32_e32 v1, v1, v0
.LBB12_38:
	v_mov_b32_e32 v0, v1
.LBB12_39:
	v_mov_b32_e32 v1, v0
.LBB12_40:
	s_load_dwordx2 s[2:3], s[4:5], 0x38
	s_mul_i32 s0, s30, s0
	s_mul_i32 s4, s18, s8
	s_ashr_i32 s1, s0, 31
	v_mov_b32_e32 v0, 0
	s_lshl_b64 s[0:1], s[0:1], 2
	s_waitcnt lgkmcnt(0)
	s_add_u32 s2, s2, s0
	s_addc_u32 s3, s3, s1
	s_ashr_i32 s5, s4, 31
	s_lshl_b64 s[0:1], s[4:5], 2
	s_add_u32 s2, s2, s0
	s_addc_u32 s3, s3, s1
	s_ashr_i32 s7, s6, 31
	s_lshl_b64 s[0:1], s[6:7], 2
	s_add_u32 s0, s2, s0
	s_addc_u32 s1, s3, s1
	global_store_dword v0, v1, s[0:1]
.LBB12_41:
	s_endpgm
	.section	.rodata,"a",@progbits
	.p2align	6, 0x0
	.amdhsa_kernel _ZL13mul_mat_vec_fIffLi1ELi224ELb1ELb1EEvPKT_PKfPKi31ggml_cuda_mm_fusion_args_devicePfi15HIP_vector_typeIjLj3EEiiiSA_iiiSA_iiii
		.amdhsa_group_segment_fixed_size 0
		.amdhsa_private_segment_fixed_size 0
		.amdhsa_kernarg_size 144
		.amdhsa_user_sgpr_count 6
		.amdhsa_user_sgpr_private_segment_buffer 1
		.amdhsa_user_sgpr_dispatch_ptr 0
		.amdhsa_user_sgpr_queue_ptr 0
		.amdhsa_user_sgpr_kernarg_segment_ptr 1
		.amdhsa_user_sgpr_dispatch_id 0
		.amdhsa_user_sgpr_flat_scratch_init 0
		.amdhsa_user_sgpr_private_segment_size 0
		.amdhsa_wavefront_size32 1
		.amdhsa_uses_dynamic_stack 0
		.amdhsa_system_sgpr_private_segment_wavefront_offset 0
		.amdhsa_system_sgpr_workgroup_id_x 1
		.amdhsa_system_sgpr_workgroup_id_y 1
		.amdhsa_system_sgpr_workgroup_id_z 1
		.amdhsa_system_sgpr_workgroup_info 0
		.amdhsa_system_vgpr_workitem_id 0
		.amdhsa_next_free_vgpr 17
		.amdhsa_next_free_sgpr 40
		.amdhsa_reserve_vcc 1
		.amdhsa_reserve_flat_scratch 0
		.amdhsa_float_round_mode_32 0
		.amdhsa_float_round_mode_16_64 0
		.amdhsa_float_denorm_mode_32 3
		.amdhsa_float_denorm_mode_16_64 3
		.amdhsa_dx10_clamp 1
		.amdhsa_ieee_mode 1
		.amdhsa_fp16_overflow 0
		.amdhsa_workgroup_processor_mode 1
		.amdhsa_memory_ordered 1
		.amdhsa_forward_progress 1
		.amdhsa_shared_vgpr_count 0
		.amdhsa_exception_fp_ieee_invalid_op 0
		.amdhsa_exception_fp_denorm_src 0
		.amdhsa_exception_fp_ieee_div_zero 0
		.amdhsa_exception_fp_ieee_overflow 0
		.amdhsa_exception_fp_ieee_underflow 0
		.amdhsa_exception_fp_ieee_inexact 0
		.amdhsa_exception_int_div_zero 0
	.end_amdhsa_kernel
	.section	.text._ZL13mul_mat_vec_fIffLi1ELi224ELb1ELb1EEvPKT_PKfPKi31ggml_cuda_mm_fusion_args_devicePfi15HIP_vector_typeIjLj3EEiiiSA_iiiSA_iiii,"axG",@progbits,_ZL13mul_mat_vec_fIffLi1ELi224ELb1ELb1EEvPKT_PKfPKi31ggml_cuda_mm_fusion_args_devicePfi15HIP_vector_typeIjLj3EEiiiSA_iiiSA_iiii,comdat
.Lfunc_end12:
	.size	_ZL13mul_mat_vec_fIffLi1ELi224ELb1ELb1EEvPKT_PKfPKi31ggml_cuda_mm_fusion_args_devicePfi15HIP_vector_typeIjLj3EEiiiSA_iiiSA_iiii, .Lfunc_end12-_ZL13mul_mat_vec_fIffLi1ELi224ELb1ELb1EEvPKT_PKfPKi31ggml_cuda_mm_fusion_args_devicePfi15HIP_vector_typeIjLj3EEiiiSA_iiiSA_iiii
                                        ; -- End function
	.set _ZL13mul_mat_vec_fIffLi1ELi224ELb1ELb1EEvPKT_PKfPKi31ggml_cuda_mm_fusion_args_devicePfi15HIP_vector_typeIjLj3EEiiiSA_iiiSA_iiii.num_vgpr, 17
	.set _ZL13mul_mat_vec_fIffLi1ELi224ELb1ELb1EEvPKT_PKfPKi31ggml_cuda_mm_fusion_args_devicePfi15HIP_vector_typeIjLj3EEiiiSA_iiiSA_iiii.num_agpr, 0
	.set _ZL13mul_mat_vec_fIffLi1ELi224ELb1ELb1EEvPKT_PKfPKi31ggml_cuda_mm_fusion_args_devicePfi15HIP_vector_typeIjLj3EEiiiSA_iiiSA_iiii.numbered_sgpr, 40
	.set _ZL13mul_mat_vec_fIffLi1ELi224ELb1ELb1EEvPKT_PKfPKi31ggml_cuda_mm_fusion_args_devicePfi15HIP_vector_typeIjLj3EEiiiSA_iiiSA_iiii.num_named_barrier, 0
	.set _ZL13mul_mat_vec_fIffLi1ELi224ELb1ELb1EEvPKT_PKfPKi31ggml_cuda_mm_fusion_args_devicePfi15HIP_vector_typeIjLj3EEiiiSA_iiiSA_iiii.private_seg_size, 0
	.set _ZL13mul_mat_vec_fIffLi1ELi224ELb1ELb1EEvPKT_PKfPKi31ggml_cuda_mm_fusion_args_devicePfi15HIP_vector_typeIjLj3EEiiiSA_iiiSA_iiii.uses_vcc, 1
	.set _ZL13mul_mat_vec_fIffLi1ELi224ELb1ELb1EEvPKT_PKfPKi31ggml_cuda_mm_fusion_args_devicePfi15HIP_vector_typeIjLj3EEiiiSA_iiiSA_iiii.uses_flat_scratch, 0
	.set _ZL13mul_mat_vec_fIffLi1ELi224ELb1ELb1EEvPKT_PKfPKi31ggml_cuda_mm_fusion_args_devicePfi15HIP_vector_typeIjLj3EEiiiSA_iiiSA_iiii.has_dyn_sized_stack, 0
	.set _ZL13mul_mat_vec_fIffLi1ELi224ELb1ELb1EEvPKT_PKfPKi31ggml_cuda_mm_fusion_args_devicePfi15HIP_vector_typeIjLj3EEiiiSA_iiiSA_iiii.has_recursion, 0
	.set _ZL13mul_mat_vec_fIffLi1ELi224ELb1ELb1EEvPKT_PKfPKi31ggml_cuda_mm_fusion_args_devicePfi15HIP_vector_typeIjLj3EEiiiSA_iiiSA_iiii.has_indirect_call, 0
	.section	.AMDGPU.csdata,"",@progbits
; Kernel info:
; codeLenInByte = 2192
; TotalNumSgprs: 42
; NumVgprs: 17
; ScratchSize: 0
; MemoryBound: 0
; FloatMode: 240
; IeeeMode: 1
; LDSByteSize: 0 bytes/workgroup (compile time only)
; SGPRBlocks: 0
; VGPRBlocks: 2
; NumSGPRsForWavesPerEU: 42
; NumVGPRsForWavesPerEU: 17
; Occupancy: 16
; WaveLimiterHint : 1
; COMPUTE_PGM_RSRC2:SCRATCH_EN: 0
; COMPUTE_PGM_RSRC2:USER_SGPR: 6
; COMPUTE_PGM_RSRC2:TRAP_HANDLER: 0
; COMPUTE_PGM_RSRC2:TGID_X_EN: 1
; COMPUTE_PGM_RSRC2:TGID_Y_EN: 1
; COMPUTE_PGM_RSRC2:TGID_Z_EN: 1
; COMPUTE_PGM_RSRC2:TIDIG_COMP_CNT: 0
	.section	.text._ZL13mul_mat_vec_fIffLi1ELi224ELb0ELb1EEvPKT_PKfPKi31ggml_cuda_mm_fusion_args_devicePfi15HIP_vector_typeIjLj3EEiiiSA_iiiSA_iiii,"axG",@progbits,_ZL13mul_mat_vec_fIffLi1ELi224ELb0ELb1EEvPKT_PKfPKi31ggml_cuda_mm_fusion_args_devicePfi15HIP_vector_typeIjLj3EEiiiSA_iiiSA_iiii,comdat
	.globl	_ZL13mul_mat_vec_fIffLi1ELi224ELb0ELb1EEvPKT_PKfPKi31ggml_cuda_mm_fusion_args_devicePfi15HIP_vector_typeIjLj3EEiiiSA_iiiSA_iiii ; -- Begin function _ZL13mul_mat_vec_fIffLi1ELi224ELb0ELb1EEvPKT_PKfPKi31ggml_cuda_mm_fusion_args_devicePfi15HIP_vector_typeIjLj3EEiiiSA_iiiSA_iiii
	.p2align	8
	.type	_ZL13mul_mat_vec_fIffLi1ELi224ELb0ELb1EEvPKT_PKfPKi31ggml_cuda_mm_fusion_args_devicePfi15HIP_vector_typeIjLj3EEiiiSA_iiiSA_iiii,@function
_ZL13mul_mat_vec_fIffLi1ELi224ELb0ELb1EEvPKT_PKfPKi31ggml_cuda_mm_fusion_args_devicePfi15HIP_vector_typeIjLj3EEiiiSA_iiiSA_iiii: ; @_ZL13mul_mat_vec_fIffLi1ELi224ELb0ELb1EEvPKT_PKfPKi31ggml_cuda_mm_fusion_args_devicePfi15HIP_vector_typeIjLj3EEiiiSA_iiiSA_iiii
; %bb.0:
	s_clause 0x2
	s_load_dword s2, s[4:5], 0x8c
	s_load_dwordx2 s[0:1], s[4:5], 0x10
	s_load_dwordx8 s[12:19], s[4:5], 0x40
	v_cmp_gt_u32_e32 vcc_lo, 32, v0
	v_lshl_add_u32 v5, v0, 2, 0
	s_waitcnt lgkmcnt(0)
	s_mul_i32 s2, s2, s8
	s_add_i32 s2, s2, s7
	s_ashr_i32 s3, s2, 31
	s_lshl_b64 s[2:3], s[2:3], 2
	s_add_u32 s2, s0, s2
	s_addc_u32 s3, s1, s3
	s_and_saveexec_b32 s0, vcc_lo
; %bb.1:
	v_mov_b32_e32 v1, 0
	ds_write_b32 v5, v1
; %bb.2:
	s_or_b32 exec_lo, exec_lo, s0
	s_load_dwordx4 s[20:23], s[4:5], 0x68
	v_mov_b32_e32 v6, 0
	s_mov_b32 s9, exec_lo
	s_waitcnt lgkmcnt(0)
	s_barrier
	buffer_gl0_inv
	v_cmpx_gt_i32_e64 s12, v0
	s_cbranch_execz .LBB13_6
; %bb.3:
	s_load_dword s19, s[2:3], 0x0
	s_load_dwordx4 s[0:3], s[4:5], 0x0
	s_mul_hi_u32 s11, s13, s7
	s_mul_i32 s13, s8, s17
	s_add_i32 s17, s7, s11
	s_mul_i32 s10, s16, s6
	s_lshl_b32 s16, s13, 1
	s_lshr_b32 s13, s17, s14
	s_ashr_i32 s11, s10, 31
	s_mul_i32 s13, s13, s15
	s_ashr_i32 s17, s16, 31
	s_sub_i32 s13, s7, s13
	s_lshl_b64 s[10:11], s[10:11], 2
	v_lshlrev_b32_e32 v1, 3, v0
	v_mov_b32_e32 v6, 0
	s_waitcnt lgkmcnt(0)
	s_mul_i32 s14, s19, s20
	s_mul_i32 s20, s13, s21
	s_ashr_i32 s15, s14, 31
	s_ashr_i32 s21, s20, 31
	s_lshl_b64 s[14:15], s[14:15], 2
	s_add_u32 s0, s0, s14
	s_addc_u32 s1, s1, s15
	s_add_u32 s13, s0, s10
	s_addc_u32 s14, s1, s11
	s_lshl_b64 s[10:11], s[20:21], 2
	s_lshl_b64 s[0:1], s[16:17], 2
	s_add_u32 s2, s2, s10
	s_addc_u32 s3, s3, s11
	v_add_co_u32 v2, s13, s13, v1
	s_add_u32 s0, s2, s0
	v_add_co_ci_u32_e64 v3, null, s14, 0, s13
	s_addc_u32 s1, s3, s1
	v_add_co_u32 v4, s0, s0, v1
	v_add_co_ci_u32_e64 v7, null, s1, 0, s0
	v_add_co_u32 v1, s0, v2, 4
	v_add_co_ci_u32_e64 v2, null, 0, v3, s0
	v_add_co_u32 v3, s0, v4, 4
	v_add_co_ci_u32_e64 v4, null, 0, v7, s0
	v_mov_b32_e32 v7, v0
	s_mov_b32 s2, 0
	.p2align	6
.LBB13_4:                               ; =>This Inner Loop Header: Depth=1
	global_load_dwordx2 v[8:9], v[1:2], off offset:-4
	global_load_dwordx2 v[10:11], v[3:4], off offset:-4
	v_add_nc_u32_e32 v7, 0xe0, v7
	v_add_co_u32 v1, s0, 0x700, v1
	v_add_co_ci_u32_e64 v2, null, 0, v2, s0
	v_add_co_u32 v3, s0, 0x700, v3
	v_cmp_le_i32_e64 s1, s12, v7
	v_add_co_ci_u32_e64 v4, null, 0, v4, s0
	s_or_b32 s2, s1, s2
	s_waitcnt vmcnt(0)
	v_fmac_f32_e32 v6, v8, v10
	v_fmac_f32_e32 v6, v9, v11
	s_andn2_b32 exec_lo, exec_lo, s2
	s_cbranch_execnz .LBB13_4
; %bb.5:
	s_or_b32 exec_lo, exec_lo, s2
.LBB13_6:
	s_or_b32 exec_lo, exec_lo, s9
	v_mbcnt_lo_u32_b32 v2, -1, 0
	v_xor_b32_e32 v1, 16, v2
	v_xor_b32_e32 v3, 8, v2
	v_cmp_gt_i32_e64 s0, 32, v1
	v_cndmask_b32_e64 v1, v2, v1, s0
	v_cmp_gt_i32_e64 s0, 32, v3
	v_lshlrev_b32_e32 v1, 2, v1
	v_cndmask_b32_e64 v3, v2, v3, s0
	ds_bpermute_b32 v4, v1, v6
	v_lshlrev_b32_e32 v3, 2, v3
	s_waitcnt lgkmcnt(0)
	v_add_f32_e32 v6, v6, v4
	v_xor_b32_e32 v4, 4, v2
	ds_bpermute_b32 v7, v3, v6
	v_cmp_gt_i32_e64 s0, 32, v4
	v_cndmask_b32_e64 v4, v2, v4, s0
	v_lshlrev_b32_e32 v4, 2, v4
	s_waitcnt lgkmcnt(0)
	v_add_f32_e32 v7, v6, v7
	v_xor_b32_e32 v6, 2, v2
	ds_bpermute_b32 v8, v4, v7
	v_cmp_gt_i32_e64 s0, 32, v6
	v_cndmask_b32_e64 v6, v2, v6, s0
	;; [unrolled: 7-line block ×3, first 2 shown]
	v_lshlrev_b32_e32 v7, 2, v2
	s_waitcnt lgkmcnt(0)
	v_add_f32_e32 v2, v8, v9
	v_lshrrev_b32_e32 v9, 3, v0
	ds_bpermute_b32 v8, v7, v2
	v_and_b32_e32 v9, 0x7c, v9
	v_add_nc_u32_e32 v9, 0, v9
	s_waitcnt lgkmcnt(0)
	v_add_f32_e32 v2, v2, v8
	ds_write_b32 v9, v2
	s_waitcnt lgkmcnt(0)
	s_barrier
	buffer_gl0_inv
	s_and_saveexec_b32 s0, vcc_lo
	s_cbranch_execz .LBB13_8
; %bb.7:
	ds_read_b32 v2, v5
	s_waitcnt lgkmcnt(0)
	ds_bpermute_b32 v1, v1, v2
	s_waitcnt lgkmcnt(0)
	v_add_f32_e32 v1, v2, v1
	ds_bpermute_b32 v2, v3, v1
	s_waitcnt lgkmcnt(0)
	v_add_f32_e32 v1, v1, v2
	;; [unrolled: 3-line block ×5, first 2 shown]
.LBB13_8:
	s_or_b32 exec_lo, exec_lo, s0
	s_barrier
	buffer_gl0_inv
	s_mov_b32 s0, exec_lo
	v_cmpx_eq_u32_e32 0, v0
	s_cbranch_execz .LBB13_10
; %bb.9:
	s_load_dwordx2 s[0:1], s[4:5], 0x38
	s_mul_i32 s2, s22, s7
	s_mul_i32 s4, s18, s8
	s_ashr_i32 s3, s2, 31
	v_mov_b32_e32 v0, 0
	s_lshl_b64 s[2:3], s[2:3], 2
	s_waitcnt lgkmcnt(0)
	s_add_u32 s2, s0, s2
	s_addc_u32 s3, s1, s3
	s_ashr_i32 s5, s4, 31
	s_lshl_b64 s[0:1], s[4:5], 2
	s_add_u32 s2, s2, s0
	s_addc_u32 s3, s3, s1
	s_ashr_i32 s7, s6, 31
	s_lshl_b64 s[0:1], s[6:7], 2
	s_add_u32 s0, s2, s0
	s_addc_u32 s1, s3, s1
	global_store_dword v0, v2, s[0:1]
.LBB13_10:
	s_endpgm
	.section	.rodata,"a",@progbits
	.p2align	6, 0x0
	.amdhsa_kernel _ZL13mul_mat_vec_fIffLi1ELi224ELb0ELb1EEvPKT_PKfPKi31ggml_cuda_mm_fusion_args_devicePfi15HIP_vector_typeIjLj3EEiiiSA_iiiSA_iiii
		.amdhsa_group_segment_fixed_size 0
		.amdhsa_private_segment_fixed_size 0
		.amdhsa_kernarg_size 144
		.amdhsa_user_sgpr_count 6
		.amdhsa_user_sgpr_private_segment_buffer 1
		.amdhsa_user_sgpr_dispatch_ptr 0
		.amdhsa_user_sgpr_queue_ptr 0
		.amdhsa_user_sgpr_kernarg_segment_ptr 1
		.amdhsa_user_sgpr_dispatch_id 0
		.amdhsa_user_sgpr_flat_scratch_init 0
		.amdhsa_user_sgpr_private_segment_size 0
		.amdhsa_wavefront_size32 1
		.amdhsa_uses_dynamic_stack 0
		.amdhsa_system_sgpr_private_segment_wavefront_offset 0
		.amdhsa_system_sgpr_workgroup_id_x 1
		.amdhsa_system_sgpr_workgroup_id_y 1
		.amdhsa_system_sgpr_workgroup_id_z 1
		.amdhsa_system_sgpr_workgroup_info 0
		.amdhsa_system_vgpr_workitem_id 0
		.amdhsa_next_free_vgpr 12
		.amdhsa_next_free_sgpr 24
		.amdhsa_reserve_vcc 1
		.amdhsa_reserve_flat_scratch 0
		.amdhsa_float_round_mode_32 0
		.amdhsa_float_round_mode_16_64 0
		.amdhsa_float_denorm_mode_32 3
		.amdhsa_float_denorm_mode_16_64 3
		.amdhsa_dx10_clamp 1
		.amdhsa_ieee_mode 1
		.amdhsa_fp16_overflow 0
		.amdhsa_workgroup_processor_mode 1
		.amdhsa_memory_ordered 1
		.amdhsa_forward_progress 1
		.amdhsa_shared_vgpr_count 0
		.amdhsa_exception_fp_ieee_invalid_op 0
		.amdhsa_exception_fp_denorm_src 0
		.amdhsa_exception_fp_ieee_div_zero 0
		.amdhsa_exception_fp_ieee_overflow 0
		.amdhsa_exception_fp_ieee_underflow 0
		.amdhsa_exception_fp_ieee_inexact 0
		.amdhsa_exception_int_div_zero 0
	.end_amdhsa_kernel
	.section	.text._ZL13mul_mat_vec_fIffLi1ELi224ELb0ELb1EEvPKT_PKfPKi31ggml_cuda_mm_fusion_args_devicePfi15HIP_vector_typeIjLj3EEiiiSA_iiiSA_iiii,"axG",@progbits,_ZL13mul_mat_vec_fIffLi1ELi224ELb0ELb1EEvPKT_PKfPKi31ggml_cuda_mm_fusion_args_devicePfi15HIP_vector_typeIjLj3EEiiiSA_iiiSA_iiii,comdat
.Lfunc_end13:
	.size	_ZL13mul_mat_vec_fIffLi1ELi224ELb0ELb1EEvPKT_PKfPKi31ggml_cuda_mm_fusion_args_devicePfi15HIP_vector_typeIjLj3EEiiiSA_iiiSA_iiii, .Lfunc_end13-_ZL13mul_mat_vec_fIffLi1ELi224ELb0ELb1EEvPKT_PKfPKi31ggml_cuda_mm_fusion_args_devicePfi15HIP_vector_typeIjLj3EEiiiSA_iiiSA_iiii
                                        ; -- End function
	.set _ZL13mul_mat_vec_fIffLi1ELi224ELb0ELb1EEvPKT_PKfPKi31ggml_cuda_mm_fusion_args_devicePfi15HIP_vector_typeIjLj3EEiiiSA_iiiSA_iiii.num_vgpr, 12
	.set _ZL13mul_mat_vec_fIffLi1ELi224ELb0ELb1EEvPKT_PKfPKi31ggml_cuda_mm_fusion_args_devicePfi15HIP_vector_typeIjLj3EEiiiSA_iiiSA_iiii.num_agpr, 0
	.set _ZL13mul_mat_vec_fIffLi1ELi224ELb0ELb1EEvPKT_PKfPKi31ggml_cuda_mm_fusion_args_devicePfi15HIP_vector_typeIjLj3EEiiiSA_iiiSA_iiii.numbered_sgpr, 24
	.set _ZL13mul_mat_vec_fIffLi1ELi224ELb0ELb1EEvPKT_PKfPKi31ggml_cuda_mm_fusion_args_devicePfi15HIP_vector_typeIjLj3EEiiiSA_iiiSA_iiii.num_named_barrier, 0
	.set _ZL13mul_mat_vec_fIffLi1ELi224ELb0ELb1EEvPKT_PKfPKi31ggml_cuda_mm_fusion_args_devicePfi15HIP_vector_typeIjLj3EEiiiSA_iiiSA_iiii.private_seg_size, 0
	.set _ZL13mul_mat_vec_fIffLi1ELi224ELb0ELb1EEvPKT_PKfPKi31ggml_cuda_mm_fusion_args_devicePfi15HIP_vector_typeIjLj3EEiiiSA_iiiSA_iiii.uses_vcc, 1
	.set _ZL13mul_mat_vec_fIffLi1ELi224ELb0ELb1EEvPKT_PKfPKi31ggml_cuda_mm_fusion_args_devicePfi15HIP_vector_typeIjLj3EEiiiSA_iiiSA_iiii.uses_flat_scratch, 0
	.set _ZL13mul_mat_vec_fIffLi1ELi224ELb0ELb1EEvPKT_PKfPKi31ggml_cuda_mm_fusion_args_devicePfi15HIP_vector_typeIjLj3EEiiiSA_iiiSA_iiii.has_dyn_sized_stack, 0
	.set _ZL13mul_mat_vec_fIffLi1ELi224ELb0ELb1EEvPKT_PKfPKi31ggml_cuda_mm_fusion_args_devicePfi15HIP_vector_typeIjLj3EEiiiSA_iiiSA_iiii.has_recursion, 0
	.set _ZL13mul_mat_vec_fIffLi1ELi224ELb0ELb1EEvPKT_PKfPKi31ggml_cuda_mm_fusion_args_devicePfi15HIP_vector_typeIjLj3EEiiiSA_iiiSA_iiii.has_indirect_call, 0
	.section	.AMDGPU.csdata,"",@progbits
; Kernel info:
; codeLenInByte = 948
; TotalNumSgprs: 26
; NumVgprs: 12
; ScratchSize: 0
; MemoryBound: 0
; FloatMode: 240
; IeeeMode: 1
; LDSByteSize: 0 bytes/workgroup (compile time only)
; SGPRBlocks: 0
; VGPRBlocks: 1
; NumSGPRsForWavesPerEU: 26
; NumVGPRsForWavesPerEU: 12
; Occupancy: 16
; WaveLimiterHint : 1
; COMPUTE_PGM_RSRC2:SCRATCH_EN: 0
; COMPUTE_PGM_RSRC2:USER_SGPR: 6
; COMPUTE_PGM_RSRC2:TRAP_HANDLER: 0
; COMPUTE_PGM_RSRC2:TGID_X_EN: 1
; COMPUTE_PGM_RSRC2:TGID_Y_EN: 1
; COMPUTE_PGM_RSRC2:TGID_Z_EN: 1
; COMPUTE_PGM_RSRC2:TIDIG_COMP_CNT: 0
	.section	.text._ZL13mul_mat_vec_fIffLi1ELi256ELb1ELb1EEvPKT_PKfPKi31ggml_cuda_mm_fusion_args_devicePfi15HIP_vector_typeIjLj3EEiiiSA_iiiSA_iiii,"axG",@progbits,_ZL13mul_mat_vec_fIffLi1ELi256ELb1ELb1EEvPKT_PKfPKi31ggml_cuda_mm_fusion_args_devicePfi15HIP_vector_typeIjLj3EEiiiSA_iiiSA_iiii,comdat
	.globl	_ZL13mul_mat_vec_fIffLi1ELi256ELb1ELb1EEvPKT_PKfPKi31ggml_cuda_mm_fusion_args_devicePfi15HIP_vector_typeIjLj3EEiiiSA_iiiSA_iiii ; -- Begin function _ZL13mul_mat_vec_fIffLi1ELi256ELb1ELb1EEvPKT_PKfPKi31ggml_cuda_mm_fusion_args_devicePfi15HIP_vector_typeIjLj3EEiiiSA_iiiSA_iiii
	.p2align	8
	.type	_ZL13mul_mat_vec_fIffLi1ELi256ELb1ELb1EEvPKT_PKfPKi31ggml_cuda_mm_fusion_args_devicePfi15HIP_vector_typeIjLj3EEiiiSA_iiiSA_iiii,@function
_ZL13mul_mat_vec_fIffLi1ELi256ELb1ELb1EEvPKT_PKfPKi31ggml_cuda_mm_fusion_args_devicePfi15HIP_vector_typeIjLj3EEiiiSA_iiiSA_iiii: ; @_ZL13mul_mat_vec_fIffLi1ELi256ELb1ELb1EEvPKT_PKfPKi31ggml_cuda_mm_fusion_args_devicePfi15HIP_vector_typeIjLj3EEiiiSA_iiiSA_iiii
; %bb.0:
	s_clause 0x3
	s_load_dword s1, s[4:5], 0x8c
	s_load_dwordx8 s[20:27], s[4:5], 0x0
	s_load_dwordx4 s[36:39], s[4:5], 0x20
	s_load_dwordx8 s[12:19], s[4:5], 0x40
	v_lshl_add_u32 v12, v0, 2, 0
	s_mov_b32 s0, s7
	s_waitcnt lgkmcnt(0)
	s_mul_i32 s1, s1, s8
	s_add_i32 s2, s1, s7
	s_ashr_i32 s3, s2, 31
	s_lshl_b64 s[2:3], s[2:3], 2
	s_add_u32 s10, s24, s2
	s_addc_u32 s11, s25, s3
	s_cmp_lg_u64 s[36:37], 0
	v_cmp_gt_u32_e64 s2, 32, v0
	s_cselect_b32 s1, -1, 0
	s_cmp_eq_u64 s[36:37], 0
	s_cselect_b32 s19, -1, 0
	s_and_saveexec_b32 s3, s2
	s_cbranch_execz .LBB14_3
; %bb.1:
	v_mov_b32_e32 v1, 0
	s_andn2_b32 vcc_lo, exec_lo, s1
	ds_write_b32 v12, v1
	s_cbranch_vccnz .LBB14_3
; %bb.2:
	ds_write_b32 v12, v1 offset:128
.LBB14_3:
	s_or_b32 exec_lo, exec_lo, s3
	s_load_dword s7, s[10:11], 0x0
	s_load_dwordx4 s[28:31], s[4:5], 0x68
	v_mov_b32_e32 v11, 0
	v_mov_b32_e32 v13, 0
	s_mov_b32 s9, exec_lo
	s_waitcnt lgkmcnt(0)
	s_barrier
	buffer_gl0_inv
	v_cmpx_gt_i32_e64 s12, v0
	s_cbranch_execz .LBB14_9
; %bb.4:
	s_mul_hi_u32 s3, s13, s0
	s_mul_i32 s10, s7, s28
	s_add_i32 s3, s0, s3
	s_mul_i32 s11, s16, s6
	s_lshr_b32 s3, s3, s14
	s_ashr_i32 s13, s10, 31
	s_mul_i32 s3, s3, s15
	s_ashr_i32 s14, s11, 31
	s_sub_i32 s3, s0, s3
	s_add_u32 s10, s10, s11
	s_addc_u32 s11, s13, s14
	s_mul_i32 s13, s8, s17
	s_mul_i32 s14, s3, s29
	s_lshl_b32 s16, s13, 1
	s_ashr_i32 s15, s14, 31
	s_ashr_i32 s17, s16, 31
	s_and_b32 s3, s1, exec_lo
	s_cselect_b32 s29, s11, 0
	s_cselect_b32 s28, s10, 0
	v_lshlrev_b32_e32 v3, 3, v0
	s_cselect_b32 s3, s37, 0
	s_cselect_b32 s13, s36, 0
	s_lshl_b64 s[28:29], s[28:29], 2
	v_mov_b32_e32 v11, 0
	s_add_u32 s13, s13, s28
	s_addc_u32 s3, s3, s29
	v_add_co_u32 v1, s13, s13, v3
	s_lshl_b64 s[14:15], s[14:15], 2
	s_lshl_b64 s[16:17], s[16:17], 2
	v_add_co_ci_u32_e64 v2, null, s3, 0, s13
	s_add_u32 s3, s22, s14
	s_addc_u32 s13, s23, s15
	s_add_u32 s3, s3, s16
	s_addc_u32 s13, s13, s17
	s_lshl_b64 s[10:11], s[10:11], 2
	v_add_co_u32 v4, s3, s3, v3
	v_add_co_ci_u32_e64 v5, null, s13, 0, s3
	s_add_u32 s3, s20, s10
	s_addc_u32 s10, s21, s11
	v_add_co_u32 v6, s3, s3, v3
	v_add_co_u32 v1, vcc_lo, v1, 4
	v_add_co_ci_u32_e64 v7, null, s10, 0, s3
	v_add_co_ci_u32_e64 v2, null, 0, v2, vcc_lo
	v_add_co_u32 v3, vcc_lo, v4, 4
	v_add_co_ci_u32_e64 v4, null, 0, v5, vcc_lo
	v_add_co_u32 v5, vcc_lo, v6, 4
	v_add_co_ci_u32_e64 v6, null, 0, v7, vcc_lo
	v_mov_b32_e32 v14, v0
	v_mov_b32_e32 v13, 0
	s_mov_b32 s10, 0
	s_inst_prefetch 0x1
	s_branch .LBB14_6
	.p2align	6
.LBB14_5:                               ;   in Loop: Header=BB14_6 Depth=1
	global_load_dwordx2 v[15:16], v[3:4], off offset:-4
	v_add_nc_u32_e32 v14, 0x100, v14
	v_add_co_u32 v1, vcc_lo, 0x800, v1
	v_add_co_ci_u32_e64 v2, null, 0, v2, vcc_lo
	v_add_co_u32 v3, vcc_lo, 0x800, v3
	v_add_co_ci_u32_e64 v4, null, 0, v4, vcc_lo
	v_cmp_le_i32_e32 vcc_lo, s12, v14
	v_add_co_u32 v5, s3, 0x800, v5
	v_add_co_ci_u32_e64 v6, null, 0, v6, s3
	s_or_b32 s10, vcc_lo, s10
	s_waitcnt vmcnt(0)
	v_fma_f32 v9, v9, v15, v11
	v_fmac_f32_e32 v13, v7, v15
	v_fmac_f32_e32 v9, v10, v16
	;; [unrolled: 1-line block ×3, first 2 shown]
	v_cndmask_b32_e64 v11, v11, v9, s1
	s_andn2_b32 exec_lo, exec_lo, s10
	s_cbranch_execz .LBB14_8
.LBB14_6:                               ; =>This Inner Loop Header: Depth=1
	global_load_dwordx2 v[7:8], v[5:6], off offset:-4
	v_mov_b32_e32 v10, 0
	v_mov_b32_e32 v9, 0
	s_andn2_b32 vcc_lo, exec_lo, s1
	s_cbranch_vccnz .LBB14_5
; %bb.7:                                ;   in Loop: Header=BB14_6 Depth=1
	global_load_dwordx2 v[9:10], v[1:2], off offset:-4
	s_branch .LBB14_5
.LBB14_8:
	s_inst_prefetch 0x2
	s_or_b32 exec_lo, exec_lo, s10
.LBB14_9:
	s_or_b32 exec_lo, exec_lo, s9
	v_mbcnt_lo_u32_b32 v1, -1, 0
	s_load_dword s9, s[4:5], 0x30
	s_mov_b32 s3, -1
	v_xor_b32_e32 v2, 16, v1
	v_xor_b32_e32 v3, 8, v1
	v_cmp_gt_i32_e32 vcc_lo, 32, v2
	v_cndmask_b32_e32 v2, v1, v2, vcc_lo
	v_cmp_gt_i32_e32 vcc_lo, 32, v3
	v_lshlrev_b32_e32 v2, 2, v2
	v_cndmask_b32_e32 v3, v1, v3, vcc_lo
	ds_bpermute_b32 v4, v2, v13
	v_lshlrev_b32_e32 v3, 2, v3
	s_waitcnt lgkmcnt(0)
	v_add_f32_e32 v5, v13, v4
	v_xor_b32_e32 v4, 4, v1
	ds_bpermute_b32 v6, v3, v5
	v_cmp_gt_i32_e32 vcc_lo, 32, v4
	v_cndmask_b32_e32 v4, v1, v4, vcc_lo
	v_lshlrev_b32_e32 v4, 2, v4
	s_waitcnt lgkmcnt(0)
	v_add_f32_e32 v6, v5, v6
	v_xor_b32_e32 v5, 2, v1
	ds_bpermute_b32 v7, v4, v6
	v_cmp_gt_i32_e32 vcc_lo, 32, v5
	v_cndmask_b32_e32 v5, v1, v5, vcc_lo
	;; [unrolled: 7-line block ×3, first 2 shown]
	s_and_b32 vcc_lo, exec_lo, s19
	v_lshlrev_b32_e32 v6, 2, v1
	s_waitcnt lgkmcnt(0)
	v_add_f32_e32 v1, v7, v8
	v_lshrrev_b32_e32 v8, 5, v0
	ds_bpermute_b32 v7, v6, v1
	s_waitcnt lgkmcnt(0)
	v_add_f32_e32 v1, v1, v7
	v_lshl_add_u32 v7, v8, 2, 0
	s_cbranch_vccz .LBB14_11
; %bb.10:
	s_mov_b32 s3, 0
	ds_write_b32 v7, v1
.LBB14_11:
	s_andn2_b32 vcc_lo, exec_lo, s3
	s_cbranch_vccnz .LBB14_13
; %bb.12:
	ds_bpermute_b32 v8, v2, v11
	s_waitcnt lgkmcnt(0)
	v_add_f32_e32 v8, v11, v8
	ds_bpermute_b32 v9, v3, v8
	s_waitcnt lgkmcnt(0)
	v_add_f32_e32 v8, v8, v9
	;; [unrolled: 3-line block ×5, first 2 shown]
	ds_write2_b32 v7, v1, v11 offset1:32
.LBB14_13:
	s_waitcnt lgkmcnt(0)
	s_barrier
	buffer_gl0_inv
	s_and_saveexec_b32 s3, s2
	s_cbranch_execz .LBB14_17
; %bb.14:
	ds_read_b32 v1, v12
	s_andn2_b32 vcc_lo, exec_lo, s1
	s_waitcnt lgkmcnt(0)
	ds_bpermute_b32 v7, v2, v1
	s_waitcnt lgkmcnt(0)
	v_add_f32_e32 v1, v1, v7
	ds_bpermute_b32 v7, v3, v1
	s_waitcnt lgkmcnt(0)
	v_add_f32_e32 v1, v1, v7
	;; [unrolled: 3-line block ×4, first 2 shown]
	ds_bpermute_b32 v7, v6, v1
	s_cbranch_vccnz .LBB14_16
; %bb.15:
	ds_read_b32 v8, v12 offset:128
	s_waitcnt lgkmcnt(0)
	ds_bpermute_b32 v2, v2, v8
	s_waitcnt lgkmcnt(0)
	v_add_f32_e32 v2, v8, v2
	ds_bpermute_b32 v3, v3, v2
	s_waitcnt lgkmcnt(0)
	v_add_f32_e32 v2, v2, v3
	;; [unrolled: 3-line block ×5, first 2 shown]
.LBB14_16:
	s_waitcnt lgkmcnt(0)
	v_add_f32_e32 v1, v1, v7
.LBB14_17:
	s_or_b32 exec_lo, exec_lo, s3
	s_barrier
	buffer_gl0_inv
	s_mov_b32 s2, exec_lo
	v_cmpx_eq_u32_e32 0, v0
	s_cbranch_execz .LBB14_41
; %bb.18:
	s_cmp_eq_u64 s[26:27], 0
	s_cselect_b32 s10, -1, 0
	s_cmp_eq_u64 s[24:25], 0
	s_cselect_b32 s2, s0, s7
	s_mul_i32 s2, s2, s30
	s_ashr_i32 s3, s2, 31
	s_and_b32 vcc_lo, exec_lo, s10
	s_cbranch_vccnz .LBB14_20
; %bb.19:
	s_cselect_b32 s7, 0, s27
	s_cselect_b32 s12, 0, s26
	s_lshl_b64 s[10:11], s[2:3], 2
	s_add_u32 s12, s12, s10
	s_addc_u32 s13, s7, s11
	s_ashr_i32 s7, s6, 31
	s_lshl_b64 s[10:11], s[6:7], 2
	s_add_u32 s10, s12, s10
	s_addc_u32 s11, s13, s11
	s_load_dword s7, s[10:11], 0x0
	s_waitcnt lgkmcnt(0)
	v_add_f32_e32 v1, s7, v1
.LBB14_20:
	s_andn2_b32 vcc_lo, exec_lo, s1
	s_cbranch_vccnz .LBB14_40
; %bb.21:
	s_cmp_lg_u64 s[38:39], 0
	s_cselect_b32 s7, -1, 0
	s_and_b32 s1, s7, s1
	s_andn2_b32 vcc_lo, exec_lo, s1
	s_cbranch_vccnz .LBB14_23
; %bb.22:
	s_and_b32 s7, s7, exec_lo
	s_cselect_b32 s7, s39, 0
	s_cselect_b32 s10, s38, 0
	s_and_b32 s1, s1, exec_lo
	s_cselect_b32 s3, s3, 0
	s_cselect_b32 s2, s2, 0
	s_lshl_b64 s[2:3], s[2:3], 2
	s_add_u32 s1, s10, s2
	s_addc_u32 s10, s7, s3
	s_ashr_i32 s7, s6, 31
	s_lshl_b64 s[2:3], s[6:7], 2
	s_add_u32 s2, s1, s2
	s_addc_u32 s3, s10, s3
	s_load_dword s1, s[2:3], 0x0
	s_waitcnt lgkmcnt(0)
	v_add_f32_e32 v11, s1, v11
.LBB14_23:
	s_cmp_lt_i32 s9, 2
	s_cbranch_scc1 .LBB14_28
; %bb.24:
	s_cmp_lt_i32 s9, 3
	s_cbranch_scc1 .LBB14_29
; %bb.25:
	v_mov_b32_e32 v0, v1
	s_cmp_eq_u32 s9, 3
	s_cbranch_scc0 .LBB14_27
; %bb.26:
	v_max_f32_e32 v0, v11, v11
	v_min_f32_e32 v0, 0x40e00000, v0
	v_mul_f32_e32 v2, 0xbfd9db23, v0
	v_mul_f32_e32 v3, 0x3fb8aa3b, v2
	v_cmp_ngt_f32_e32 vcc_lo, 0xc2ce8ed0, v2
	v_fma_f32 v4, 0x3fb8aa3b, v2, -v3
	v_rndne_f32_e32 v5, v3
	v_fmamk_f32 v4, v2, 0x32a5705f, v4
	v_sub_f32_e32 v3, v3, v5
	v_add_f32_e32 v3, v3, v4
	v_cvt_i32_f32_e32 v4, v5
	v_exp_f32_e32 v3, v3
	v_ldexp_f32 v3, v3, v4
	v_cndmask_b32_e32 v3, 0, v3, vcc_lo
	v_cmp_nlt_f32_e32 vcc_lo, 0x42b17218, v2
	v_cndmask_b32_e32 v2, 0x7f800000, v3, vcc_lo
	v_add_f32_e32 v2, 1.0, v2
	v_div_scale_f32 v3, null, v2, v2, v0
	v_div_scale_f32 v6, vcc_lo, v0, v2, v0
	v_rcp_f32_e32 v4, v3
	v_fma_f32 v5, -v3, v4, 1.0
	v_fmac_f32_e32 v4, v5, v4
	v_mul_f32_e32 v5, v6, v4
	v_fma_f32 v7, -v3, v5, v6
	v_fmac_f32_e32 v5, v7, v4
	v_max_f32_e32 v7, v1, v1
	v_fma_f32 v3, -v3, v5, v6
	v_min_f32_e32 v6, 0x40e00000, v7
	v_div_fmas_f32 v3, v3, v4, v5
	v_max_f32_e32 v4, 0xc0e00000, v6
	v_div_fixup_f32 v0, v3, v2, v0
	v_add_f32_e32 v2, 1.0, v4
	v_mul_f32_e32 v0, v2, v0
.LBB14_27:
	s_cbranch_execz .LBB14_30
	s_branch .LBB14_31
.LBB14_28:
                                        ; implicit-def: $vgpr0
	s_branch .LBB14_32
.LBB14_29:
                                        ; implicit-def: $vgpr0
.LBB14_30:
	v_mul_f32_e32 v0, 0xbfb8aa3b, v11
	v_cmp_nlt_f32_e32 vcc_lo, 0x42ce8ed0, v11
	v_rndne_f32_e32 v2, v0
	v_fma_f32 v3, 0xbfb8aa3b, v11, -v0
	v_sub_f32_e32 v0, v0, v2
	v_fmamk_f32 v3, v11, 0xb2a5705f, v3
	v_cvt_i32_f32_e32 v2, v2
	v_add_f32_e32 v0, v0, v3
	v_exp_f32_e32 v0, v0
	v_ldexp_f32 v0, v0, v2
	v_cndmask_b32_e32 v0, 0, v0, vcc_lo
	v_cmp_ngt_f32_e32 vcc_lo, 0xc2b17218, v11
	v_cndmask_b32_e32 v0, 0x7f800000, v0, vcc_lo
	v_add_f32_e32 v0, 1.0, v0
	v_div_scale_f32 v2, null, v0, v0, v11
	v_rcp_f32_e32 v3, v2
	v_fma_f32 v4, -v2, v3, 1.0
	v_fmac_f32_e32 v3, v4, v3
	v_div_scale_f32 v4, vcc_lo, v11, v0, v11
	v_mul_f32_e32 v5, v4, v3
	v_fma_f32 v6, -v2, v5, v4
	v_fmac_f32_e32 v5, v6, v3
	v_fma_f32 v2, -v2, v5, v4
	v_div_fmas_f32 v2, v2, v3, v5
	v_div_fixup_f32 v0, v2, v0, v11
	v_mul_f32_e32 v0, v1, v0
.LBB14_31:
	s_cbranch_execnz .LBB14_39
.LBB14_32:
	s_cmp_eq_u32 s9, 1
	s_cbranch_scc0 .LBB14_38
; %bb.33:
	v_mul_f32_e32 v0, 0x3d372713, v11
	v_mul_f32_e32 v2, 0x3f4c422a, v11
	v_fma_f32 v0, v11, v0, 1.0
	v_mul_f32_e32 v0, v2, v0
                                        ; implicit-def: $vgpr2
	v_cmp_ngt_f32_e64 s1, 0x3f200000, |v0|
	s_and_saveexec_b32 s2, s1
	s_xor_b32 s1, exec_lo, s2
	s_cbranch_execz .LBB14_35
; %bb.34:
	v_add_f32_e64 v2, |v0|, |v0|
	v_mul_f32_e32 v3, 0x3fb8aa3b, v2
	v_cmp_ngt_f32_e32 vcc_lo, 0xc2ce8ed0, v2
	v_rndne_f32_e32 v4, v3
	v_fma_f32 v5, 0x3fb8aa3b, v2, -v3
	v_sub_f32_e32 v3, v3, v4
	v_fmamk_f32 v5, v2, 0x32a5705f, v5
	v_cvt_i32_f32_e32 v4, v4
	v_add_f32_e32 v3, v3, v5
	v_exp_f32_e32 v3, v3
	v_ldexp_f32 v3, v3, v4
	v_cndmask_b32_e32 v3, 0, v3, vcc_lo
	v_cmp_nlt_f32_e32 vcc_lo, 0x42b17218, v2
	v_cndmask_b32_e32 v2, 0x7f800000, v3, vcc_lo
	v_add_f32_e32 v2, 1.0, v2
	v_rcp_f32_e32 v2, v2
	v_fma_f32 v2, v2, -2.0, 1.0
.LBB14_35:
	s_andn2_saveexec_b32 s1, s1
	s_cbranch_execz .LBB14_37
; %bb.36:
	v_mul_f32_e32 v2, v0, v0
	s_mov_b32 s2, 0xbbbac73d
	v_fmaak_f32 v3, s2, v2, 0x3ca908c9
	v_fmaak_f32 v3, v2, v3, 0xbd5c1c4e
	v_fmaak_f32 v3, v2, v3, 0x3e088382
	v_fmaak_f32 v3, v2, v3, 0xbeaaaa99
	v_mul_f32_e64 v3, |v0|, v3
	v_fma_f32 v2, v2, v3, |v0|
.LBB14_37:
	s_or_b32 exec_lo, exec_lo, s1
	v_bfi_b32 v0, 0x7fffffff, v2, v0
	v_mul_f32_e32 v2, 0.5, v11
	v_add_f32_e32 v0, 1.0, v0
	v_mul_f32_e32 v0, v2, v0
	v_mul_f32_e32 v1, v1, v0
.LBB14_38:
	v_mov_b32_e32 v0, v1
.LBB14_39:
	v_mov_b32_e32 v1, v0
.LBB14_40:
	s_load_dwordx2 s[2:3], s[4:5], 0x38
	s_mul_i32 s0, s30, s0
	s_mul_i32 s4, s18, s8
	s_ashr_i32 s1, s0, 31
	v_mov_b32_e32 v0, 0
	s_lshl_b64 s[0:1], s[0:1], 2
	s_waitcnt lgkmcnt(0)
	s_add_u32 s2, s2, s0
	s_addc_u32 s3, s3, s1
	s_ashr_i32 s5, s4, 31
	s_lshl_b64 s[0:1], s[4:5], 2
	s_add_u32 s2, s2, s0
	s_addc_u32 s3, s3, s1
	s_ashr_i32 s7, s6, 31
	s_lshl_b64 s[0:1], s[6:7], 2
	s_add_u32 s0, s2, s0
	s_addc_u32 s1, s3, s1
	global_store_dword v0, v1, s[0:1]
.LBB14_41:
	s_endpgm
	.section	.rodata,"a",@progbits
	.p2align	6, 0x0
	.amdhsa_kernel _ZL13mul_mat_vec_fIffLi1ELi256ELb1ELb1EEvPKT_PKfPKi31ggml_cuda_mm_fusion_args_devicePfi15HIP_vector_typeIjLj3EEiiiSA_iiiSA_iiii
		.amdhsa_group_segment_fixed_size 0
		.amdhsa_private_segment_fixed_size 0
		.amdhsa_kernarg_size 144
		.amdhsa_user_sgpr_count 6
		.amdhsa_user_sgpr_private_segment_buffer 1
		.amdhsa_user_sgpr_dispatch_ptr 0
		.amdhsa_user_sgpr_queue_ptr 0
		.amdhsa_user_sgpr_kernarg_segment_ptr 1
		.amdhsa_user_sgpr_dispatch_id 0
		.amdhsa_user_sgpr_flat_scratch_init 0
		.amdhsa_user_sgpr_private_segment_size 0
		.amdhsa_wavefront_size32 1
		.amdhsa_uses_dynamic_stack 0
		.amdhsa_system_sgpr_private_segment_wavefront_offset 0
		.amdhsa_system_sgpr_workgroup_id_x 1
		.amdhsa_system_sgpr_workgroup_id_y 1
		.amdhsa_system_sgpr_workgroup_id_z 1
		.amdhsa_system_sgpr_workgroup_info 0
		.amdhsa_system_vgpr_workitem_id 0
		.amdhsa_next_free_vgpr 17
		.amdhsa_next_free_sgpr 40
		.amdhsa_reserve_vcc 1
		.amdhsa_reserve_flat_scratch 0
		.amdhsa_float_round_mode_32 0
		.amdhsa_float_round_mode_16_64 0
		.amdhsa_float_denorm_mode_32 3
		.amdhsa_float_denorm_mode_16_64 3
		.amdhsa_dx10_clamp 1
		.amdhsa_ieee_mode 1
		.amdhsa_fp16_overflow 0
		.amdhsa_workgroup_processor_mode 1
		.amdhsa_memory_ordered 1
		.amdhsa_forward_progress 1
		.amdhsa_shared_vgpr_count 0
		.amdhsa_exception_fp_ieee_invalid_op 0
		.amdhsa_exception_fp_denorm_src 0
		.amdhsa_exception_fp_ieee_div_zero 0
		.amdhsa_exception_fp_ieee_overflow 0
		.amdhsa_exception_fp_ieee_underflow 0
		.amdhsa_exception_fp_ieee_inexact 0
		.amdhsa_exception_int_div_zero 0
	.end_amdhsa_kernel
	.section	.text._ZL13mul_mat_vec_fIffLi1ELi256ELb1ELb1EEvPKT_PKfPKi31ggml_cuda_mm_fusion_args_devicePfi15HIP_vector_typeIjLj3EEiiiSA_iiiSA_iiii,"axG",@progbits,_ZL13mul_mat_vec_fIffLi1ELi256ELb1ELb1EEvPKT_PKfPKi31ggml_cuda_mm_fusion_args_devicePfi15HIP_vector_typeIjLj3EEiiiSA_iiiSA_iiii,comdat
.Lfunc_end14:
	.size	_ZL13mul_mat_vec_fIffLi1ELi256ELb1ELb1EEvPKT_PKfPKi31ggml_cuda_mm_fusion_args_devicePfi15HIP_vector_typeIjLj3EEiiiSA_iiiSA_iiii, .Lfunc_end14-_ZL13mul_mat_vec_fIffLi1ELi256ELb1ELb1EEvPKT_PKfPKi31ggml_cuda_mm_fusion_args_devicePfi15HIP_vector_typeIjLj3EEiiiSA_iiiSA_iiii
                                        ; -- End function
	.set _ZL13mul_mat_vec_fIffLi1ELi256ELb1ELb1EEvPKT_PKfPKi31ggml_cuda_mm_fusion_args_devicePfi15HIP_vector_typeIjLj3EEiiiSA_iiiSA_iiii.num_vgpr, 17
	.set _ZL13mul_mat_vec_fIffLi1ELi256ELb1ELb1EEvPKT_PKfPKi31ggml_cuda_mm_fusion_args_devicePfi15HIP_vector_typeIjLj3EEiiiSA_iiiSA_iiii.num_agpr, 0
	.set _ZL13mul_mat_vec_fIffLi1ELi256ELb1ELb1EEvPKT_PKfPKi31ggml_cuda_mm_fusion_args_devicePfi15HIP_vector_typeIjLj3EEiiiSA_iiiSA_iiii.numbered_sgpr, 40
	.set _ZL13mul_mat_vec_fIffLi1ELi256ELb1ELb1EEvPKT_PKfPKi31ggml_cuda_mm_fusion_args_devicePfi15HIP_vector_typeIjLj3EEiiiSA_iiiSA_iiii.num_named_barrier, 0
	.set _ZL13mul_mat_vec_fIffLi1ELi256ELb1ELb1EEvPKT_PKfPKi31ggml_cuda_mm_fusion_args_devicePfi15HIP_vector_typeIjLj3EEiiiSA_iiiSA_iiii.private_seg_size, 0
	.set _ZL13mul_mat_vec_fIffLi1ELi256ELb1ELb1EEvPKT_PKfPKi31ggml_cuda_mm_fusion_args_devicePfi15HIP_vector_typeIjLj3EEiiiSA_iiiSA_iiii.uses_vcc, 1
	.set _ZL13mul_mat_vec_fIffLi1ELi256ELb1ELb1EEvPKT_PKfPKi31ggml_cuda_mm_fusion_args_devicePfi15HIP_vector_typeIjLj3EEiiiSA_iiiSA_iiii.uses_flat_scratch, 0
	.set _ZL13mul_mat_vec_fIffLi1ELi256ELb1ELb1EEvPKT_PKfPKi31ggml_cuda_mm_fusion_args_devicePfi15HIP_vector_typeIjLj3EEiiiSA_iiiSA_iiii.has_dyn_sized_stack, 0
	.set _ZL13mul_mat_vec_fIffLi1ELi256ELb1ELb1EEvPKT_PKfPKi31ggml_cuda_mm_fusion_args_devicePfi15HIP_vector_typeIjLj3EEiiiSA_iiiSA_iiii.has_recursion, 0
	.set _ZL13mul_mat_vec_fIffLi1ELi256ELb1ELb1EEvPKT_PKfPKi31ggml_cuda_mm_fusion_args_devicePfi15HIP_vector_typeIjLj3EEiiiSA_iiiSA_iiii.has_indirect_call, 0
	.section	.AMDGPU.csdata,"",@progbits
; Kernel info:
; codeLenInByte = 2192
; TotalNumSgprs: 42
; NumVgprs: 17
; ScratchSize: 0
; MemoryBound: 0
; FloatMode: 240
; IeeeMode: 1
; LDSByteSize: 0 bytes/workgroup (compile time only)
; SGPRBlocks: 0
; VGPRBlocks: 2
; NumSGPRsForWavesPerEU: 42
; NumVGPRsForWavesPerEU: 17
; Occupancy: 16
; WaveLimiterHint : 1
; COMPUTE_PGM_RSRC2:SCRATCH_EN: 0
; COMPUTE_PGM_RSRC2:USER_SGPR: 6
; COMPUTE_PGM_RSRC2:TRAP_HANDLER: 0
; COMPUTE_PGM_RSRC2:TGID_X_EN: 1
; COMPUTE_PGM_RSRC2:TGID_Y_EN: 1
; COMPUTE_PGM_RSRC2:TGID_Z_EN: 1
; COMPUTE_PGM_RSRC2:TIDIG_COMP_CNT: 0
	.section	.text._ZL13mul_mat_vec_fIffLi1ELi256ELb0ELb1EEvPKT_PKfPKi31ggml_cuda_mm_fusion_args_devicePfi15HIP_vector_typeIjLj3EEiiiSA_iiiSA_iiii,"axG",@progbits,_ZL13mul_mat_vec_fIffLi1ELi256ELb0ELb1EEvPKT_PKfPKi31ggml_cuda_mm_fusion_args_devicePfi15HIP_vector_typeIjLj3EEiiiSA_iiiSA_iiii,comdat
	.globl	_ZL13mul_mat_vec_fIffLi1ELi256ELb0ELb1EEvPKT_PKfPKi31ggml_cuda_mm_fusion_args_devicePfi15HIP_vector_typeIjLj3EEiiiSA_iiiSA_iiii ; -- Begin function _ZL13mul_mat_vec_fIffLi1ELi256ELb0ELb1EEvPKT_PKfPKi31ggml_cuda_mm_fusion_args_devicePfi15HIP_vector_typeIjLj3EEiiiSA_iiiSA_iiii
	.p2align	8
	.type	_ZL13mul_mat_vec_fIffLi1ELi256ELb0ELb1EEvPKT_PKfPKi31ggml_cuda_mm_fusion_args_devicePfi15HIP_vector_typeIjLj3EEiiiSA_iiiSA_iiii,@function
_ZL13mul_mat_vec_fIffLi1ELi256ELb0ELb1EEvPKT_PKfPKi31ggml_cuda_mm_fusion_args_devicePfi15HIP_vector_typeIjLj3EEiiiSA_iiiSA_iiii: ; @_ZL13mul_mat_vec_fIffLi1ELi256ELb0ELb1EEvPKT_PKfPKi31ggml_cuda_mm_fusion_args_devicePfi15HIP_vector_typeIjLj3EEiiiSA_iiiSA_iiii
; %bb.0:
	s_clause 0x2
	s_load_dword s2, s[4:5], 0x8c
	s_load_dwordx2 s[0:1], s[4:5], 0x10
	s_load_dwordx8 s[12:19], s[4:5], 0x40
	v_cmp_gt_u32_e32 vcc_lo, 32, v0
	v_lshl_add_u32 v5, v0, 2, 0
	s_waitcnt lgkmcnt(0)
	s_mul_i32 s2, s2, s8
	s_add_i32 s2, s2, s7
	s_ashr_i32 s3, s2, 31
	s_lshl_b64 s[2:3], s[2:3], 2
	s_add_u32 s2, s0, s2
	s_addc_u32 s3, s1, s3
	s_and_saveexec_b32 s0, vcc_lo
; %bb.1:
	v_mov_b32_e32 v1, 0
	ds_write_b32 v5, v1
; %bb.2:
	s_or_b32 exec_lo, exec_lo, s0
	s_load_dwordx4 s[20:23], s[4:5], 0x68
	v_mov_b32_e32 v6, 0
	s_mov_b32 s9, exec_lo
	s_waitcnt lgkmcnt(0)
	s_barrier
	buffer_gl0_inv
	v_cmpx_gt_i32_e64 s12, v0
	s_cbranch_execz .LBB15_6
; %bb.3:
	s_load_dword s19, s[2:3], 0x0
	s_load_dwordx4 s[0:3], s[4:5], 0x0
	s_mul_hi_u32 s11, s13, s7
	s_mul_i32 s13, s8, s17
	s_add_i32 s17, s7, s11
	s_mul_i32 s10, s16, s6
	s_lshl_b32 s16, s13, 1
	s_lshr_b32 s13, s17, s14
	s_ashr_i32 s11, s10, 31
	s_mul_i32 s13, s13, s15
	s_ashr_i32 s17, s16, 31
	s_sub_i32 s13, s7, s13
	s_lshl_b64 s[10:11], s[10:11], 2
	v_lshlrev_b32_e32 v1, 3, v0
	v_mov_b32_e32 v6, 0
	s_waitcnt lgkmcnt(0)
	s_mul_i32 s14, s19, s20
	s_mul_i32 s20, s13, s21
	s_ashr_i32 s15, s14, 31
	s_ashr_i32 s21, s20, 31
	s_lshl_b64 s[14:15], s[14:15], 2
	s_add_u32 s0, s0, s14
	s_addc_u32 s1, s1, s15
	s_add_u32 s13, s0, s10
	s_addc_u32 s14, s1, s11
	s_lshl_b64 s[10:11], s[20:21], 2
	s_lshl_b64 s[0:1], s[16:17], 2
	s_add_u32 s2, s2, s10
	s_addc_u32 s3, s3, s11
	v_add_co_u32 v2, s13, s13, v1
	s_add_u32 s0, s2, s0
	v_add_co_ci_u32_e64 v3, null, s14, 0, s13
	s_addc_u32 s1, s3, s1
	v_add_co_u32 v4, s0, s0, v1
	v_add_co_ci_u32_e64 v7, null, s1, 0, s0
	v_add_co_u32 v1, s0, v2, 4
	v_add_co_ci_u32_e64 v2, null, 0, v3, s0
	;; [unrolled: 2-line block ×3, first 2 shown]
	v_mov_b32_e32 v7, v0
	s_mov_b32 s2, 0
	.p2align	6
.LBB15_4:                               ; =>This Inner Loop Header: Depth=1
	global_load_dwordx2 v[8:9], v[1:2], off offset:-4
	global_load_dwordx2 v[10:11], v[3:4], off offset:-4
	v_add_nc_u32_e32 v7, 0x100, v7
	v_add_co_u32 v1, s0, 0x800, v1
	v_add_co_ci_u32_e64 v2, null, 0, v2, s0
	v_add_co_u32 v3, s0, 0x800, v3
	v_cmp_le_i32_e64 s1, s12, v7
	v_add_co_ci_u32_e64 v4, null, 0, v4, s0
	s_or_b32 s2, s1, s2
	s_waitcnt vmcnt(0)
	v_fmac_f32_e32 v6, v8, v10
	v_fmac_f32_e32 v6, v9, v11
	s_andn2_b32 exec_lo, exec_lo, s2
	s_cbranch_execnz .LBB15_4
; %bb.5:
	s_or_b32 exec_lo, exec_lo, s2
.LBB15_6:
	s_or_b32 exec_lo, exec_lo, s9
	v_mbcnt_lo_u32_b32 v2, -1, 0
	v_xor_b32_e32 v1, 16, v2
	v_xor_b32_e32 v3, 8, v2
	v_cmp_gt_i32_e64 s0, 32, v1
	v_cndmask_b32_e64 v1, v2, v1, s0
	v_cmp_gt_i32_e64 s0, 32, v3
	v_lshlrev_b32_e32 v1, 2, v1
	v_cndmask_b32_e64 v3, v2, v3, s0
	ds_bpermute_b32 v4, v1, v6
	v_lshlrev_b32_e32 v3, 2, v3
	s_waitcnt lgkmcnt(0)
	v_add_f32_e32 v6, v6, v4
	v_xor_b32_e32 v4, 4, v2
	ds_bpermute_b32 v7, v3, v6
	v_cmp_gt_i32_e64 s0, 32, v4
	v_cndmask_b32_e64 v4, v2, v4, s0
	v_lshlrev_b32_e32 v4, 2, v4
	s_waitcnt lgkmcnt(0)
	v_add_f32_e32 v7, v6, v7
	v_xor_b32_e32 v6, 2, v2
	ds_bpermute_b32 v8, v4, v7
	v_cmp_gt_i32_e64 s0, 32, v6
	v_cndmask_b32_e64 v6, v2, v6, s0
	;; [unrolled: 7-line block ×3, first 2 shown]
	v_lshlrev_b32_e32 v7, 2, v2
	s_waitcnt lgkmcnt(0)
	v_add_f32_e32 v2, v8, v9
	v_lshrrev_b32_e32 v9, 3, v0
	ds_bpermute_b32 v8, v7, v2
	v_and_b32_e32 v9, 0x7c, v9
	v_add_nc_u32_e32 v9, 0, v9
	s_waitcnt lgkmcnt(0)
	v_add_f32_e32 v2, v2, v8
	ds_write_b32 v9, v2
	s_waitcnt lgkmcnt(0)
	s_barrier
	buffer_gl0_inv
	s_and_saveexec_b32 s0, vcc_lo
	s_cbranch_execz .LBB15_8
; %bb.7:
	ds_read_b32 v2, v5
	s_waitcnt lgkmcnt(0)
	ds_bpermute_b32 v1, v1, v2
	s_waitcnt lgkmcnt(0)
	v_add_f32_e32 v1, v2, v1
	ds_bpermute_b32 v2, v3, v1
	s_waitcnt lgkmcnt(0)
	v_add_f32_e32 v1, v1, v2
	;; [unrolled: 3-line block ×5, first 2 shown]
.LBB15_8:
	s_or_b32 exec_lo, exec_lo, s0
	s_barrier
	buffer_gl0_inv
	s_mov_b32 s0, exec_lo
	v_cmpx_eq_u32_e32 0, v0
	s_cbranch_execz .LBB15_10
; %bb.9:
	s_load_dwordx2 s[0:1], s[4:5], 0x38
	s_mul_i32 s2, s22, s7
	s_mul_i32 s4, s18, s8
	s_ashr_i32 s3, s2, 31
	v_mov_b32_e32 v0, 0
	s_lshl_b64 s[2:3], s[2:3], 2
	s_waitcnt lgkmcnt(0)
	s_add_u32 s2, s0, s2
	s_addc_u32 s3, s1, s3
	s_ashr_i32 s5, s4, 31
	s_lshl_b64 s[0:1], s[4:5], 2
	s_add_u32 s2, s2, s0
	s_addc_u32 s3, s3, s1
	s_ashr_i32 s7, s6, 31
	s_lshl_b64 s[0:1], s[6:7], 2
	s_add_u32 s0, s2, s0
	s_addc_u32 s1, s3, s1
	global_store_dword v0, v2, s[0:1]
.LBB15_10:
	s_endpgm
	.section	.rodata,"a",@progbits
	.p2align	6, 0x0
	.amdhsa_kernel _ZL13mul_mat_vec_fIffLi1ELi256ELb0ELb1EEvPKT_PKfPKi31ggml_cuda_mm_fusion_args_devicePfi15HIP_vector_typeIjLj3EEiiiSA_iiiSA_iiii
		.amdhsa_group_segment_fixed_size 0
		.amdhsa_private_segment_fixed_size 0
		.amdhsa_kernarg_size 144
		.amdhsa_user_sgpr_count 6
		.amdhsa_user_sgpr_private_segment_buffer 1
		.amdhsa_user_sgpr_dispatch_ptr 0
		.amdhsa_user_sgpr_queue_ptr 0
		.amdhsa_user_sgpr_kernarg_segment_ptr 1
		.amdhsa_user_sgpr_dispatch_id 0
		.amdhsa_user_sgpr_flat_scratch_init 0
		.amdhsa_user_sgpr_private_segment_size 0
		.amdhsa_wavefront_size32 1
		.amdhsa_uses_dynamic_stack 0
		.amdhsa_system_sgpr_private_segment_wavefront_offset 0
		.amdhsa_system_sgpr_workgroup_id_x 1
		.amdhsa_system_sgpr_workgroup_id_y 1
		.amdhsa_system_sgpr_workgroup_id_z 1
		.amdhsa_system_sgpr_workgroup_info 0
		.amdhsa_system_vgpr_workitem_id 0
		.amdhsa_next_free_vgpr 12
		.amdhsa_next_free_sgpr 24
		.amdhsa_reserve_vcc 1
		.amdhsa_reserve_flat_scratch 0
		.amdhsa_float_round_mode_32 0
		.amdhsa_float_round_mode_16_64 0
		.amdhsa_float_denorm_mode_32 3
		.amdhsa_float_denorm_mode_16_64 3
		.amdhsa_dx10_clamp 1
		.amdhsa_ieee_mode 1
		.amdhsa_fp16_overflow 0
		.amdhsa_workgroup_processor_mode 1
		.amdhsa_memory_ordered 1
		.amdhsa_forward_progress 1
		.amdhsa_shared_vgpr_count 0
		.amdhsa_exception_fp_ieee_invalid_op 0
		.amdhsa_exception_fp_denorm_src 0
		.amdhsa_exception_fp_ieee_div_zero 0
		.amdhsa_exception_fp_ieee_overflow 0
		.amdhsa_exception_fp_ieee_underflow 0
		.amdhsa_exception_fp_ieee_inexact 0
		.amdhsa_exception_int_div_zero 0
	.end_amdhsa_kernel
	.section	.text._ZL13mul_mat_vec_fIffLi1ELi256ELb0ELb1EEvPKT_PKfPKi31ggml_cuda_mm_fusion_args_devicePfi15HIP_vector_typeIjLj3EEiiiSA_iiiSA_iiii,"axG",@progbits,_ZL13mul_mat_vec_fIffLi1ELi256ELb0ELb1EEvPKT_PKfPKi31ggml_cuda_mm_fusion_args_devicePfi15HIP_vector_typeIjLj3EEiiiSA_iiiSA_iiii,comdat
.Lfunc_end15:
	.size	_ZL13mul_mat_vec_fIffLi1ELi256ELb0ELb1EEvPKT_PKfPKi31ggml_cuda_mm_fusion_args_devicePfi15HIP_vector_typeIjLj3EEiiiSA_iiiSA_iiii, .Lfunc_end15-_ZL13mul_mat_vec_fIffLi1ELi256ELb0ELb1EEvPKT_PKfPKi31ggml_cuda_mm_fusion_args_devicePfi15HIP_vector_typeIjLj3EEiiiSA_iiiSA_iiii
                                        ; -- End function
	.set _ZL13mul_mat_vec_fIffLi1ELi256ELb0ELb1EEvPKT_PKfPKi31ggml_cuda_mm_fusion_args_devicePfi15HIP_vector_typeIjLj3EEiiiSA_iiiSA_iiii.num_vgpr, 12
	.set _ZL13mul_mat_vec_fIffLi1ELi256ELb0ELb1EEvPKT_PKfPKi31ggml_cuda_mm_fusion_args_devicePfi15HIP_vector_typeIjLj3EEiiiSA_iiiSA_iiii.num_agpr, 0
	.set _ZL13mul_mat_vec_fIffLi1ELi256ELb0ELb1EEvPKT_PKfPKi31ggml_cuda_mm_fusion_args_devicePfi15HIP_vector_typeIjLj3EEiiiSA_iiiSA_iiii.numbered_sgpr, 24
	.set _ZL13mul_mat_vec_fIffLi1ELi256ELb0ELb1EEvPKT_PKfPKi31ggml_cuda_mm_fusion_args_devicePfi15HIP_vector_typeIjLj3EEiiiSA_iiiSA_iiii.num_named_barrier, 0
	.set _ZL13mul_mat_vec_fIffLi1ELi256ELb0ELb1EEvPKT_PKfPKi31ggml_cuda_mm_fusion_args_devicePfi15HIP_vector_typeIjLj3EEiiiSA_iiiSA_iiii.private_seg_size, 0
	.set _ZL13mul_mat_vec_fIffLi1ELi256ELb0ELb1EEvPKT_PKfPKi31ggml_cuda_mm_fusion_args_devicePfi15HIP_vector_typeIjLj3EEiiiSA_iiiSA_iiii.uses_vcc, 1
	.set _ZL13mul_mat_vec_fIffLi1ELi256ELb0ELb1EEvPKT_PKfPKi31ggml_cuda_mm_fusion_args_devicePfi15HIP_vector_typeIjLj3EEiiiSA_iiiSA_iiii.uses_flat_scratch, 0
	.set _ZL13mul_mat_vec_fIffLi1ELi256ELb0ELb1EEvPKT_PKfPKi31ggml_cuda_mm_fusion_args_devicePfi15HIP_vector_typeIjLj3EEiiiSA_iiiSA_iiii.has_dyn_sized_stack, 0
	.set _ZL13mul_mat_vec_fIffLi1ELi256ELb0ELb1EEvPKT_PKfPKi31ggml_cuda_mm_fusion_args_devicePfi15HIP_vector_typeIjLj3EEiiiSA_iiiSA_iiii.has_recursion, 0
	.set _ZL13mul_mat_vec_fIffLi1ELi256ELb0ELb1EEvPKT_PKfPKi31ggml_cuda_mm_fusion_args_devicePfi15HIP_vector_typeIjLj3EEiiiSA_iiiSA_iiii.has_indirect_call, 0
	.section	.AMDGPU.csdata,"",@progbits
; Kernel info:
; codeLenInByte = 948
; TotalNumSgprs: 26
; NumVgprs: 12
; ScratchSize: 0
; MemoryBound: 0
; FloatMode: 240
; IeeeMode: 1
; LDSByteSize: 0 bytes/workgroup (compile time only)
; SGPRBlocks: 0
; VGPRBlocks: 1
; NumSGPRsForWavesPerEU: 26
; NumVGPRsForWavesPerEU: 12
; Occupancy: 16
; WaveLimiterHint : 1
; COMPUTE_PGM_RSRC2:SCRATCH_EN: 0
; COMPUTE_PGM_RSRC2:USER_SGPR: 6
; COMPUTE_PGM_RSRC2:TRAP_HANDLER: 0
; COMPUTE_PGM_RSRC2:TGID_X_EN: 1
; COMPUTE_PGM_RSRC2:TGID_Y_EN: 1
; COMPUTE_PGM_RSRC2:TGID_Z_EN: 1
; COMPUTE_PGM_RSRC2:TIDIG_COMP_CNT: 0
	.section	.text._ZL13mul_mat_vec_fIffLi1ELi32ELb1ELb0EEvPKT_PKfPKi31ggml_cuda_mm_fusion_args_devicePfi15HIP_vector_typeIjLj3EEiiiSA_iiiSA_iiii,"axG",@progbits,_ZL13mul_mat_vec_fIffLi1ELi32ELb1ELb0EEvPKT_PKfPKi31ggml_cuda_mm_fusion_args_devicePfi15HIP_vector_typeIjLj3EEiiiSA_iiiSA_iiii,comdat
	.globl	_ZL13mul_mat_vec_fIffLi1ELi32ELb1ELb0EEvPKT_PKfPKi31ggml_cuda_mm_fusion_args_devicePfi15HIP_vector_typeIjLj3EEiiiSA_iiiSA_iiii ; -- Begin function _ZL13mul_mat_vec_fIffLi1ELi32ELb1ELb0EEvPKT_PKfPKi31ggml_cuda_mm_fusion_args_devicePfi15HIP_vector_typeIjLj3EEiiiSA_iiiSA_iiii
	.p2align	8
	.type	_ZL13mul_mat_vec_fIffLi1ELi32ELb1ELb0EEvPKT_PKfPKi31ggml_cuda_mm_fusion_args_devicePfi15HIP_vector_typeIjLj3EEiiiSA_iiiSA_iiii,@function
_ZL13mul_mat_vec_fIffLi1ELi32ELb1ELb0EEvPKT_PKfPKi31ggml_cuda_mm_fusion_args_devicePfi15HIP_vector_typeIjLj3EEiiiSA_iiiSA_iiii: ; @_ZL13mul_mat_vec_fIffLi1ELi32ELb1ELb0EEvPKT_PKfPKi31ggml_cuda_mm_fusion_args_devicePfi15HIP_vector_typeIjLj3EEiiiSA_iiiSA_iiii
; %bb.0:
	s_clause 0x3
	s_load_dwordx8 s[12:19], s[4:5], 0x0
	s_load_dwordx4 s[24:27], s[4:5], 0x20
	s_load_dwordx4 s[36:39], s[4:5], 0x40
	;; [unrolled: 1-line block ×3, first 2 shown]
	s_mov_b32 s0, s7
	s_waitcnt lgkmcnt(0)
	s_cmp_eq_u64 s[16:17], 0
	s_cselect_b32 s1, -1, 0
	s_cmp_lg_u64 s[16:17], 0
	s_cselect_b32 s10, -1, 0
	s_and_b32 vcc_lo, exec_lo, s1
	s_cbranch_vccnz .LBB16_2
; %bb.1:
	s_mul_i32 s2, s31, s8
	s_mov_b32 s3, 0
	s_add_i32 s2, s2, s0
	s_lshl_b64 s[20:21], s[2:3], 2
	s_add_u32 s16, s16, s20
	s_addc_u32 s17, s17, s21
	s_load_dword s7, s[16:17], 0x0
	s_branch .LBB16_3
.LBB16_2:
	s_mov_b32 s3, -1
                                        ; implicit-def: $sgpr7
.LBB16_3:
	s_clause 0x1
	s_load_dwordx4 s[20:23], s[4:5], 0x68
	s_load_dword s2, s[4:5], 0x50
	s_andn2_b32 vcc_lo, exec_lo, s3
	s_waitcnt lgkmcnt(0)
	s_mov_b32 s9, s7
	s_cbranch_vccnz .LBB16_5
; %bb.4:
	s_load_dwordx2 s[16:17], s[4:5], 0x5c
	s_mov_b32 s7, s0
	s_waitcnt lgkmcnt(0)
	s_mul_hi_u32 s3, s16, s0
	s_add_i32 s3, s0, s3
	s_lshr_b32 s9, s3, s17
.LBB16_5:
	s_load_dword s16, s[4:5], 0x78
	s_andn2_b32 vcc_lo, exec_lo, s10
	s_mov_b32 s10, s0
	s_cbranch_vccnz .LBB16_7
; %bb.6:
	s_mul_hi_u32 s3, s37, s0
	s_add_i32 s3, s0, s3
	s_lshr_b32 s3, s3, s38
	s_mul_i32 s3, s3, s39
	s_sub_i32 s10, s0, s3
.LBB16_7:
	s_and_b32 s1, exec_lo, s1
	v_mov_b32_e32 v11, 0
	v_mov_b32_e32 v12, 0
	s_cselect_b32 s11, s8, 0
	s_cmp_lg_u64 s[24:25], 0
	s_mov_b32 s8, 0
	s_cselect_b32 s1, -1, 0
	s_mov_b32 s3, exec_lo
	v_cmpx_gt_i32_e64 s36, v0
	s_cbranch_execz .LBB16_13
; %bb.8:
	s_mul_hi_u32 s17, s23, s11
	s_mul_i32 s9, s9, s20
	s_add_i32 s17, s11, s17
	s_mul_i32 s2, s2, s6
	s_waitcnt lgkmcnt(0)
	s_lshr_b32 s16, s17, s16
	s_ashr_i32 s20, s9, 31
	s_mul_hi_i32 s17, s16, s28
	s_mul_i32 s16, s16, s28
	s_ashr_i32 s23, s2, 31
	s_add_u32 s2, s16, s2
	s_addc_u32 s17, s17, s23
	s_add_u32 s16, s2, s9
	s_addc_u32 s17, s17, s20
	s_mul_i32 s20, s10, s21
	s_and_b32 s2, s1, exec_lo
	s_cselect_b32 s35, s17, 0
	s_cselect_b32 s34, s16, 0
	s_ashr_i32 s21, s20, 31
	s_and_b32 s2, s1, exec_lo
	v_lshlrev_b32_e32 v3, 3, v0
	s_cselect_b32 s2, s25, 0
	s_cselect_b32 s9, s24, 0
	s_lshl_b64 s[24:25], s[34:35], 2
	v_mov_b32_e32 v11, 0
	s_add_u32 s9, s9, s24
	s_addc_u32 s2, s2, s25
	s_mul_hi_i32 s25, s11, s29
	s_mul_i32 s24, s11, s29
	v_add_co_u32 v1, s9, s9, v3
	s_lshl_b64 s[20:21], s[20:21], 2
	s_lshl_b64 s[24:25], s[24:25], 2
	v_add_co_ci_u32_e64 v2, null, s2, 0, s9
	s_add_u32 s2, s14, s20
	s_addc_u32 s9, s15, s21
	s_add_u32 s2, s2, s24
	s_addc_u32 s9, s9, s25
	s_lshl_b64 s[14:15], s[16:17], 2
	v_add_co_u32 v4, s2, s2, v3
	v_add_co_ci_u32_e64 v5, null, s9, 0, s2
	s_add_u32 s2, s12, s14
	s_addc_u32 s9, s13, s15
	v_add_co_u32 v6, s2, s2, v3
	v_add_co_u32 v1, vcc_lo, v1, 4
	v_add_co_ci_u32_e64 v7, null, s9, 0, s2
	v_add_co_ci_u32_e64 v2, null, 0, v2, vcc_lo
	v_add_co_u32 v3, vcc_lo, v4, 4
	v_add_co_ci_u32_e64 v4, null, 0, v5, vcc_lo
	v_add_co_u32 v5, vcc_lo, v6, 4
	v_add_co_ci_u32_e64 v6, null, 0, v7, vcc_lo
	v_mov_b32_e32 v13, v0
	v_mov_b32_e32 v12, 0
	s_inst_prefetch 0x1
	s_branch .LBB16_10
	.p2align	6
.LBB16_9:                               ;   in Loop: Header=BB16_10 Depth=1
	global_load_dwordx2 v[14:15], v[3:4], off offset:-4
	v_add_nc_u32_e32 v13, 32, v13
	v_add_co_u32 v1, vcc_lo, 0x100, v1
	v_add_co_ci_u32_e64 v2, null, 0, v2, vcc_lo
	v_add_co_u32 v3, vcc_lo, 0x100, v3
	v_add_co_ci_u32_e64 v4, null, 0, v4, vcc_lo
	v_cmp_le_i32_e32 vcc_lo, s36, v13
	v_add_co_u32 v5, s2, 0x100, v5
	v_add_co_ci_u32_e64 v6, null, 0, v6, s2
	s_or_b32 s8, vcc_lo, s8
	s_waitcnt vmcnt(0)
	v_fma_f32 v9, v9, v14, v11
	v_fmac_f32_e32 v12, v7, v14
	v_fmac_f32_e32 v9, v10, v15
	;; [unrolled: 1-line block ×3, first 2 shown]
	v_cndmask_b32_e64 v11, v11, v9, s1
	s_andn2_b32 exec_lo, exec_lo, s8
	s_cbranch_execz .LBB16_12
.LBB16_10:                              ; =>This Inner Loop Header: Depth=1
	global_load_dwordx2 v[7:8], v[5:6], off offset:-4
	v_mov_b32_e32 v10, 0
	v_mov_b32_e32 v9, 0
	s_andn2_b32 vcc_lo, exec_lo, s1
	s_cbranch_vccnz .LBB16_9
; %bb.11:                               ;   in Loop: Header=BB16_10 Depth=1
	global_load_dwordx2 v[9:10], v[1:2], off offset:-4
	s_branch .LBB16_9
.LBB16_12:
	s_inst_prefetch 0x2
	s_or_b32 exec_lo, exec_lo, s8
.LBB16_13:
	s_or_b32 exec_lo, exec_lo, s3
	v_mbcnt_lo_u32_b32 v2, -1, 0
	s_load_dword s10, s[4:5], 0x30
	v_xor_b32_e32 v1, 16, v2
	v_xor_b32_e32 v4, 8, v2
	;; [unrolled: 1-line block ×3, first 2 shown]
	v_cmp_gt_i32_e32 vcc_lo, 32, v1
	v_cndmask_b32_e32 v1, v2, v1, vcc_lo
	v_cmp_gt_i32_e32 vcc_lo, 32, v4
	v_lshlrev_b32_e32 v1, 2, v1
	v_cndmask_b32_e32 v4, v2, v4, vcc_lo
	v_cmp_gt_i32_e32 vcc_lo, 32, v5
	ds_bpermute_b32 v3, v1, v12
	v_lshlrev_b32_e32 v4, 2, v4
	v_cndmask_b32_e32 v5, v2, v5, vcc_lo
	v_lshlrev_b32_e32 v5, 2, v5
	s_waitcnt lgkmcnt(0)
	v_add_f32_e32 v3, v12, v3
	ds_bpermute_b32 v6, v4, v3
	s_waitcnt lgkmcnt(0)
	v_add_f32_e32 v3, v3, v6
	v_xor_b32_e32 v6, 2, v2
	ds_bpermute_b32 v7, v5, v3
	v_cmp_gt_i32_e32 vcc_lo, 32, v6
	v_cndmask_b32_e32 v6, v2, v6, vcc_lo
	v_lshlrev_b32_e32 v6, 2, v6
	s_waitcnt lgkmcnt(0)
	v_add_f32_e32 v3, v3, v7
	v_xor_b32_e32 v7, 1, v2
	ds_bpermute_b32 v8, v6, v3
	v_cmp_gt_i32_e32 vcc_lo, 32, v7
	v_cndmask_b32_e32 v2, v2, v7, vcc_lo
	s_and_b32 vcc_lo, exec_lo, s1
	v_lshlrev_b32_e32 v7, 2, v2
	s_waitcnt lgkmcnt(0)
	v_add_f32_e32 v2, v3, v8
	ds_bpermute_b32 v3, v7, v2
	s_cbranch_vccz .LBB16_15
; %bb.14:
	ds_bpermute_b32 v1, v1, v11
	s_waitcnt lgkmcnt(0)
	v_add_f32_e32 v1, v11, v1
	ds_bpermute_b32 v4, v4, v1
	s_waitcnt lgkmcnt(0)
	v_add_f32_e32 v1, v1, v4
	;; [unrolled: 3-line block ×5, first 2 shown]
.LBB16_15:
	s_mov_b32 s2, exec_lo
	v_cmpx_eq_u32_e32 0, v0
	s_cbranch_execz .LBB16_39
; %bb.16:
	s_cmp_eq_u64 s[18:19], 0
	s_waitcnt lgkmcnt(0)
	v_add_f32_e32 v0, v2, v3
	s_mul_i32 s8, s7, s22
	s_cselect_b32 s2, -1, 0
	s_ashr_i32 s9, s8, 31
	s_mul_hi_i32 s3, s30, s11
	s_and_b32 vcc_lo, exec_lo, s2
	s_mul_i32 s2, s30, s11
	s_cbranch_vccnz .LBB16_18
; %bb.17:
	s_cselect_b32 s7, 0, s19
	s_cselect_b32 s11, 0, s18
	s_lshl_b64 s[12:13], s[2:3], 2
	s_add_u32 s11, s11, s12
	s_addc_u32 s7, s7, s13
	s_lshl_b64 s[12:13], s[8:9], 2
	s_add_u32 s11, s11, s12
	s_addc_u32 s14, s7, s13
	s_ashr_i32 s7, s6, 31
	s_lshl_b64 s[12:13], s[6:7], 2
	s_add_u32 s12, s11, s12
	s_addc_u32 s13, s14, s13
	s_load_dword s7, s[12:13], 0x0
	s_waitcnt lgkmcnt(0)
	v_add_f32_e32 v0, s7, v0
.LBB16_18:
	s_andn2_b32 vcc_lo, exec_lo, s1
	s_cbranch_vccnz .LBB16_38
; %bb.19:
	s_cmp_lg_u64 s[26:27], 0
	s_cselect_b32 s7, -1, 0
	s_and_b32 s1, s7, s1
	s_andn2_b32 vcc_lo, exec_lo, s1
	s_cbranch_vccnz .LBB16_21
; %bb.20:
	s_and_b32 s1, s7, exec_lo
	s_cselect_b32 s1, s27, 0
	s_cselect_b32 s7, s26, 0
	s_lshl_b64 s[12:13], s[2:3], 2
	s_add_u32 s7, s7, s12
	s_addc_u32 s1, s1, s13
	s_lshl_b64 s[8:9], s[8:9], 2
	s_add_u32 s11, s7, s8
	s_addc_u32 s1, s1, s9
	s_ashr_i32 s7, s6, 31
	s_lshl_b64 s[8:9], s[6:7], 2
	s_add_u32 s8, s11, s8
	s_addc_u32 s9, s1, s9
	s_load_dword s1, s[8:9], 0x0
	s_waitcnt lgkmcnt(0)
	v_add_f32_e32 v11, s1, v11
.LBB16_21:
	s_cmp_lt_i32 s10, 2
	s_cbranch_scc1 .LBB16_26
; %bb.22:
	s_cmp_lt_i32 s10, 3
	s_cbranch_scc1 .LBB16_27
; %bb.23:
	v_mov_b32_e32 v1, v0
	s_cmp_eq_u32 s10, 3
	s_cbranch_scc0 .LBB16_25
; %bb.24:
	v_max_f32_e32 v1, v11, v11
	v_min_f32_e32 v1, 0x40e00000, v1
	v_mul_f32_e32 v2, 0xbfd9db23, v1
	v_mul_f32_e32 v3, 0x3fb8aa3b, v2
	v_cmp_ngt_f32_e32 vcc_lo, 0xc2ce8ed0, v2
	v_fma_f32 v4, 0x3fb8aa3b, v2, -v3
	v_rndne_f32_e32 v5, v3
	v_fmamk_f32 v4, v2, 0x32a5705f, v4
	v_sub_f32_e32 v3, v3, v5
	v_add_f32_e32 v3, v3, v4
	v_cvt_i32_f32_e32 v4, v5
	v_exp_f32_e32 v3, v3
	v_ldexp_f32 v3, v3, v4
	v_cndmask_b32_e32 v3, 0, v3, vcc_lo
	v_cmp_nlt_f32_e32 vcc_lo, 0x42b17218, v2
	v_cndmask_b32_e32 v2, 0x7f800000, v3, vcc_lo
	v_add_f32_e32 v2, 1.0, v2
	v_div_scale_f32 v3, null, v2, v2, v1
	v_div_scale_f32 v6, vcc_lo, v1, v2, v1
	v_rcp_f32_e32 v4, v3
	v_fma_f32 v5, -v3, v4, 1.0
	v_fmac_f32_e32 v4, v5, v4
	v_mul_f32_e32 v5, v6, v4
	v_fma_f32 v7, -v3, v5, v6
	v_fmac_f32_e32 v5, v7, v4
	v_max_f32_e32 v7, v0, v0
	v_fma_f32 v3, -v3, v5, v6
	v_min_f32_e32 v6, 0x40e00000, v7
	v_div_fmas_f32 v3, v3, v4, v5
	v_max_f32_e32 v4, 0xc0e00000, v6
	v_div_fixup_f32 v1, v3, v2, v1
	v_add_f32_e32 v2, 1.0, v4
	v_mul_f32_e32 v1, v2, v1
.LBB16_25:
	s_cbranch_execz .LBB16_28
	s_branch .LBB16_29
.LBB16_26:
                                        ; implicit-def: $vgpr1
	s_branch .LBB16_30
.LBB16_27:
                                        ; implicit-def: $vgpr1
.LBB16_28:
	v_mul_f32_e32 v1, 0xbfb8aa3b, v11
	v_cmp_nlt_f32_e32 vcc_lo, 0x42ce8ed0, v11
	v_rndne_f32_e32 v2, v1
	v_fma_f32 v3, 0xbfb8aa3b, v11, -v1
	v_sub_f32_e32 v1, v1, v2
	v_fmamk_f32 v3, v11, 0xb2a5705f, v3
	v_cvt_i32_f32_e32 v2, v2
	v_add_f32_e32 v1, v1, v3
	v_exp_f32_e32 v1, v1
	v_ldexp_f32 v1, v1, v2
	v_cndmask_b32_e32 v1, 0, v1, vcc_lo
	v_cmp_ngt_f32_e32 vcc_lo, 0xc2b17218, v11
	v_cndmask_b32_e32 v1, 0x7f800000, v1, vcc_lo
	v_add_f32_e32 v1, 1.0, v1
	v_div_scale_f32 v2, null, v1, v1, v11
	v_rcp_f32_e32 v3, v2
	v_fma_f32 v4, -v2, v3, 1.0
	v_fmac_f32_e32 v3, v4, v3
	v_div_scale_f32 v4, vcc_lo, v11, v1, v11
	v_mul_f32_e32 v5, v4, v3
	v_fma_f32 v6, -v2, v5, v4
	v_fmac_f32_e32 v5, v6, v3
	v_fma_f32 v2, -v2, v5, v4
	v_div_fmas_f32 v2, v2, v3, v5
	v_div_fixup_f32 v1, v2, v1, v11
	v_mul_f32_e32 v1, v0, v1
.LBB16_29:
	s_cbranch_execnz .LBB16_37
.LBB16_30:
	s_cmp_eq_u32 s10, 1
	s_cbranch_scc0 .LBB16_36
; %bb.31:
	v_mul_f32_e32 v1, 0x3d372713, v11
	v_mul_f32_e32 v2, 0x3f4c422a, v11
	v_fma_f32 v1, v11, v1, 1.0
	v_mul_f32_e32 v1, v2, v1
                                        ; implicit-def: $vgpr2
	v_cmp_ngt_f32_e64 s1, 0x3f200000, |v1|
	s_and_saveexec_b32 s7, s1
	s_xor_b32 s1, exec_lo, s7
	s_cbranch_execz .LBB16_33
; %bb.32:
	v_add_f32_e64 v2, |v1|, |v1|
	v_mul_f32_e32 v3, 0x3fb8aa3b, v2
	v_cmp_ngt_f32_e32 vcc_lo, 0xc2ce8ed0, v2
	v_rndne_f32_e32 v4, v3
	v_fma_f32 v5, 0x3fb8aa3b, v2, -v3
	v_sub_f32_e32 v3, v3, v4
	v_fmamk_f32 v5, v2, 0x32a5705f, v5
	v_cvt_i32_f32_e32 v4, v4
	v_add_f32_e32 v3, v3, v5
	v_exp_f32_e32 v3, v3
	v_ldexp_f32 v3, v3, v4
	v_cndmask_b32_e32 v3, 0, v3, vcc_lo
	v_cmp_nlt_f32_e32 vcc_lo, 0x42b17218, v2
	v_cndmask_b32_e32 v2, 0x7f800000, v3, vcc_lo
	v_add_f32_e32 v2, 1.0, v2
	v_rcp_f32_e32 v2, v2
	v_fma_f32 v2, v2, -2.0, 1.0
.LBB16_33:
	s_andn2_saveexec_b32 s1, s1
	s_cbranch_execz .LBB16_35
; %bb.34:
	v_mul_f32_e32 v2, v1, v1
	s_mov_b32 s7, 0xbbbac73d
	v_fmaak_f32 v3, s7, v2, 0x3ca908c9
	v_fmaak_f32 v3, v2, v3, 0xbd5c1c4e
	;; [unrolled: 1-line block ×4, first 2 shown]
	v_mul_f32_e64 v3, |v1|, v3
	v_fma_f32 v2, v2, v3, |v1|
.LBB16_35:
	s_or_b32 exec_lo, exec_lo, s1
	v_bfi_b32 v1, 0x7fffffff, v2, v1
	v_mul_f32_e32 v2, 0.5, v11
	v_add_f32_e32 v1, 1.0, v1
	v_mul_f32_e32 v1, v2, v1
	v_mul_f32_e32 v0, v0, v1
.LBB16_36:
	v_mov_b32_e32 v1, v0
.LBB16_37:
	v_mov_b32_e32 v0, v1
.LBB16_38:
	s_load_dwordx2 s[4:5], s[4:5], 0x38
	s_lshl_b64 s[2:3], s[2:3], 2
	s_mul_i32 s0, s22, s0
	v_mov_b32_e32 v1, 0
	s_waitcnt lgkmcnt(0)
	s_add_u32 s2, s4, s2
	s_addc_u32 s3, s5, s3
	s_ashr_i32 s1, s0, 31
	s_lshl_b64 s[0:1], s[0:1], 2
	s_add_u32 s2, s2, s0
	s_addc_u32 s3, s3, s1
	s_ashr_i32 s7, s6, 31
	s_lshl_b64 s[0:1], s[6:7], 2
	s_add_u32 s0, s2, s0
	s_addc_u32 s1, s3, s1
	global_store_dword v1, v0, s[0:1]
.LBB16_39:
	s_endpgm
	.section	.rodata,"a",@progbits
	.p2align	6, 0x0
	.amdhsa_kernel _ZL13mul_mat_vec_fIffLi1ELi32ELb1ELb0EEvPKT_PKfPKi31ggml_cuda_mm_fusion_args_devicePfi15HIP_vector_typeIjLj3EEiiiSA_iiiSA_iiii
		.amdhsa_group_segment_fixed_size 0
		.amdhsa_private_segment_fixed_size 0
		.amdhsa_kernarg_size 144
		.amdhsa_user_sgpr_count 6
		.amdhsa_user_sgpr_private_segment_buffer 1
		.amdhsa_user_sgpr_dispatch_ptr 0
		.amdhsa_user_sgpr_queue_ptr 0
		.amdhsa_user_sgpr_kernarg_segment_ptr 1
		.amdhsa_user_sgpr_dispatch_id 0
		.amdhsa_user_sgpr_flat_scratch_init 0
		.amdhsa_user_sgpr_private_segment_size 0
		.amdhsa_wavefront_size32 1
		.amdhsa_uses_dynamic_stack 0
		.amdhsa_system_sgpr_private_segment_wavefront_offset 0
		.amdhsa_system_sgpr_workgroup_id_x 1
		.amdhsa_system_sgpr_workgroup_id_y 1
		.amdhsa_system_sgpr_workgroup_id_z 1
		.amdhsa_system_sgpr_workgroup_info 0
		.amdhsa_system_vgpr_workitem_id 0
		.amdhsa_next_free_vgpr 16
		.amdhsa_next_free_sgpr 40
		.amdhsa_reserve_vcc 1
		.amdhsa_reserve_flat_scratch 0
		.amdhsa_float_round_mode_32 0
		.amdhsa_float_round_mode_16_64 0
		.amdhsa_float_denorm_mode_32 3
		.amdhsa_float_denorm_mode_16_64 3
		.amdhsa_dx10_clamp 1
		.amdhsa_ieee_mode 1
		.amdhsa_fp16_overflow 0
		.amdhsa_workgroup_processor_mode 1
		.amdhsa_memory_ordered 1
		.amdhsa_forward_progress 1
		.amdhsa_shared_vgpr_count 0
		.amdhsa_exception_fp_ieee_invalid_op 0
		.amdhsa_exception_fp_denorm_src 0
		.amdhsa_exception_fp_ieee_div_zero 0
		.amdhsa_exception_fp_ieee_overflow 0
		.amdhsa_exception_fp_ieee_underflow 0
		.amdhsa_exception_fp_ieee_inexact 0
		.amdhsa_exception_int_div_zero 0
	.end_amdhsa_kernel
	.section	.text._ZL13mul_mat_vec_fIffLi1ELi32ELb1ELb0EEvPKT_PKfPKi31ggml_cuda_mm_fusion_args_devicePfi15HIP_vector_typeIjLj3EEiiiSA_iiiSA_iiii,"axG",@progbits,_ZL13mul_mat_vec_fIffLi1ELi32ELb1ELb0EEvPKT_PKfPKi31ggml_cuda_mm_fusion_args_devicePfi15HIP_vector_typeIjLj3EEiiiSA_iiiSA_iiii,comdat
.Lfunc_end16:
	.size	_ZL13mul_mat_vec_fIffLi1ELi32ELb1ELb0EEvPKT_PKfPKi31ggml_cuda_mm_fusion_args_devicePfi15HIP_vector_typeIjLj3EEiiiSA_iiiSA_iiii, .Lfunc_end16-_ZL13mul_mat_vec_fIffLi1ELi32ELb1ELb0EEvPKT_PKfPKi31ggml_cuda_mm_fusion_args_devicePfi15HIP_vector_typeIjLj3EEiiiSA_iiiSA_iiii
                                        ; -- End function
	.set _ZL13mul_mat_vec_fIffLi1ELi32ELb1ELb0EEvPKT_PKfPKi31ggml_cuda_mm_fusion_args_devicePfi15HIP_vector_typeIjLj3EEiiiSA_iiiSA_iiii.num_vgpr, 16
	.set _ZL13mul_mat_vec_fIffLi1ELi32ELb1ELb0EEvPKT_PKfPKi31ggml_cuda_mm_fusion_args_devicePfi15HIP_vector_typeIjLj3EEiiiSA_iiiSA_iiii.num_agpr, 0
	.set _ZL13mul_mat_vec_fIffLi1ELi32ELb1ELb0EEvPKT_PKfPKi31ggml_cuda_mm_fusion_args_devicePfi15HIP_vector_typeIjLj3EEiiiSA_iiiSA_iiii.numbered_sgpr, 40
	.set _ZL13mul_mat_vec_fIffLi1ELi32ELb1ELb0EEvPKT_PKfPKi31ggml_cuda_mm_fusion_args_devicePfi15HIP_vector_typeIjLj3EEiiiSA_iiiSA_iiii.num_named_barrier, 0
	.set _ZL13mul_mat_vec_fIffLi1ELi32ELb1ELb0EEvPKT_PKfPKi31ggml_cuda_mm_fusion_args_devicePfi15HIP_vector_typeIjLj3EEiiiSA_iiiSA_iiii.private_seg_size, 0
	.set _ZL13mul_mat_vec_fIffLi1ELi32ELb1ELb0EEvPKT_PKfPKi31ggml_cuda_mm_fusion_args_devicePfi15HIP_vector_typeIjLj3EEiiiSA_iiiSA_iiii.uses_vcc, 1
	.set _ZL13mul_mat_vec_fIffLi1ELi32ELb1ELb0EEvPKT_PKfPKi31ggml_cuda_mm_fusion_args_devicePfi15HIP_vector_typeIjLj3EEiiiSA_iiiSA_iiii.uses_flat_scratch, 0
	.set _ZL13mul_mat_vec_fIffLi1ELi32ELb1ELb0EEvPKT_PKfPKi31ggml_cuda_mm_fusion_args_devicePfi15HIP_vector_typeIjLj3EEiiiSA_iiiSA_iiii.has_dyn_sized_stack, 0
	.set _ZL13mul_mat_vec_fIffLi1ELi32ELb1ELb0EEvPKT_PKfPKi31ggml_cuda_mm_fusion_args_devicePfi15HIP_vector_typeIjLj3EEiiiSA_iiiSA_iiii.has_recursion, 0
	.set _ZL13mul_mat_vec_fIffLi1ELi32ELb1ELb0EEvPKT_PKfPKi31ggml_cuda_mm_fusion_args_devicePfi15HIP_vector_typeIjLj3EEiiiSA_iiiSA_iiii.has_indirect_call, 0
	.section	.AMDGPU.csdata,"",@progbits
; Kernel info:
; codeLenInByte = 1980
; TotalNumSgprs: 42
; NumVgprs: 16
; ScratchSize: 0
; MemoryBound: 0
; FloatMode: 240
; IeeeMode: 1
; LDSByteSize: 0 bytes/workgroup (compile time only)
; SGPRBlocks: 0
; VGPRBlocks: 1
; NumSGPRsForWavesPerEU: 42
; NumVGPRsForWavesPerEU: 16
; Occupancy: 16
; WaveLimiterHint : 1
; COMPUTE_PGM_RSRC2:SCRATCH_EN: 0
; COMPUTE_PGM_RSRC2:USER_SGPR: 6
; COMPUTE_PGM_RSRC2:TRAP_HANDLER: 0
; COMPUTE_PGM_RSRC2:TGID_X_EN: 1
; COMPUTE_PGM_RSRC2:TGID_Y_EN: 1
; COMPUTE_PGM_RSRC2:TGID_Z_EN: 1
; COMPUTE_PGM_RSRC2:TIDIG_COMP_CNT: 0
	.section	.text._ZL13mul_mat_vec_fIffLi1ELi32ELb0ELb0EEvPKT_PKfPKi31ggml_cuda_mm_fusion_args_devicePfi15HIP_vector_typeIjLj3EEiiiSA_iiiSA_iiii,"axG",@progbits,_ZL13mul_mat_vec_fIffLi1ELi32ELb0ELb0EEvPKT_PKfPKi31ggml_cuda_mm_fusion_args_devicePfi15HIP_vector_typeIjLj3EEiiiSA_iiiSA_iiii,comdat
	.globl	_ZL13mul_mat_vec_fIffLi1ELi32ELb0ELb0EEvPKT_PKfPKi31ggml_cuda_mm_fusion_args_devicePfi15HIP_vector_typeIjLj3EEiiiSA_iiiSA_iiii ; -- Begin function _ZL13mul_mat_vec_fIffLi1ELi32ELb0ELb0EEvPKT_PKfPKi31ggml_cuda_mm_fusion_args_devicePfi15HIP_vector_typeIjLj3EEiiiSA_iiiSA_iiii
	.p2align	8
	.type	_ZL13mul_mat_vec_fIffLi1ELi32ELb0ELb0EEvPKT_PKfPKi31ggml_cuda_mm_fusion_args_devicePfi15HIP_vector_typeIjLj3EEiiiSA_iiiSA_iiii,@function
_ZL13mul_mat_vec_fIffLi1ELi32ELb0ELb0EEvPKT_PKfPKi31ggml_cuda_mm_fusion_args_devicePfi15HIP_vector_typeIjLj3EEiiiSA_iiiSA_iiii: ; @_ZL13mul_mat_vec_fIffLi1ELi32ELb0ELb0EEvPKT_PKfPKi31ggml_cuda_mm_fusion_args_devicePfi15HIP_vector_typeIjLj3EEiiiSA_iiiSA_iiii
; %bb.0:
	s_clause 0x2
	s_load_dwordx2 s[12:13], s[4:5], 0x10
	s_load_dwordx4 s[16:19], s[4:5], 0x40
	s_load_dwordx4 s[0:3], s[4:5], 0x80
	s_waitcnt lgkmcnt(0)
	s_cmp_eq_u64 s[12:13], 0
	s_cselect_b32 s9, -1, 0
	s_cmp_lg_u64 s[12:13], 0
	s_cselect_b32 s23, -1, 0
	s_and_b32 vcc_lo, exec_lo, s9
	s_cbranch_vccnz .LBB17_2
; %bb.1:
	s_mul_i32 s3, s3, s8
	s_mov_b32 s11, 0
	s_add_i32 s10, s3, s7
	s_lshl_b64 s[14:15], s[10:11], 2
	s_add_u32 s12, s12, s14
	s_addc_u32 s13, s13, s15
	s_load_dword s21, s[12:13], 0x0
	s_clause 0x1
	s_load_dwordx4 s[12:15], s[4:5], 0x68
	s_load_dword s22, s[4:5], 0x50
	s_cbranch_execz .LBB17_3
	s_branch .LBB17_4
.LBB17_2:
                                        ; implicit-def: $sgpr21
	s_clause 0x1
	s_load_dwordx4 s[12:15], s[4:5], 0x68
	s_load_dword s22, s[4:5], 0x50
.LBB17_3:
	s_load_dwordx2 s[10:11], s[4:5], 0x5c
	s_waitcnt lgkmcnt(0)
	s_mul_hi_u32 s3, s10, s7
	s_add_i32 s3, s7, s3
	s_lshr_b32 s21, s3, s11
.LBB17_4:
	s_load_dword s20, s[4:5], 0x78
	s_andn2_b32 vcc_lo, exec_lo, s23
	s_mov_b32 s23, s7
	s_cbranch_vccnz .LBB17_6
; %bb.5:
	s_mul_hi_u32 s3, s17, s7
	s_add_i32 s3, s7, s3
	s_lshr_b32 s3, s3, s18
	s_mul_i32 s3, s3, s19
	s_sub_i32 s23, s7, s3
.LBB17_6:
	v_mov_b32_e32 v5, 0
	s_and_b32 s3, exec_lo, s9
	s_mov_b32 s18, 0
	s_cselect_b32 s3, s8, 0
	s_mov_b32 s17, exec_lo
	v_cmpx_gt_i32_e64 s16, v0
	s_cbranch_execz .LBB17_10
; %bb.7:
	s_load_dwordx4 s[8:11], s[4:5], 0x0
	s_waitcnt lgkmcnt(0)
	s_mul_hi_u32 s15, s15, s3
	s_mul_i32 s12, s21, s12
	s_add_i32 s15, s3, s15
	s_mul_i32 s22, s22, s6
	s_lshr_b32 s15, s15, s20
	s_mul_i32 s24, s23, s13
	s_ashr_i32 s13, s12, 31
	s_ashr_i32 s23, s22, 31
	s_mul_hi_i32 s27, s15, s0
	s_mul_i32 s26, s15, s0
	s_lshl_b64 s[12:13], s[12:13], 2
	s_ashr_i32 s25, s24, 31
	s_lshl_b64 s[22:23], s[22:23], 2
	s_lshl_b64 s[26:27], s[26:27], 2
	v_lshlrev_b32_e32 v1, 3, v0
	s_mul_hi_i32 s21, s3, s1
	s_mul_i32 s20, s3, s1
	v_mov_b32_e32 v5, 0
	s_add_u32 s0, s8, s12
	s_addc_u32 s8, s9, s13
	s_add_u32 s0, s0, s22
	s_addc_u32 s8, s8, s23
	;; [unrolled: 2-line block ×3, first 2 shown]
	v_add_co_u32 v2, s0, s0, v1
	v_add_co_ci_u32_e64 v3, null, s8, 0, s0
	s_lshl_b64 s[0:1], s[24:25], 2
	s_lshl_b64 s[8:9], s[20:21], 2
	s_add_u32 s0, s10, s0
	s_addc_u32 s1, s11, s1
	s_add_u32 s0, s0, s8
	s_addc_u32 s1, s1, s9
	v_add_co_u32 v4, s0, s0, v1
	v_add_co_ci_u32_e64 v6, null, s1, 0, s0
	v_add_co_u32 v1, vcc_lo, v2, 4
	v_add_co_ci_u32_e64 v2, null, 0, v3, vcc_lo
	v_add_co_u32 v3, vcc_lo, v4, 4
	v_add_co_ci_u32_e64 v4, null, 0, v6, vcc_lo
	v_mov_b32_e32 v6, v0
	.p2align	6
.LBB17_8:                               ; =>This Inner Loop Header: Depth=1
	global_load_dwordx2 v[7:8], v[1:2], off offset:-4
	global_load_dwordx2 v[9:10], v[3:4], off offset:-4
	v_add_nc_u32_e32 v6, 32, v6
	v_add_co_u32 v1, vcc_lo, 0x100, v1
	v_add_co_ci_u32_e64 v2, null, 0, v2, vcc_lo
	v_add_co_u32 v3, vcc_lo, 0x100, v3
	v_cmp_le_i32_e64 s0, s16, v6
	v_add_co_ci_u32_e64 v4, null, 0, v4, vcc_lo
	s_or_b32 s18, s0, s18
	s_waitcnt vmcnt(0)
	v_fmac_f32_e32 v5, v7, v9
	v_fmac_f32_e32 v5, v8, v10
	s_andn2_b32 exec_lo, exec_lo, s18
	s_cbranch_execnz .LBB17_8
; %bb.9:
	s_or_b32 exec_lo, exec_lo, s18
.LBB17_10:
	s_or_b32 exec_lo, exec_lo, s17
	v_mbcnt_lo_u32_b32 v1, -1, 0
	s_mov_b32 s0, exec_lo
	v_xor_b32_e32 v2, 16, v1
	v_xor_b32_e32 v3, 8, v1
	;; [unrolled: 1-line block ×3, first 2 shown]
	v_cmp_gt_i32_e32 vcc_lo, 32, v2
	v_cndmask_b32_e32 v2, v1, v2, vcc_lo
	v_cmp_gt_i32_e32 vcc_lo, 32, v3
	v_lshlrev_b32_e32 v2, 2, v2
	v_cndmask_b32_e32 v3, v1, v3, vcc_lo
	v_cmp_gt_i32_e32 vcc_lo, 32, v4
	ds_bpermute_b32 v2, v2, v5
	v_lshlrev_b32_e32 v3, 2, v3
	v_cndmask_b32_e32 v4, v1, v4, vcc_lo
	v_lshlrev_b32_e32 v4, 2, v4
	s_waitcnt lgkmcnt(0)
	v_add_f32_e32 v2, v5, v2
	ds_bpermute_b32 v3, v3, v2
	s_waitcnt lgkmcnt(0)
	v_add_f32_e32 v2, v2, v3
	ds_bpermute_b32 v3, v4, v2
	v_xor_b32_e32 v4, 2, v1
	v_cmp_gt_i32_e32 vcc_lo, 32, v4
	v_cndmask_b32_e32 v4, v1, v4, vcc_lo
	v_lshlrev_b32_e32 v4, 2, v4
	s_waitcnt lgkmcnt(0)
	v_add_f32_e32 v2, v2, v3
	ds_bpermute_b32 v3, v4, v2
	v_xor_b32_e32 v4, 1, v1
	v_cmp_gt_i32_e32 vcc_lo, 32, v4
	v_cndmask_b32_e32 v1, v1, v4, vcc_lo
	v_lshlrev_b32_e32 v4, 2, v1
	s_waitcnt lgkmcnt(0)
	v_add_f32_e32 v1, v2, v3
	ds_bpermute_b32 v2, v4, v1
	v_cmpx_eq_u32_e32 0, v0
	s_cbranch_execz .LBB17_12
; %bb.11:
	s_load_dwordx2 s[0:1], s[4:5], 0x38
	s_mul_hi_i32 s5, s2, s3
	s_mul_i32 s4, s2, s3
	s_mul_i32 s2, s14, s7
	s_lshl_b64 s[4:5], s[4:5], 2
	s_ashr_i32 s3, s2, 31
	s_waitcnt lgkmcnt(0)
	v_add_f32_e32 v0, v1, v2
	v_mov_b32_e32 v1, 0
	s_add_u32 s4, s0, s4
	s_addc_u32 s5, s1, s5
	s_lshl_b64 s[0:1], s[2:3], 2
	s_add_u32 s2, s4, s0
	s_addc_u32 s3, s5, s1
	s_ashr_i32 s7, s6, 31
	s_lshl_b64 s[0:1], s[6:7], 2
	s_add_u32 s0, s2, s0
	s_addc_u32 s1, s3, s1
	global_store_dword v1, v0, s[0:1]
.LBB17_12:
	s_endpgm
	.section	.rodata,"a",@progbits
	.p2align	6, 0x0
	.amdhsa_kernel _ZL13mul_mat_vec_fIffLi1ELi32ELb0ELb0EEvPKT_PKfPKi31ggml_cuda_mm_fusion_args_devicePfi15HIP_vector_typeIjLj3EEiiiSA_iiiSA_iiii
		.amdhsa_group_segment_fixed_size 0
		.amdhsa_private_segment_fixed_size 0
		.amdhsa_kernarg_size 144
		.amdhsa_user_sgpr_count 6
		.amdhsa_user_sgpr_private_segment_buffer 1
		.amdhsa_user_sgpr_dispatch_ptr 0
		.amdhsa_user_sgpr_queue_ptr 0
		.amdhsa_user_sgpr_kernarg_segment_ptr 1
		.amdhsa_user_sgpr_dispatch_id 0
		.amdhsa_user_sgpr_flat_scratch_init 0
		.amdhsa_user_sgpr_private_segment_size 0
		.amdhsa_wavefront_size32 1
		.amdhsa_uses_dynamic_stack 0
		.amdhsa_system_sgpr_private_segment_wavefront_offset 0
		.amdhsa_system_sgpr_workgroup_id_x 1
		.amdhsa_system_sgpr_workgroup_id_y 1
		.amdhsa_system_sgpr_workgroup_id_z 1
		.amdhsa_system_sgpr_workgroup_info 0
		.amdhsa_system_vgpr_workitem_id 0
		.amdhsa_next_free_vgpr 11
		.amdhsa_next_free_sgpr 28
		.amdhsa_reserve_vcc 1
		.amdhsa_reserve_flat_scratch 0
		.amdhsa_float_round_mode_32 0
		.amdhsa_float_round_mode_16_64 0
		.amdhsa_float_denorm_mode_32 3
		.amdhsa_float_denorm_mode_16_64 3
		.amdhsa_dx10_clamp 1
		.amdhsa_ieee_mode 1
		.amdhsa_fp16_overflow 0
		.amdhsa_workgroup_processor_mode 1
		.amdhsa_memory_ordered 1
		.amdhsa_forward_progress 1
		.amdhsa_shared_vgpr_count 0
		.amdhsa_exception_fp_ieee_invalid_op 0
		.amdhsa_exception_fp_denorm_src 0
		.amdhsa_exception_fp_ieee_div_zero 0
		.amdhsa_exception_fp_ieee_overflow 0
		.amdhsa_exception_fp_ieee_underflow 0
		.amdhsa_exception_fp_ieee_inexact 0
		.amdhsa_exception_int_div_zero 0
	.end_amdhsa_kernel
	.section	.text._ZL13mul_mat_vec_fIffLi1ELi32ELb0ELb0EEvPKT_PKfPKi31ggml_cuda_mm_fusion_args_devicePfi15HIP_vector_typeIjLj3EEiiiSA_iiiSA_iiii,"axG",@progbits,_ZL13mul_mat_vec_fIffLi1ELi32ELb0ELb0EEvPKT_PKfPKi31ggml_cuda_mm_fusion_args_devicePfi15HIP_vector_typeIjLj3EEiiiSA_iiiSA_iiii,comdat
.Lfunc_end17:
	.size	_ZL13mul_mat_vec_fIffLi1ELi32ELb0ELb0EEvPKT_PKfPKi31ggml_cuda_mm_fusion_args_devicePfi15HIP_vector_typeIjLj3EEiiiSA_iiiSA_iiii, .Lfunc_end17-_ZL13mul_mat_vec_fIffLi1ELi32ELb0ELb0EEvPKT_PKfPKi31ggml_cuda_mm_fusion_args_devicePfi15HIP_vector_typeIjLj3EEiiiSA_iiiSA_iiii
                                        ; -- End function
	.set _ZL13mul_mat_vec_fIffLi1ELi32ELb0ELb0EEvPKT_PKfPKi31ggml_cuda_mm_fusion_args_devicePfi15HIP_vector_typeIjLj3EEiiiSA_iiiSA_iiii.num_vgpr, 11
	.set _ZL13mul_mat_vec_fIffLi1ELi32ELb0ELb0EEvPKT_PKfPKi31ggml_cuda_mm_fusion_args_devicePfi15HIP_vector_typeIjLj3EEiiiSA_iiiSA_iiii.num_agpr, 0
	.set _ZL13mul_mat_vec_fIffLi1ELi32ELb0ELb0EEvPKT_PKfPKi31ggml_cuda_mm_fusion_args_devicePfi15HIP_vector_typeIjLj3EEiiiSA_iiiSA_iiii.numbered_sgpr, 28
	.set _ZL13mul_mat_vec_fIffLi1ELi32ELb0ELb0EEvPKT_PKfPKi31ggml_cuda_mm_fusion_args_devicePfi15HIP_vector_typeIjLj3EEiiiSA_iiiSA_iiii.num_named_barrier, 0
	.set _ZL13mul_mat_vec_fIffLi1ELi32ELb0ELb0EEvPKT_PKfPKi31ggml_cuda_mm_fusion_args_devicePfi15HIP_vector_typeIjLj3EEiiiSA_iiiSA_iiii.private_seg_size, 0
	.set _ZL13mul_mat_vec_fIffLi1ELi32ELb0ELb0EEvPKT_PKfPKi31ggml_cuda_mm_fusion_args_devicePfi15HIP_vector_typeIjLj3EEiiiSA_iiiSA_iiii.uses_vcc, 1
	.set _ZL13mul_mat_vec_fIffLi1ELi32ELb0ELb0EEvPKT_PKfPKi31ggml_cuda_mm_fusion_args_devicePfi15HIP_vector_typeIjLj3EEiiiSA_iiiSA_iiii.uses_flat_scratch, 0
	.set _ZL13mul_mat_vec_fIffLi1ELi32ELb0ELb0EEvPKT_PKfPKi31ggml_cuda_mm_fusion_args_devicePfi15HIP_vector_typeIjLj3EEiiiSA_iiiSA_iiii.has_dyn_sized_stack, 0
	.set _ZL13mul_mat_vec_fIffLi1ELi32ELb0ELb0EEvPKT_PKfPKi31ggml_cuda_mm_fusion_args_devicePfi15HIP_vector_typeIjLj3EEiiiSA_iiiSA_iiii.has_recursion, 0
	.set _ZL13mul_mat_vec_fIffLi1ELi32ELb0ELb0EEvPKT_PKfPKi31ggml_cuda_mm_fusion_args_devicePfi15HIP_vector_typeIjLj3EEiiiSA_iiiSA_iiii.has_indirect_call, 0
	.section	.AMDGPU.csdata,"",@progbits
; Kernel info:
; codeLenInByte = 808
; TotalNumSgprs: 30
; NumVgprs: 11
; ScratchSize: 0
; MemoryBound: 0
; FloatMode: 240
; IeeeMode: 1
; LDSByteSize: 0 bytes/workgroup (compile time only)
; SGPRBlocks: 0
; VGPRBlocks: 1
; NumSGPRsForWavesPerEU: 30
; NumVGPRsForWavesPerEU: 11
; Occupancy: 16
; WaveLimiterHint : 0
; COMPUTE_PGM_RSRC2:SCRATCH_EN: 0
; COMPUTE_PGM_RSRC2:USER_SGPR: 6
; COMPUTE_PGM_RSRC2:TRAP_HANDLER: 0
; COMPUTE_PGM_RSRC2:TGID_X_EN: 1
; COMPUTE_PGM_RSRC2:TGID_Y_EN: 1
; COMPUTE_PGM_RSRC2:TGID_Z_EN: 1
; COMPUTE_PGM_RSRC2:TIDIG_COMP_CNT: 0
	.section	.text._ZL13mul_mat_vec_fIffLi1ELi64ELb1ELb0EEvPKT_PKfPKi31ggml_cuda_mm_fusion_args_devicePfi15HIP_vector_typeIjLj3EEiiiSA_iiiSA_iiii,"axG",@progbits,_ZL13mul_mat_vec_fIffLi1ELi64ELb1ELb0EEvPKT_PKfPKi31ggml_cuda_mm_fusion_args_devicePfi15HIP_vector_typeIjLj3EEiiiSA_iiiSA_iiii,comdat
	.globl	_ZL13mul_mat_vec_fIffLi1ELi64ELb1ELb0EEvPKT_PKfPKi31ggml_cuda_mm_fusion_args_devicePfi15HIP_vector_typeIjLj3EEiiiSA_iiiSA_iiii ; -- Begin function _ZL13mul_mat_vec_fIffLi1ELi64ELb1ELb0EEvPKT_PKfPKi31ggml_cuda_mm_fusion_args_devicePfi15HIP_vector_typeIjLj3EEiiiSA_iiiSA_iiii
	.p2align	8
	.type	_ZL13mul_mat_vec_fIffLi1ELi64ELb1ELb0EEvPKT_PKfPKi31ggml_cuda_mm_fusion_args_devicePfi15HIP_vector_typeIjLj3EEiiiSA_iiiSA_iiii,@function
_ZL13mul_mat_vec_fIffLi1ELi64ELb1ELb0EEvPKT_PKfPKi31ggml_cuda_mm_fusion_args_devicePfi15HIP_vector_typeIjLj3EEiiiSA_iiiSA_iiii: ; @_ZL13mul_mat_vec_fIffLi1ELi64ELb1ELb0EEvPKT_PKfPKi31ggml_cuda_mm_fusion_args_devicePfi15HIP_vector_typeIjLj3EEiiiSA_iiiSA_iiii
; %bb.0:
	s_clause 0x3
	s_load_dwordx8 s[12:19], s[4:5], 0x0
	s_load_dwordx4 s[24:27], s[4:5], 0x20
	s_load_dwordx4 s[36:39], s[4:5], 0x40
	s_load_dwordx4 s[28:31], s[4:5], 0x80
	s_mov_b32 s0, s7
	s_waitcnt lgkmcnt(0)
	s_cmp_eq_u64 s[16:17], 0
	s_cselect_b32 s11, -1, 0
	s_cmp_lg_u64 s[16:17], 0
	s_cselect_b32 s1, -1, 0
	s_and_b32 vcc_lo, exec_lo, s11
	s_cbranch_vccnz .LBB18_2
; %bb.1:
	s_mul_i32 s2, s31, s8
	s_mov_b32 s3, 0
	s_add_i32 s2, s2, s0
	s_lshl_b64 s[20:21], s[2:3], 2
	s_add_u32 s16, s16, s20
	s_addc_u32 s17, s17, s21
	s_load_dword s7, s[16:17], 0x0
	s_load_dword s16, s[4:5], 0x50
	s_waitcnt lgkmcnt(0)
	s_mov_b32 s3, s7
	s_cbranch_execz .LBB18_3
	s_branch .LBB18_4
.LBB18_2:
                                        ; implicit-def: $sgpr7
	s_load_dword s16, s[4:5], 0x50
	s_mov_b32 s3, s7
.LBB18_3:
	s_load_dwordx2 s[2:3], s[4:5], 0x5c
	s_mov_b32 s7, s0
	s_waitcnt lgkmcnt(0)
	s_mul_hi_u32 s2, s2, s0
	s_add_i32 s2, s0, s2
	s_lshr_b32 s3, s2, s3
.LBB18_4:
	s_load_dwordx4 s[20:23], s[4:5], 0x68
	s_andn2_b32 vcc_lo, exec_lo, s1
	s_mov_b32 s17, s0
	s_cbranch_vccnz .LBB18_6
; %bb.5:
	s_mul_hi_u32 s1, s37, s0
	s_add_i32 s1, s0, s1
	s_lshr_b32 s1, s1, s38
	s_mul_i32 s1, s1, s39
	s_sub_i32 s17, s0, s1
.LBB18_6:
	s_load_dword s31, s[4:5], 0x78
	s_cmp_lg_u64 s[24:25], 0
	v_cmp_gt_u32_e64 s2, 32, v0
	v_lshl_add_u32 v12, v0, 2, 0
	s_cselect_b32 s1, -1, 0
	s_cmp_eq_u64 s[24:25], 0
	s_cselect_b32 s9, -1, 0
	s_and_saveexec_b32 s10, s2
	s_cbranch_execz .LBB18_9
; %bb.7:
	v_mov_b32_e32 v1, 0
	s_andn2_b32 vcc_lo, exec_lo, s1
	ds_write_b32 v12, v1
	s_cbranch_vccnz .LBB18_9
; %bb.8:
	ds_write_b32 v12, v1 offset:128
.LBB18_9:
	s_or_b32 exec_lo, exec_lo, s10
	v_mov_b32_e32 v11, 0
	v_mov_b32_e32 v13, 0
	s_and_b32 s11, exec_lo, s11
	s_mov_b32 s10, 0
	s_cselect_b32 s11, s8, 0
	s_mov_b32 s8, exec_lo
	s_waitcnt lgkmcnt(0)
	s_barrier
	buffer_gl0_inv
	v_cmpx_gt_i32_e64 s36, v0
	s_cbranch_execz .LBB18_15
; %bb.10:
	s_mul_hi_u32 s23, s23, s11
	s_mul_i32 s3, s3, s20
	s_add_i32 s23, s11, s23
	s_mul_i32 s16, s16, s6
	s_lshr_b32 s20, s23, s31
	s_ashr_i32 s31, s16, 31
	s_mul_hi_i32 s23, s20, s28
	s_mul_i32 s20, s20, s28
	s_ashr_i32 s28, s3, 31
	s_add_u32 s16, s20, s16
	s_addc_u32 s23, s23, s31
	s_mul_i32 s20, s17, s21
	s_add_u32 s16, s16, s3
	s_addc_u32 s17, s23, s28
	s_ashr_i32 s21, s20, 31
	s_and_b32 s3, s1, exec_lo
	s_cselect_b32 s3, s25, 0
	s_cselect_b32 s23, s24, 0
	;; [unrolled: 1-line block ×4, first 2 shown]
	v_lshlrev_b32_e32 v3, 3, v0
	s_lshl_b64 s[24:25], s[24:25], 2
	v_mov_b32_e32 v11, 0
	s_add_u32 s23, s23, s24
	s_addc_u32 s3, s3, s25
	s_mul_hi_i32 s25, s11, s29
	s_mul_i32 s24, s11, s29
	v_add_co_u32 v1, s23, s23, v3
	s_lshl_b64 s[20:21], s[20:21], 2
	s_lshl_b64 s[24:25], s[24:25], 2
	v_add_co_ci_u32_e64 v2, null, s3, 0, s23
	s_add_u32 s3, s14, s20
	s_addc_u32 s14, s15, s21
	s_add_u32 s3, s3, s24
	s_addc_u32 s20, s14, s25
	s_lshl_b64 s[14:15], s[16:17], 2
	v_add_co_u32 v4, s3, s3, v3
	v_add_co_ci_u32_e64 v5, null, s20, 0, s3
	s_add_u32 s3, s12, s14
	s_addc_u32 s12, s13, s15
	v_add_co_u32 v6, s3, s3, v3
	v_add_co_u32 v1, vcc_lo, v1, 4
	v_add_co_ci_u32_e64 v7, null, s12, 0, s3
	v_add_co_ci_u32_e64 v2, null, 0, v2, vcc_lo
	v_add_co_u32 v3, vcc_lo, v4, 4
	v_add_co_ci_u32_e64 v4, null, 0, v5, vcc_lo
	v_add_co_u32 v5, vcc_lo, v6, 4
	v_add_co_ci_u32_e64 v6, null, 0, v7, vcc_lo
	v_mov_b32_e32 v14, v0
	v_mov_b32_e32 v13, 0
	s_inst_prefetch 0x1
	s_branch .LBB18_12
	.p2align	6
.LBB18_11:                              ;   in Loop: Header=BB18_12 Depth=1
	global_load_dwordx2 v[15:16], v[3:4], off offset:-4
	v_add_nc_u32_e32 v14, 64, v14
	v_add_co_u32 v1, vcc_lo, 0x200, v1
	v_add_co_ci_u32_e64 v2, null, 0, v2, vcc_lo
	v_add_co_u32 v3, vcc_lo, 0x200, v3
	v_add_co_ci_u32_e64 v4, null, 0, v4, vcc_lo
	v_cmp_le_i32_e32 vcc_lo, s36, v14
	v_add_co_u32 v5, s3, 0x200, v5
	v_add_co_ci_u32_e64 v6, null, 0, v6, s3
	s_or_b32 s10, vcc_lo, s10
	s_waitcnt vmcnt(0)
	v_fma_f32 v9, v9, v15, v11
	v_fmac_f32_e32 v13, v7, v15
	v_fmac_f32_e32 v9, v10, v16
	;; [unrolled: 1-line block ×3, first 2 shown]
	v_cndmask_b32_e64 v11, v11, v9, s1
	s_andn2_b32 exec_lo, exec_lo, s10
	s_cbranch_execz .LBB18_14
.LBB18_12:                              ; =>This Inner Loop Header: Depth=1
	global_load_dwordx2 v[7:8], v[5:6], off offset:-4
	v_mov_b32_e32 v10, 0
	v_mov_b32_e32 v9, 0
	s_andn2_b32 vcc_lo, exec_lo, s1
	s_cbranch_vccnz .LBB18_11
; %bb.13:                               ;   in Loop: Header=BB18_12 Depth=1
	global_load_dwordx2 v[9:10], v[1:2], off offset:-4
	s_branch .LBB18_11
.LBB18_14:
	s_inst_prefetch 0x2
	s_or_b32 exec_lo, exec_lo, s10
.LBB18_15:
	s_or_b32 exec_lo, exec_lo, s8
	v_mbcnt_lo_u32_b32 v1, -1, 0
	s_load_dword s10, s[4:5], 0x30
	s_mov_b32 s3, -1
	v_xor_b32_e32 v2, 16, v1
	v_xor_b32_e32 v3, 8, v1
	v_cmp_gt_i32_e32 vcc_lo, 32, v2
	v_cndmask_b32_e32 v2, v1, v2, vcc_lo
	v_cmp_gt_i32_e32 vcc_lo, 32, v3
	v_lshlrev_b32_e32 v2, 2, v2
	v_cndmask_b32_e32 v3, v1, v3, vcc_lo
	ds_bpermute_b32 v4, v2, v13
	v_lshlrev_b32_e32 v3, 2, v3
	s_waitcnt lgkmcnt(0)
	v_add_f32_e32 v5, v13, v4
	v_xor_b32_e32 v4, 4, v1
	ds_bpermute_b32 v6, v3, v5
	v_cmp_gt_i32_e32 vcc_lo, 32, v4
	v_cndmask_b32_e32 v4, v1, v4, vcc_lo
	v_lshlrev_b32_e32 v4, 2, v4
	s_waitcnt lgkmcnt(0)
	v_add_f32_e32 v6, v5, v6
	v_xor_b32_e32 v5, 2, v1
	ds_bpermute_b32 v7, v4, v6
	v_cmp_gt_i32_e32 vcc_lo, 32, v5
	v_cndmask_b32_e32 v5, v1, v5, vcc_lo
	;; [unrolled: 7-line block ×3, first 2 shown]
	s_and_b32 vcc_lo, exec_lo, s9
	v_lshlrev_b32_e32 v6, 2, v1
	s_waitcnt lgkmcnt(0)
	v_add_f32_e32 v1, v7, v8
	v_lshrrev_b32_e32 v8, 5, v0
	ds_bpermute_b32 v7, v6, v1
	s_waitcnt lgkmcnt(0)
	v_add_f32_e32 v1, v1, v7
	v_lshl_add_u32 v7, v8, 2, 0
	s_cbranch_vccz .LBB18_17
; %bb.16:
	s_mov_b32 s3, 0
	ds_write_b32 v7, v1
.LBB18_17:
	s_andn2_b32 vcc_lo, exec_lo, s3
	s_cbranch_vccnz .LBB18_19
; %bb.18:
	ds_bpermute_b32 v8, v2, v11
	s_waitcnt lgkmcnt(0)
	v_add_f32_e32 v8, v11, v8
	ds_bpermute_b32 v9, v3, v8
	s_waitcnt lgkmcnt(0)
	v_add_f32_e32 v8, v8, v9
	;; [unrolled: 3-line block ×5, first 2 shown]
	ds_write2_b32 v7, v1, v11 offset1:32
.LBB18_19:
	s_waitcnt lgkmcnt(0)
	s_barrier
	buffer_gl0_inv
	s_and_saveexec_b32 s3, s2
	s_cbranch_execz .LBB18_23
; %bb.20:
	ds_read_b32 v1, v12
	s_andn2_b32 vcc_lo, exec_lo, s1
	s_waitcnt lgkmcnt(0)
	ds_bpermute_b32 v7, v2, v1
	s_waitcnt lgkmcnt(0)
	v_add_f32_e32 v1, v1, v7
	ds_bpermute_b32 v7, v3, v1
	s_waitcnt lgkmcnt(0)
	v_add_f32_e32 v1, v1, v7
	;; [unrolled: 3-line block ×4, first 2 shown]
	ds_bpermute_b32 v7, v6, v1
	s_cbranch_vccnz .LBB18_22
; %bb.21:
	ds_read_b32 v8, v12 offset:128
	s_waitcnt lgkmcnt(0)
	ds_bpermute_b32 v2, v2, v8
	s_waitcnt lgkmcnt(0)
	v_add_f32_e32 v2, v8, v2
	ds_bpermute_b32 v3, v3, v2
	s_waitcnt lgkmcnt(0)
	v_add_f32_e32 v2, v2, v3
	;; [unrolled: 3-line block ×5, first 2 shown]
.LBB18_22:
	s_waitcnt lgkmcnt(0)
	v_add_f32_e32 v1, v1, v7
.LBB18_23:
	s_or_b32 exec_lo, exec_lo, s3
	s_barrier
	buffer_gl0_inv
	s_mov_b32 s2, exec_lo
	v_cmpx_eq_u32_e32 0, v0
	s_cbranch_execz .LBB18_47
; %bb.24:
	s_cmp_eq_u64 s[18:19], 0
	s_mul_i32 s8, s7, s22
	s_cselect_b32 s2, -1, 0
	s_ashr_i32 s9, s8, 31
	s_mul_hi_i32 s3, s30, s11
	s_and_b32 vcc_lo, exec_lo, s2
	s_mul_i32 s2, s30, s11
	s_cbranch_vccnz .LBB18_26
; %bb.25:
	s_cselect_b32 s7, 0, s19
	s_cselect_b32 s11, 0, s18
	s_lshl_b64 s[12:13], s[2:3], 2
	s_add_u32 s11, s11, s12
	s_addc_u32 s7, s7, s13
	s_lshl_b64 s[12:13], s[8:9], 2
	s_add_u32 s11, s11, s12
	s_addc_u32 s14, s7, s13
	s_ashr_i32 s7, s6, 31
	s_lshl_b64 s[12:13], s[6:7], 2
	s_add_u32 s12, s11, s12
	s_addc_u32 s13, s14, s13
	s_load_dword s7, s[12:13], 0x0
	s_waitcnt lgkmcnt(0)
	v_add_f32_e32 v1, s7, v1
.LBB18_26:
	s_andn2_b32 vcc_lo, exec_lo, s1
	s_cbranch_vccnz .LBB18_46
; %bb.27:
	s_cmp_lg_u64 s[26:27], 0
	s_cselect_b32 s7, -1, 0
	s_and_b32 s1, s7, s1
	s_andn2_b32 vcc_lo, exec_lo, s1
	s_cbranch_vccnz .LBB18_29
; %bb.28:
	s_and_b32 s1, s7, exec_lo
	s_cselect_b32 s1, s27, 0
	s_cselect_b32 s7, s26, 0
	s_lshl_b64 s[12:13], s[2:3], 2
	s_add_u32 s7, s7, s12
	s_addc_u32 s1, s1, s13
	s_lshl_b64 s[8:9], s[8:9], 2
	s_add_u32 s11, s7, s8
	s_addc_u32 s1, s1, s9
	s_ashr_i32 s7, s6, 31
	s_lshl_b64 s[8:9], s[6:7], 2
	s_add_u32 s8, s11, s8
	s_addc_u32 s9, s1, s9
	s_load_dword s1, s[8:9], 0x0
	s_waitcnt lgkmcnt(0)
	v_add_f32_e32 v11, s1, v11
.LBB18_29:
	s_cmp_lt_i32 s10, 2
	s_cbranch_scc1 .LBB18_34
; %bb.30:
	s_cmp_lt_i32 s10, 3
	s_cbranch_scc1 .LBB18_35
; %bb.31:
	v_mov_b32_e32 v0, v1
	s_cmp_eq_u32 s10, 3
	s_cbranch_scc0 .LBB18_33
; %bb.32:
	v_max_f32_e32 v0, v11, v11
	v_min_f32_e32 v0, 0x40e00000, v0
	v_mul_f32_e32 v2, 0xbfd9db23, v0
	v_mul_f32_e32 v3, 0x3fb8aa3b, v2
	v_cmp_ngt_f32_e32 vcc_lo, 0xc2ce8ed0, v2
	v_fma_f32 v4, 0x3fb8aa3b, v2, -v3
	v_rndne_f32_e32 v5, v3
	v_fmamk_f32 v4, v2, 0x32a5705f, v4
	v_sub_f32_e32 v3, v3, v5
	v_add_f32_e32 v3, v3, v4
	v_cvt_i32_f32_e32 v4, v5
	v_exp_f32_e32 v3, v3
	v_ldexp_f32 v3, v3, v4
	v_cndmask_b32_e32 v3, 0, v3, vcc_lo
	v_cmp_nlt_f32_e32 vcc_lo, 0x42b17218, v2
	v_cndmask_b32_e32 v2, 0x7f800000, v3, vcc_lo
	v_add_f32_e32 v2, 1.0, v2
	v_div_scale_f32 v3, null, v2, v2, v0
	v_div_scale_f32 v6, vcc_lo, v0, v2, v0
	v_rcp_f32_e32 v4, v3
	v_fma_f32 v5, -v3, v4, 1.0
	v_fmac_f32_e32 v4, v5, v4
	v_mul_f32_e32 v5, v6, v4
	v_fma_f32 v7, -v3, v5, v6
	v_fmac_f32_e32 v5, v7, v4
	v_max_f32_e32 v7, v1, v1
	v_fma_f32 v3, -v3, v5, v6
	v_min_f32_e32 v6, 0x40e00000, v7
	v_div_fmas_f32 v3, v3, v4, v5
	v_max_f32_e32 v4, 0xc0e00000, v6
	v_div_fixup_f32 v0, v3, v2, v0
	v_add_f32_e32 v2, 1.0, v4
	v_mul_f32_e32 v0, v2, v0
.LBB18_33:
	s_cbranch_execz .LBB18_36
	s_branch .LBB18_37
.LBB18_34:
                                        ; implicit-def: $vgpr0
	s_branch .LBB18_38
.LBB18_35:
                                        ; implicit-def: $vgpr0
.LBB18_36:
	v_mul_f32_e32 v0, 0xbfb8aa3b, v11
	v_cmp_nlt_f32_e32 vcc_lo, 0x42ce8ed0, v11
	v_rndne_f32_e32 v2, v0
	v_fma_f32 v3, 0xbfb8aa3b, v11, -v0
	v_sub_f32_e32 v0, v0, v2
	v_fmamk_f32 v3, v11, 0xb2a5705f, v3
	v_cvt_i32_f32_e32 v2, v2
	v_add_f32_e32 v0, v0, v3
	v_exp_f32_e32 v0, v0
	v_ldexp_f32 v0, v0, v2
	v_cndmask_b32_e32 v0, 0, v0, vcc_lo
	v_cmp_ngt_f32_e32 vcc_lo, 0xc2b17218, v11
	v_cndmask_b32_e32 v0, 0x7f800000, v0, vcc_lo
	v_add_f32_e32 v0, 1.0, v0
	v_div_scale_f32 v2, null, v0, v0, v11
	v_rcp_f32_e32 v3, v2
	v_fma_f32 v4, -v2, v3, 1.0
	v_fmac_f32_e32 v3, v4, v3
	v_div_scale_f32 v4, vcc_lo, v11, v0, v11
	v_mul_f32_e32 v5, v4, v3
	v_fma_f32 v6, -v2, v5, v4
	v_fmac_f32_e32 v5, v6, v3
	v_fma_f32 v2, -v2, v5, v4
	v_div_fmas_f32 v2, v2, v3, v5
	v_div_fixup_f32 v0, v2, v0, v11
	v_mul_f32_e32 v0, v1, v0
.LBB18_37:
	s_cbranch_execnz .LBB18_45
.LBB18_38:
	s_cmp_eq_u32 s10, 1
	s_cbranch_scc0 .LBB18_44
; %bb.39:
	v_mul_f32_e32 v0, 0x3d372713, v11
	v_mul_f32_e32 v2, 0x3f4c422a, v11
	v_fma_f32 v0, v11, v0, 1.0
	v_mul_f32_e32 v0, v2, v0
                                        ; implicit-def: $vgpr2
	v_cmp_ngt_f32_e64 s1, 0x3f200000, |v0|
	s_and_saveexec_b32 s7, s1
	s_xor_b32 s1, exec_lo, s7
	s_cbranch_execz .LBB18_41
; %bb.40:
	v_add_f32_e64 v2, |v0|, |v0|
	v_mul_f32_e32 v3, 0x3fb8aa3b, v2
	v_cmp_ngt_f32_e32 vcc_lo, 0xc2ce8ed0, v2
	v_rndne_f32_e32 v4, v3
	v_fma_f32 v5, 0x3fb8aa3b, v2, -v3
	v_sub_f32_e32 v3, v3, v4
	v_fmamk_f32 v5, v2, 0x32a5705f, v5
	v_cvt_i32_f32_e32 v4, v4
	v_add_f32_e32 v3, v3, v5
	v_exp_f32_e32 v3, v3
	v_ldexp_f32 v3, v3, v4
	v_cndmask_b32_e32 v3, 0, v3, vcc_lo
	v_cmp_nlt_f32_e32 vcc_lo, 0x42b17218, v2
	v_cndmask_b32_e32 v2, 0x7f800000, v3, vcc_lo
	v_add_f32_e32 v2, 1.0, v2
	v_rcp_f32_e32 v2, v2
	v_fma_f32 v2, v2, -2.0, 1.0
.LBB18_41:
	s_andn2_saveexec_b32 s1, s1
	s_cbranch_execz .LBB18_43
; %bb.42:
	v_mul_f32_e32 v2, v0, v0
	s_mov_b32 s7, 0xbbbac73d
	v_fmaak_f32 v3, s7, v2, 0x3ca908c9
	v_fmaak_f32 v3, v2, v3, 0xbd5c1c4e
	;; [unrolled: 1-line block ×4, first 2 shown]
	v_mul_f32_e64 v3, |v0|, v3
	v_fma_f32 v2, v2, v3, |v0|
.LBB18_43:
	s_or_b32 exec_lo, exec_lo, s1
	v_bfi_b32 v0, 0x7fffffff, v2, v0
	v_mul_f32_e32 v2, 0.5, v11
	v_add_f32_e32 v0, 1.0, v0
	v_mul_f32_e32 v0, v2, v0
	v_mul_f32_e32 v1, v1, v0
.LBB18_44:
	v_mov_b32_e32 v0, v1
.LBB18_45:
	v_mov_b32_e32 v1, v0
.LBB18_46:
	s_load_dwordx2 s[4:5], s[4:5], 0x38
	s_mul_i32 s0, s22, s0
	s_lshl_b64 s[2:3], s[2:3], 2
	s_ashr_i32 s1, s0, 31
	v_mov_b32_e32 v0, 0
	s_waitcnt lgkmcnt(0)
	s_add_u32 s2, s4, s2
	s_addc_u32 s3, s5, s3
	s_lshl_b64 s[0:1], s[0:1], 2
	s_add_u32 s2, s2, s0
	s_addc_u32 s3, s3, s1
	s_ashr_i32 s7, s6, 31
	s_lshl_b64 s[0:1], s[6:7], 2
	s_add_u32 s0, s2, s0
	s_addc_u32 s1, s3, s1
	global_store_dword v0, v1, s[0:1]
.LBB18_47:
	s_endpgm
	.section	.rodata,"a",@progbits
	.p2align	6, 0x0
	.amdhsa_kernel _ZL13mul_mat_vec_fIffLi1ELi64ELb1ELb0EEvPKT_PKfPKi31ggml_cuda_mm_fusion_args_devicePfi15HIP_vector_typeIjLj3EEiiiSA_iiiSA_iiii
		.amdhsa_group_segment_fixed_size 0
		.amdhsa_private_segment_fixed_size 0
		.amdhsa_kernarg_size 144
		.amdhsa_user_sgpr_count 6
		.amdhsa_user_sgpr_private_segment_buffer 1
		.amdhsa_user_sgpr_dispatch_ptr 0
		.amdhsa_user_sgpr_queue_ptr 0
		.amdhsa_user_sgpr_kernarg_segment_ptr 1
		.amdhsa_user_sgpr_dispatch_id 0
		.amdhsa_user_sgpr_flat_scratch_init 0
		.amdhsa_user_sgpr_private_segment_size 0
		.amdhsa_wavefront_size32 1
		.amdhsa_uses_dynamic_stack 0
		.amdhsa_system_sgpr_private_segment_wavefront_offset 0
		.amdhsa_system_sgpr_workgroup_id_x 1
		.amdhsa_system_sgpr_workgroup_id_y 1
		.amdhsa_system_sgpr_workgroup_id_z 1
		.amdhsa_system_sgpr_workgroup_info 0
		.amdhsa_system_vgpr_workitem_id 0
		.amdhsa_next_free_vgpr 17
		.amdhsa_next_free_sgpr 40
		.amdhsa_reserve_vcc 1
		.amdhsa_reserve_flat_scratch 0
		.amdhsa_float_round_mode_32 0
		.amdhsa_float_round_mode_16_64 0
		.amdhsa_float_denorm_mode_32 3
		.amdhsa_float_denorm_mode_16_64 3
		.amdhsa_dx10_clamp 1
		.amdhsa_ieee_mode 1
		.amdhsa_fp16_overflow 0
		.amdhsa_workgroup_processor_mode 1
		.amdhsa_memory_ordered 1
		.amdhsa_forward_progress 1
		.amdhsa_shared_vgpr_count 0
		.amdhsa_exception_fp_ieee_invalid_op 0
		.amdhsa_exception_fp_denorm_src 0
		.amdhsa_exception_fp_ieee_div_zero 0
		.amdhsa_exception_fp_ieee_overflow 0
		.amdhsa_exception_fp_ieee_underflow 0
		.amdhsa_exception_fp_ieee_inexact 0
		.amdhsa_exception_int_div_zero 0
	.end_amdhsa_kernel
	.section	.text._ZL13mul_mat_vec_fIffLi1ELi64ELb1ELb0EEvPKT_PKfPKi31ggml_cuda_mm_fusion_args_devicePfi15HIP_vector_typeIjLj3EEiiiSA_iiiSA_iiii,"axG",@progbits,_ZL13mul_mat_vec_fIffLi1ELi64ELb1ELb0EEvPKT_PKfPKi31ggml_cuda_mm_fusion_args_devicePfi15HIP_vector_typeIjLj3EEiiiSA_iiiSA_iiii,comdat
.Lfunc_end18:
	.size	_ZL13mul_mat_vec_fIffLi1ELi64ELb1ELb0EEvPKT_PKfPKi31ggml_cuda_mm_fusion_args_devicePfi15HIP_vector_typeIjLj3EEiiiSA_iiiSA_iiii, .Lfunc_end18-_ZL13mul_mat_vec_fIffLi1ELi64ELb1ELb0EEvPKT_PKfPKi31ggml_cuda_mm_fusion_args_devicePfi15HIP_vector_typeIjLj3EEiiiSA_iiiSA_iiii
                                        ; -- End function
	.set _ZL13mul_mat_vec_fIffLi1ELi64ELb1ELb0EEvPKT_PKfPKi31ggml_cuda_mm_fusion_args_devicePfi15HIP_vector_typeIjLj3EEiiiSA_iiiSA_iiii.num_vgpr, 17
	.set _ZL13mul_mat_vec_fIffLi1ELi64ELb1ELb0EEvPKT_PKfPKi31ggml_cuda_mm_fusion_args_devicePfi15HIP_vector_typeIjLj3EEiiiSA_iiiSA_iiii.num_agpr, 0
	.set _ZL13mul_mat_vec_fIffLi1ELi64ELb1ELb0EEvPKT_PKfPKi31ggml_cuda_mm_fusion_args_devicePfi15HIP_vector_typeIjLj3EEiiiSA_iiiSA_iiii.numbered_sgpr, 40
	.set _ZL13mul_mat_vec_fIffLi1ELi64ELb1ELb0EEvPKT_PKfPKi31ggml_cuda_mm_fusion_args_devicePfi15HIP_vector_typeIjLj3EEiiiSA_iiiSA_iiii.num_named_barrier, 0
	.set _ZL13mul_mat_vec_fIffLi1ELi64ELb1ELb0EEvPKT_PKfPKi31ggml_cuda_mm_fusion_args_devicePfi15HIP_vector_typeIjLj3EEiiiSA_iiiSA_iiii.private_seg_size, 0
	.set _ZL13mul_mat_vec_fIffLi1ELi64ELb1ELb0EEvPKT_PKfPKi31ggml_cuda_mm_fusion_args_devicePfi15HIP_vector_typeIjLj3EEiiiSA_iiiSA_iiii.uses_vcc, 1
	.set _ZL13mul_mat_vec_fIffLi1ELi64ELb1ELb0EEvPKT_PKfPKi31ggml_cuda_mm_fusion_args_devicePfi15HIP_vector_typeIjLj3EEiiiSA_iiiSA_iiii.uses_flat_scratch, 0
	.set _ZL13mul_mat_vec_fIffLi1ELi64ELb1ELb0EEvPKT_PKfPKi31ggml_cuda_mm_fusion_args_devicePfi15HIP_vector_typeIjLj3EEiiiSA_iiiSA_iiii.has_dyn_sized_stack, 0
	.set _ZL13mul_mat_vec_fIffLi1ELi64ELb1ELb0EEvPKT_PKfPKi31ggml_cuda_mm_fusion_args_devicePfi15HIP_vector_typeIjLj3EEiiiSA_iiiSA_iiii.has_recursion, 0
	.set _ZL13mul_mat_vec_fIffLi1ELi64ELb1ELb0EEvPKT_PKfPKi31ggml_cuda_mm_fusion_args_devicePfi15HIP_vector_typeIjLj3EEiiiSA_iiiSA_iiii.has_indirect_call, 0
	.section	.AMDGPU.csdata,"",@progbits
; Kernel info:
; codeLenInByte = 2320
; TotalNumSgprs: 42
; NumVgprs: 17
; ScratchSize: 0
; MemoryBound: 0
; FloatMode: 240
; IeeeMode: 1
; LDSByteSize: 0 bytes/workgroup (compile time only)
; SGPRBlocks: 0
; VGPRBlocks: 2
; NumSGPRsForWavesPerEU: 42
; NumVGPRsForWavesPerEU: 17
; Occupancy: 16
; WaveLimiterHint : 1
; COMPUTE_PGM_RSRC2:SCRATCH_EN: 0
; COMPUTE_PGM_RSRC2:USER_SGPR: 6
; COMPUTE_PGM_RSRC2:TRAP_HANDLER: 0
; COMPUTE_PGM_RSRC2:TGID_X_EN: 1
; COMPUTE_PGM_RSRC2:TGID_Y_EN: 1
; COMPUTE_PGM_RSRC2:TGID_Z_EN: 1
; COMPUTE_PGM_RSRC2:TIDIG_COMP_CNT: 0
	.section	.text._ZL13mul_mat_vec_fIffLi1ELi64ELb0ELb0EEvPKT_PKfPKi31ggml_cuda_mm_fusion_args_devicePfi15HIP_vector_typeIjLj3EEiiiSA_iiiSA_iiii,"axG",@progbits,_ZL13mul_mat_vec_fIffLi1ELi64ELb0ELb0EEvPKT_PKfPKi31ggml_cuda_mm_fusion_args_devicePfi15HIP_vector_typeIjLj3EEiiiSA_iiiSA_iiii,comdat
	.globl	_ZL13mul_mat_vec_fIffLi1ELi64ELb0ELb0EEvPKT_PKfPKi31ggml_cuda_mm_fusion_args_devicePfi15HIP_vector_typeIjLj3EEiiiSA_iiiSA_iiii ; -- Begin function _ZL13mul_mat_vec_fIffLi1ELi64ELb0ELb0EEvPKT_PKfPKi31ggml_cuda_mm_fusion_args_devicePfi15HIP_vector_typeIjLj3EEiiiSA_iiiSA_iiii
	.p2align	8
	.type	_ZL13mul_mat_vec_fIffLi1ELi64ELb0ELb0EEvPKT_PKfPKi31ggml_cuda_mm_fusion_args_devicePfi15HIP_vector_typeIjLj3EEiiiSA_iiiSA_iiii,@function
_ZL13mul_mat_vec_fIffLi1ELi64ELb0ELb0EEvPKT_PKfPKi31ggml_cuda_mm_fusion_args_devicePfi15HIP_vector_typeIjLj3EEiiiSA_iiiSA_iiii: ; @_ZL13mul_mat_vec_fIffLi1ELi64ELb0ELb0EEvPKT_PKfPKi31ggml_cuda_mm_fusion_args_devicePfi15HIP_vector_typeIjLj3EEiiiSA_iiiSA_iiii
; %bb.0:
	s_clause 0x2
	s_load_dwordx2 s[2:3], s[4:5], 0x10
	s_load_dwordx4 s[20:23], s[4:5], 0x40
	s_load_dwordx4 s[12:15], s[4:5], 0x80
	s_waitcnt lgkmcnt(0)
	s_cmp_eq_u64 s[2:3], 0
	s_cselect_b32 s10, -1, 0
	s_cmp_lg_u64 s[2:3], 0
	s_cselect_b32 s9, -1, 0
	s_and_b32 vcc_lo, exec_lo, s10
	s_cbranch_vccnz .LBB19_2
; %bb.1:
	s_mul_i32 s0, s15, s8
	s_mov_b32 s1, 0
	s_add_i32 s0, s0, s7
	s_lshl_b64 s[16:17], s[0:1], 2
	s_add_u32 s2, s2, s16
	s_addc_u32 s3, s3, s17
	s_load_dword s15, s[2:3], 0x0
	s_load_dword s24, s[4:5], 0x50
	s_cbranch_execz .LBB19_3
	s_branch .LBB19_4
.LBB19_2:
                                        ; implicit-def: $sgpr15
	s_load_dword s24, s[4:5], 0x50
.LBB19_3:
	s_load_dwordx2 s[0:1], s[4:5], 0x5c
	s_waitcnt lgkmcnt(0)
	s_mul_hi_u32 s0, s0, s7
	s_add_i32 s0, s7, s0
	s_lshr_b32 s15, s0, s1
.LBB19_4:
	s_load_dwordx4 s[16:19], s[4:5], 0x68
	s_andn2_b32 vcc_lo, exec_lo, s9
	s_mov_b32 s25, s7
	s_cbranch_vccnz .LBB19_6
; %bb.5:
	s_mul_hi_u32 s0, s21, s7
	s_add_i32 s0, s7, s0
	s_lshr_b32 s0, s0, s22
	s_mul_i32 s0, s0, s23
	s_sub_i32 s25, s7, s0
.LBB19_6:
	s_load_dword s11, s[4:5], 0x78
	v_cmp_gt_u32_e32 vcc_lo, 32, v0
	v_lshl_add_u32 v5, v0, 2, 0
	s_and_saveexec_b32 s0, vcc_lo
; %bb.7:
	v_mov_b32_e32 v1, 0
	ds_write_b32 v5, v1
; %bb.8:
	s_or_b32 exec_lo, exec_lo, s0
	v_mov_b32_e32 v6, 0
	s_and_b32 s0, exec_lo, s10
	s_mov_b32 s9, 0
	s_cselect_b32 s8, s8, 0
	s_mov_b32 s10, exec_lo
	s_waitcnt lgkmcnt(0)
	s_barrier
	buffer_gl0_inv
	v_cmpx_gt_i32_e64 s20, v0
	s_cbranch_execz .LBB19_12
; %bb.9:
	s_load_dwordx4 s[0:3], s[4:5], 0x0
	s_mul_hi_u32 s19, s19, s8
	s_mul_i32 s16, s15, s16
	s_add_i32 s15, s8, s19
	s_mul_i32 s22, s24, s6
	s_lshr_b32 s11, s15, s11
	s_mul_i32 s24, s25, s17
	s_ashr_i32 s17, s16, 31
	s_ashr_i32 s23, s22, 31
	s_mul_hi_i32 s29, s11, s12
	s_mul_i32 s28, s11, s12
	s_lshl_b64 s[16:17], s[16:17], 2
	s_ashr_i32 s25, s24, 31
	s_lshl_b64 s[22:23], s[22:23], 2
	s_lshl_b64 s[28:29], s[28:29], 2
	v_lshlrev_b32_e32 v1, 3, v0
	s_mul_hi_i32 s27, s8, s13
	s_mul_i32 s26, s8, s13
	v_mov_b32_e32 v6, 0
	s_waitcnt lgkmcnt(0)
	s_add_u32 s0, s0, s16
	s_addc_u32 s1, s1, s17
	s_add_u32 s0, s0, s22
	s_addc_u32 s1, s1, s23
	;; [unrolled: 2-line block ×3, first 2 shown]
	v_add_co_u32 v2, s0, s0, v1
	v_add_co_ci_u32_e64 v3, null, s1, 0, s0
	s_lshl_b64 s[0:1], s[24:25], 2
	s_lshl_b64 s[12:13], s[26:27], 2
	s_add_u32 s0, s2, s0
	s_addc_u32 s1, s3, s1
	s_add_u32 s0, s0, s12
	s_addc_u32 s1, s1, s13
	v_add_co_u32 v4, s0, s0, v1
	v_add_co_ci_u32_e64 v7, null, s1, 0, s0
	v_add_co_u32 v1, s0, v2, 4
	v_add_co_ci_u32_e64 v2, null, 0, v3, s0
	;; [unrolled: 2-line block ×3, first 2 shown]
	v_mov_b32_e32 v7, v0
	.p2align	6
.LBB19_10:                              ; =>This Inner Loop Header: Depth=1
	global_load_dwordx2 v[8:9], v[1:2], off offset:-4
	global_load_dwordx2 v[10:11], v[3:4], off offset:-4
	v_add_nc_u32_e32 v7, 64, v7
	v_add_co_u32 v1, s0, 0x200, v1
	v_add_co_ci_u32_e64 v2, null, 0, v2, s0
	v_add_co_u32 v3, s0, 0x200, v3
	v_cmp_le_i32_e64 s1, s20, v7
	v_add_co_ci_u32_e64 v4, null, 0, v4, s0
	s_or_b32 s9, s1, s9
	s_waitcnt vmcnt(0)
	v_fmac_f32_e32 v6, v8, v10
	v_fmac_f32_e32 v6, v9, v11
	s_andn2_b32 exec_lo, exec_lo, s9
	s_cbranch_execnz .LBB19_10
; %bb.11:
	s_or_b32 exec_lo, exec_lo, s9
.LBB19_12:
	s_or_b32 exec_lo, exec_lo, s10
	v_mbcnt_lo_u32_b32 v2, -1, 0
	v_xor_b32_e32 v1, 16, v2
	v_xor_b32_e32 v3, 8, v2
	v_cmp_gt_i32_e64 s0, 32, v1
	v_cndmask_b32_e64 v1, v2, v1, s0
	v_cmp_gt_i32_e64 s0, 32, v3
	v_lshlrev_b32_e32 v1, 2, v1
	v_cndmask_b32_e64 v3, v2, v3, s0
	ds_bpermute_b32 v4, v1, v6
	v_lshlrev_b32_e32 v3, 2, v3
	s_waitcnt lgkmcnt(0)
	v_add_f32_e32 v6, v6, v4
	v_xor_b32_e32 v4, 4, v2
	ds_bpermute_b32 v7, v3, v6
	v_cmp_gt_i32_e64 s0, 32, v4
	v_cndmask_b32_e64 v4, v2, v4, s0
	v_lshlrev_b32_e32 v4, 2, v4
	s_waitcnt lgkmcnt(0)
	v_add_f32_e32 v7, v6, v7
	v_xor_b32_e32 v6, 2, v2
	ds_bpermute_b32 v8, v4, v7
	v_cmp_gt_i32_e64 s0, 32, v6
	v_cndmask_b32_e64 v6, v2, v6, s0
	;; [unrolled: 7-line block ×3, first 2 shown]
	v_lshlrev_b32_e32 v7, 2, v2
	s_waitcnt lgkmcnt(0)
	v_add_f32_e32 v2, v8, v9
	v_lshrrev_b32_e32 v9, 3, v0
	ds_bpermute_b32 v8, v7, v2
	v_and_b32_e32 v9, 0x7c, v9
	v_add_nc_u32_e32 v9, 0, v9
	s_waitcnt lgkmcnt(0)
	v_add_f32_e32 v2, v2, v8
	ds_write_b32 v9, v2
	s_waitcnt lgkmcnt(0)
	s_barrier
	buffer_gl0_inv
	s_and_saveexec_b32 s0, vcc_lo
	s_cbranch_execz .LBB19_14
; %bb.13:
	ds_read_b32 v2, v5
	s_waitcnt lgkmcnt(0)
	ds_bpermute_b32 v1, v1, v2
	s_waitcnt lgkmcnt(0)
	v_add_f32_e32 v1, v2, v1
	ds_bpermute_b32 v2, v3, v1
	s_waitcnt lgkmcnt(0)
	v_add_f32_e32 v1, v1, v2
	;; [unrolled: 3-line block ×5, first 2 shown]
.LBB19_14:
	s_or_b32 exec_lo, exec_lo, s0
	s_barrier
	buffer_gl0_inv
	s_mov_b32 s0, exec_lo
	v_cmpx_eq_u32_e32 0, v0
	s_cbranch_execz .LBB19_16
; %bb.15:
	s_load_dwordx2 s[0:1], s[4:5], 0x38
	s_mul_hi_i32 s3, s14, s8
	s_mul_i32 s2, s14, s8
	s_mul_i32 s4, s18, s7
	s_lshl_b64 s[2:3], s[2:3], 2
	s_ashr_i32 s5, s4, 31
	v_mov_b32_e32 v0, 0
	s_waitcnt lgkmcnt(0)
	s_add_u32 s2, s0, s2
	s_addc_u32 s3, s1, s3
	s_lshl_b64 s[0:1], s[4:5], 2
	s_add_u32 s2, s2, s0
	s_addc_u32 s3, s3, s1
	s_ashr_i32 s7, s6, 31
	s_lshl_b64 s[0:1], s[6:7], 2
	s_add_u32 s0, s2, s0
	s_addc_u32 s1, s3, s1
	global_store_dword v0, v2, s[0:1]
.LBB19_16:
	s_endpgm
	.section	.rodata,"a",@progbits
	.p2align	6, 0x0
	.amdhsa_kernel _ZL13mul_mat_vec_fIffLi1ELi64ELb0ELb0EEvPKT_PKfPKi31ggml_cuda_mm_fusion_args_devicePfi15HIP_vector_typeIjLj3EEiiiSA_iiiSA_iiii
		.amdhsa_group_segment_fixed_size 0
		.amdhsa_private_segment_fixed_size 0
		.amdhsa_kernarg_size 144
		.amdhsa_user_sgpr_count 6
		.amdhsa_user_sgpr_private_segment_buffer 1
		.amdhsa_user_sgpr_dispatch_ptr 0
		.amdhsa_user_sgpr_queue_ptr 0
		.amdhsa_user_sgpr_kernarg_segment_ptr 1
		.amdhsa_user_sgpr_dispatch_id 0
		.amdhsa_user_sgpr_flat_scratch_init 0
		.amdhsa_user_sgpr_private_segment_size 0
		.amdhsa_wavefront_size32 1
		.amdhsa_uses_dynamic_stack 0
		.amdhsa_system_sgpr_private_segment_wavefront_offset 0
		.amdhsa_system_sgpr_workgroup_id_x 1
		.amdhsa_system_sgpr_workgroup_id_y 1
		.amdhsa_system_sgpr_workgroup_id_z 1
		.amdhsa_system_sgpr_workgroup_info 0
		.amdhsa_system_vgpr_workitem_id 0
		.amdhsa_next_free_vgpr 12
		.amdhsa_next_free_sgpr 30
		.amdhsa_reserve_vcc 1
		.amdhsa_reserve_flat_scratch 0
		.amdhsa_float_round_mode_32 0
		.amdhsa_float_round_mode_16_64 0
		.amdhsa_float_denorm_mode_32 3
		.amdhsa_float_denorm_mode_16_64 3
		.amdhsa_dx10_clamp 1
		.amdhsa_ieee_mode 1
		.amdhsa_fp16_overflow 0
		.amdhsa_workgroup_processor_mode 1
		.amdhsa_memory_ordered 1
		.amdhsa_forward_progress 1
		.amdhsa_shared_vgpr_count 0
		.amdhsa_exception_fp_ieee_invalid_op 0
		.amdhsa_exception_fp_denorm_src 0
		.amdhsa_exception_fp_ieee_div_zero 0
		.amdhsa_exception_fp_ieee_overflow 0
		.amdhsa_exception_fp_ieee_underflow 0
		.amdhsa_exception_fp_ieee_inexact 0
		.amdhsa_exception_int_div_zero 0
	.end_amdhsa_kernel
	.section	.text._ZL13mul_mat_vec_fIffLi1ELi64ELb0ELb0EEvPKT_PKfPKi31ggml_cuda_mm_fusion_args_devicePfi15HIP_vector_typeIjLj3EEiiiSA_iiiSA_iiii,"axG",@progbits,_ZL13mul_mat_vec_fIffLi1ELi64ELb0ELb0EEvPKT_PKfPKi31ggml_cuda_mm_fusion_args_devicePfi15HIP_vector_typeIjLj3EEiiiSA_iiiSA_iiii,comdat
.Lfunc_end19:
	.size	_ZL13mul_mat_vec_fIffLi1ELi64ELb0ELb0EEvPKT_PKfPKi31ggml_cuda_mm_fusion_args_devicePfi15HIP_vector_typeIjLj3EEiiiSA_iiiSA_iiii, .Lfunc_end19-_ZL13mul_mat_vec_fIffLi1ELi64ELb0ELb0EEvPKT_PKfPKi31ggml_cuda_mm_fusion_args_devicePfi15HIP_vector_typeIjLj3EEiiiSA_iiiSA_iiii
                                        ; -- End function
	.set _ZL13mul_mat_vec_fIffLi1ELi64ELb0ELb0EEvPKT_PKfPKi31ggml_cuda_mm_fusion_args_devicePfi15HIP_vector_typeIjLj3EEiiiSA_iiiSA_iiii.num_vgpr, 12
	.set _ZL13mul_mat_vec_fIffLi1ELi64ELb0ELb0EEvPKT_PKfPKi31ggml_cuda_mm_fusion_args_devicePfi15HIP_vector_typeIjLj3EEiiiSA_iiiSA_iiii.num_agpr, 0
	.set _ZL13mul_mat_vec_fIffLi1ELi64ELb0ELb0EEvPKT_PKfPKi31ggml_cuda_mm_fusion_args_devicePfi15HIP_vector_typeIjLj3EEiiiSA_iiiSA_iiii.numbered_sgpr, 30
	.set _ZL13mul_mat_vec_fIffLi1ELi64ELb0ELb0EEvPKT_PKfPKi31ggml_cuda_mm_fusion_args_devicePfi15HIP_vector_typeIjLj3EEiiiSA_iiiSA_iiii.num_named_barrier, 0
	.set _ZL13mul_mat_vec_fIffLi1ELi64ELb0ELb0EEvPKT_PKfPKi31ggml_cuda_mm_fusion_args_devicePfi15HIP_vector_typeIjLj3EEiiiSA_iiiSA_iiii.private_seg_size, 0
	.set _ZL13mul_mat_vec_fIffLi1ELi64ELb0ELb0EEvPKT_PKfPKi31ggml_cuda_mm_fusion_args_devicePfi15HIP_vector_typeIjLj3EEiiiSA_iiiSA_iiii.uses_vcc, 1
	.set _ZL13mul_mat_vec_fIffLi1ELi64ELb0ELb0EEvPKT_PKfPKi31ggml_cuda_mm_fusion_args_devicePfi15HIP_vector_typeIjLj3EEiiiSA_iiiSA_iiii.uses_flat_scratch, 0
	.set _ZL13mul_mat_vec_fIffLi1ELi64ELb0ELb0EEvPKT_PKfPKi31ggml_cuda_mm_fusion_args_devicePfi15HIP_vector_typeIjLj3EEiiiSA_iiiSA_iiii.has_dyn_sized_stack, 0
	.set _ZL13mul_mat_vec_fIffLi1ELi64ELb0ELb0EEvPKT_PKfPKi31ggml_cuda_mm_fusion_args_devicePfi15HIP_vector_typeIjLj3EEiiiSA_iiiSA_iiii.has_recursion, 0
	.set _ZL13mul_mat_vec_fIffLi1ELi64ELb0ELb0EEvPKT_PKfPKi31ggml_cuda_mm_fusion_args_devicePfi15HIP_vector_typeIjLj3EEiiiSA_iiiSA_iiii.has_indirect_call, 0
	.section	.AMDGPU.csdata,"",@progbits
; Kernel info:
; codeLenInByte = 1072
; TotalNumSgprs: 32
; NumVgprs: 12
; ScratchSize: 0
; MemoryBound: 0
; FloatMode: 240
; IeeeMode: 1
; LDSByteSize: 0 bytes/workgroup (compile time only)
; SGPRBlocks: 0
; VGPRBlocks: 1
; NumSGPRsForWavesPerEU: 32
; NumVGPRsForWavesPerEU: 12
; Occupancy: 16
; WaveLimiterHint : 0
; COMPUTE_PGM_RSRC2:SCRATCH_EN: 0
; COMPUTE_PGM_RSRC2:USER_SGPR: 6
; COMPUTE_PGM_RSRC2:TRAP_HANDLER: 0
; COMPUTE_PGM_RSRC2:TGID_X_EN: 1
; COMPUTE_PGM_RSRC2:TGID_Y_EN: 1
; COMPUTE_PGM_RSRC2:TGID_Z_EN: 1
; COMPUTE_PGM_RSRC2:TIDIG_COMP_CNT: 0
	.section	.text._ZL13mul_mat_vec_fIffLi1ELi96ELb1ELb0EEvPKT_PKfPKi31ggml_cuda_mm_fusion_args_devicePfi15HIP_vector_typeIjLj3EEiiiSA_iiiSA_iiii,"axG",@progbits,_ZL13mul_mat_vec_fIffLi1ELi96ELb1ELb0EEvPKT_PKfPKi31ggml_cuda_mm_fusion_args_devicePfi15HIP_vector_typeIjLj3EEiiiSA_iiiSA_iiii,comdat
	.globl	_ZL13mul_mat_vec_fIffLi1ELi96ELb1ELb0EEvPKT_PKfPKi31ggml_cuda_mm_fusion_args_devicePfi15HIP_vector_typeIjLj3EEiiiSA_iiiSA_iiii ; -- Begin function _ZL13mul_mat_vec_fIffLi1ELi96ELb1ELb0EEvPKT_PKfPKi31ggml_cuda_mm_fusion_args_devicePfi15HIP_vector_typeIjLj3EEiiiSA_iiiSA_iiii
	.p2align	8
	.type	_ZL13mul_mat_vec_fIffLi1ELi96ELb1ELb0EEvPKT_PKfPKi31ggml_cuda_mm_fusion_args_devicePfi15HIP_vector_typeIjLj3EEiiiSA_iiiSA_iiii,@function
_ZL13mul_mat_vec_fIffLi1ELi96ELb1ELb0EEvPKT_PKfPKi31ggml_cuda_mm_fusion_args_devicePfi15HIP_vector_typeIjLj3EEiiiSA_iiiSA_iiii: ; @_ZL13mul_mat_vec_fIffLi1ELi96ELb1ELb0EEvPKT_PKfPKi31ggml_cuda_mm_fusion_args_devicePfi15HIP_vector_typeIjLj3EEiiiSA_iiiSA_iiii
; %bb.0:
	s_clause 0x3
	s_load_dwordx8 s[12:19], s[4:5], 0x0
	s_load_dwordx4 s[24:27], s[4:5], 0x20
	s_load_dwordx4 s[36:39], s[4:5], 0x40
	;; [unrolled: 1-line block ×3, first 2 shown]
	s_mov_b32 s0, s7
	s_waitcnt lgkmcnt(0)
	s_cmp_eq_u64 s[16:17], 0
	s_cselect_b32 s11, -1, 0
	s_cmp_lg_u64 s[16:17], 0
	s_cselect_b32 s1, -1, 0
	s_and_b32 vcc_lo, exec_lo, s11
	s_cbranch_vccnz .LBB20_2
; %bb.1:
	s_mul_i32 s2, s31, s8
	s_mov_b32 s3, 0
	s_add_i32 s2, s2, s0
	s_lshl_b64 s[20:21], s[2:3], 2
	s_add_u32 s16, s16, s20
	s_addc_u32 s17, s17, s21
	s_load_dword s7, s[16:17], 0x0
	s_load_dword s16, s[4:5], 0x50
	s_waitcnt lgkmcnt(0)
	s_mov_b32 s3, s7
	s_cbranch_execz .LBB20_3
	s_branch .LBB20_4
.LBB20_2:
                                        ; implicit-def: $sgpr7
	s_load_dword s16, s[4:5], 0x50
	s_mov_b32 s3, s7
.LBB20_3:
	s_load_dwordx2 s[2:3], s[4:5], 0x5c
	s_mov_b32 s7, s0
	s_waitcnt lgkmcnt(0)
	s_mul_hi_u32 s2, s2, s0
	s_add_i32 s2, s0, s2
	s_lshr_b32 s3, s2, s3
.LBB20_4:
	s_load_dwordx4 s[20:23], s[4:5], 0x68
	s_andn2_b32 vcc_lo, exec_lo, s1
	s_mov_b32 s17, s0
	s_cbranch_vccnz .LBB20_6
; %bb.5:
	s_mul_hi_u32 s1, s37, s0
	s_add_i32 s1, s0, s1
	s_lshr_b32 s1, s1, s38
	s_mul_i32 s1, s1, s39
	s_sub_i32 s17, s0, s1
.LBB20_6:
	s_load_dword s31, s[4:5], 0x78
	s_cmp_lg_u64 s[24:25], 0
	v_cmp_gt_u32_e64 s2, 32, v0
	v_lshl_add_u32 v12, v0, 2, 0
	s_cselect_b32 s1, -1, 0
	s_cmp_eq_u64 s[24:25], 0
	s_cselect_b32 s9, -1, 0
	s_and_saveexec_b32 s10, s2
	s_cbranch_execz .LBB20_9
; %bb.7:
	v_mov_b32_e32 v1, 0
	s_andn2_b32 vcc_lo, exec_lo, s1
	ds_write_b32 v12, v1
	s_cbranch_vccnz .LBB20_9
; %bb.8:
	ds_write_b32 v12, v1 offset:128
.LBB20_9:
	s_or_b32 exec_lo, exec_lo, s10
	v_mov_b32_e32 v11, 0
	v_mov_b32_e32 v13, 0
	s_and_b32 s11, exec_lo, s11
	s_mov_b32 s10, 0
	s_cselect_b32 s11, s8, 0
	s_mov_b32 s8, exec_lo
	s_waitcnt lgkmcnt(0)
	s_barrier
	buffer_gl0_inv
	v_cmpx_gt_i32_e64 s36, v0
	s_cbranch_execz .LBB20_15
; %bb.10:
	s_mul_hi_u32 s23, s23, s11
	s_mul_i32 s3, s3, s20
	s_add_i32 s23, s11, s23
	s_mul_i32 s16, s16, s6
	s_lshr_b32 s20, s23, s31
	s_ashr_i32 s31, s16, 31
	s_mul_hi_i32 s23, s20, s28
	s_mul_i32 s20, s20, s28
	s_ashr_i32 s28, s3, 31
	s_add_u32 s16, s20, s16
	s_addc_u32 s23, s23, s31
	s_mul_i32 s20, s17, s21
	s_add_u32 s16, s16, s3
	s_addc_u32 s17, s23, s28
	s_ashr_i32 s21, s20, 31
	s_and_b32 s3, s1, exec_lo
	s_cselect_b32 s3, s25, 0
	s_cselect_b32 s23, s24, 0
	;; [unrolled: 1-line block ×4, first 2 shown]
	v_lshlrev_b32_e32 v3, 3, v0
	s_lshl_b64 s[24:25], s[24:25], 2
	v_mov_b32_e32 v11, 0
	s_add_u32 s23, s23, s24
	s_addc_u32 s3, s3, s25
	s_mul_hi_i32 s25, s11, s29
	s_mul_i32 s24, s11, s29
	v_add_co_u32 v1, s23, s23, v3
	s_lshl_b64 s[20:21], s[20:21], 2
	s_lshl_b64 s[24:25], s[24:25], 2
	v_add_co_ci_u32_e64 v2, null, s3, 0, s23
	s_add_u32 s3, s14, s20
	s_addc_u32 s14, s15, s21
	s_add_u32 s3, s3, s24
	s_addc_u32 s20, s14, s25
	s_lshl_b64 s[14:15], s[16:17], 2
	v_add_co_u32 v4, s3, s3, v3
	v_add_co_ci_u32_e64 v5, null, s20, 0, s3
	s_add_u32 s3, s12, s14
	s_addc_u32 s12, s13, s15
	v_add_co_u32 v6, s3, s3, v3
	v_add_co_u32 v1, vcc_lo, v1, 4
	v_add_co_ci_u32_e64 v7, null, s12, 0, s3
	v_add_co_ci_u32_e64 v2, null, 0, v2, vcc_lo
	v_add_co_u32 v3, vcc_lo, v4, 4
	v_add_co_ci_u32_e64 v4, null, 0, v5, vcc_lo
	v_add_co_u32 v5, vcc_lo, v6, 4
	v_add_co_ci_u32_e64 v6, null, 0, v7, vcc_lo
	v_mov_b32_e32 v14, v0
	v_mov_b32_e32 v13, 0
	s_inst_prefetch 0x1
	s_branch .LBB20_12
	.p2align	6
.LBB20_11:                              ;   in Loop: Header=BB20_12 Depth=1
	global_load_dwordx2 v[15:16], v[3:4], off offset:-4
	v_add_nc_u32_e32 v14, 0x60, v14
	v_add_co_u32 v1, vcc_lo, 0x300, v1
	v_add_co_ci_u32_e64 v2, null, 0, v2, vcc_lo
	v_add_co_u32 v3, vcc_lo, 0x300, v3
	v_add_co_ci_u32_e64 v4, null, 0, v4, vcc_lo
	v_cmp_le_i32_e32 vcc_lo, s36, v14
	v_add_co_u32 v5, s3, 0x300, v5
	v_add_co_ci_u32_e64 v6, null, 0, v6, s3
	s_or_b32 s10, vcc_lo, s10
	s_waitcnt vmcnt(0)
	v_fma_f32 v9, v9, v15, v11
	v_fmac_f32_e32 v13, v7, v15
	v_fmac_f32_e32 v9, v10, v16
	;; [unrolled: 1-line block ×3, first 2 shown]
	v_cndmask_b32_e64 v11, v11, v9, s1
	s_andn2_b32 exec_lo, exec_lo, s10
	s_cbranch_execz .LBB20_14
.LBB20_12:                              ; =>This Inner Loop Header: Depth=1
	global_load_dwordx2 v[7:8], v[5:6], off offset:-4
	v_mov_b32_e32 v10, 0
	v_mov_b32_e32 v9, 0
	s_andn2_b32 vcc_lo, exec_lo, s1
	s_cbranch_vccnz .LBB20_11
; %bb.13:                               ;   in Loop: Header=BB20_12 Depth=1
	global_load_dwordx2 v[9:10], v[1:2], off offset:-4
	s_branch .LBB20_11
.LBB20_14:
	s_inst_prefetch 0x2
	s_or_b32 exec_lo, exec_lo, s10
.LBB20_15:
	s_or_b32 exec_lo, exec_lo, s8
	v_mbcnt_lo_u32_b32 v1, -1, 0
	s_load_dword s10, s[4:5], 0x30
	s_mov_b32 s3, -1
	v_xor_b32_e32 v2, 16, v1
	v_xor_b32_e32 v3, 8, v1
	v_cmp_gt_i32_e32 vcc_lo, 32, v2
	v_cndmask_b32_e32 v2, v1, v2, vcc_lo
	v_cmp_gt_i32_e32 vcc_lo, 32, v3
	v_lshlrev_b32_e32 v2, 2, v2
	v_cndmask_b32_e32 v3, v1, v3, vcc_lo
	ds_bpermute_b32 v4, v2, v13
	v_lshlrev_b32_e32 v3, 2, v3
	s_waitcnt lgkmcnt(0)
	v_add_f32_e32 v5, v13, v4
	v_xor_b32_e32 v4, 4, v1
	ds_bpermute_b32 v6, v3, v5
	v_cmp_gt_i32_e32 vcc_lo, 32, v4
	v_cndmask_b32_e32 v4, v1, v4, vcc_lo
	v_lshlrev_b32_e32 v4, 2, v4
	s_waitcnt lgkmcnt(0)
	v_add_f32_e32 v6, v5, v6
	v_xor_b32_e32 v5, 2, v1
	ds_bpermute_b32 v7, v4, v6
	v_cmp_gt_i32_e32 vcc_lo, 32, v5
	v_cndmask_b32_e32 v5, v1, v5, vcc_lo
	;; [unrolled: 7-line block ×3, first 2 shown]
	s_and_b32 vcc_lo, exec_lo, s9
	v_lshlrev_b32_e32 v6, 2, v1
	s_waitcnt lgkmcnt(0)
	v_add_f32_e32 v1, v7, v8
	v_lshrrev_b32_e32 v8, 5, v0
	ds_bpermute_b32 v7, v6, v1
	s_waitcnt lgkmcnt(0)
	v_add_f32_e32 v1, v1, v7
	v_lshl_add_u32 v7, v8, 2, 0
	s_cbranch_vccz .LBB20_17
; %bb.16:
	s_mov_b32 s3, 0
	ds_write_b32 v7, v1
.LBB20_17:
	s_andn2_b32 vcc_lo, exec_lo, s3
	s_cbranch_vccnz .LBB20_19
; %bb.18:
	ds_bpermute_b32 v8, v2, v11
	s_waitcnt lgkmcnt(0)
	v_add_f32_e32 v8, v11, v8
	ds_bpermute_b32 v9, v3, v8
	s_waitcnt lgkmcnt(0)
	v_add_f32_e32 v8, v8, v9
	ds_bpermute_b32 v9, v4, v8
	s_waitcnt lgkmcnt(0)
	v_add_f32_e32 v8, v8, v9
	ds_bpermute_b32 v9, v5, v8
	s_waitcnt lgkmcnt(0)
	v_add_f32_e32 v8, v8, v9
	ds_bpermute_b32 v9, v6, v8
	s_waitcnt lgkmcnt(0)
	v_add_f32_e32 v11, v8, v9
	ds_write2_b32 v7, v1, v11 offset1:32
.LBB20_19:
	s_waitcnt lgkmcnt(0)
	s_barrier
	buffer_gl0_inv
	s_and_saveexec_b32 s3, s2
	s_cbranch_execz .LBB20_23
; %bb.20:
	ds_read_b32 v1, v12
	s_andn2_b32 vcc_lo, exec_lo, s1
	s_waitcnt lgkmcnt(0)
	ds_bpermute_b32 v7, v2, v1
	s_waitcnt lgkmcnt(0)
	v_add_f32_e32 v1, v1, v7
	ds_bpermute_b32 v7, v3, v1
	s_waitcnt lgkmcnt(0)
	v_add_f32_e32 v1, v1, v7
	;; [unrolled: 3-line block ×4, first 2 shown]
	ds_bpermute_b32 v7, v6, v1
	s_cbranch_vccnz .LBB20_22
; %bb.21:
	ds_read_b32 v8, v12 offset:128
	s_waitcnt lgkmcnt(0)
	ds_bpermute_b32 v2, v2, v8
	s_waitcnt lgkmcnt(0)
	v_add_f32_e32 v2, v8, v2
	ds_bpermute_b32 v3, v3, v2
	s_waitcnt lgkmcnt(0)
	v_add_f32_e32 v2, v2, v3
	ds_bpermute_b32 v3, v4, v2
	s_waitcnt lgkmcnt(0)
	v_add_f32_e32 v2, v2, v3
	ds_bpermute_b32 v3, v5, v2
	s_waitcnt lgkmcnt(0)
	v_add_f32_e32 v2, v2, v3
	ds_bpermute_b32 v3, v6, v2
	s_waitcnt lgkmcnt(0)
	v_add_f32_e32 v11, v2, v3
.LBB20_22:
	s_waitcnt lgkmcnt(0)
	v_add_f32_e32 v1, v1, v7
.LBB20_23:
	s_or_b32 exec_lo, exec_lo, s3
	s_barrier
	buffer_gl0_inv
	s_mov_b32 s2, exec_lo
	v_cmpx_eq_u32_e32 0, v0
	s_cbranch_execz .LBB20_47
; %bb.24:
	s_cmp_eq_u64 s[18:19], 0
	s_mul_i32 s8, s7, s22
	s_cselect_b32 s2, -1, 0
	s_ashr_i32 s9, s8, 31
	s_mul_hi_i32 s3, s30, s11
	s_and_b32 vcc_lo, exec_lo, s2
	s_mul_i32 s2, s30, s11
	s_cbranch_vccnz .LBB20_26
; %bb.25:
	s_cselect_b32 s7, 0, s19
	s_cselect_b32 s11, 0, s18
	s_lshl_b64 s[12:13], s[2:3], 2
	s_add_u32 s11, s11, s12
	s_addc_u32 s7, s7, s13
	s_lshl_b64 s[12:13], s[8:9], 2
	s_add_u32 s11, s11, s12
	s_addc_u32 s14, s7, s13
	s_ashr_i32 s7, s6, 31
	s_lshl_b64 s[12:13], s[6:7], 2
	s_add_u32 s12, s11, s12
	s_addc_u32 s13, s14, s13
	s_load_dword s7, s[12:13], 0x0
	s_waitcnt lgkmcnt(0)
	v_add_f32_e32 v1, s7, v1
.LBB20_26:
	s_andn2_b32 vcc_lo, exec_lo, s1
	s_cbranch_vccnz .LBB20_46
; %bb.27:
	s_cmp_lg_u64 s[26:27], 0
	s_cselect_b32 s7, -1, 0
	s_and_b32 s1, s7, s1
	s_andn2_b32 vcc_lo, exec_lo, s1
	s_cbranch_vccnz .LBB20_29
; %bb.28:
	s_and_b32 s1, s7, exec_lo
	s_cselect_b32 s1, s27, 0
	s_cselect_b32 s7, s26, 0
	s_lshl_b64 s[12:13], s[2:3], 2
	s_add_u32 s7, s7, s12
	s_addc_u32 s1, s1, s13
	s_lshl_b64 s[8:9], s[8:9], 2
	s_add_u32 s11, s7, s8
	s_addc_u32 s1, s1, s9
	s_ashr_i32 s7, s6, 31
	s_lshl_b64 s[8:9], s[6:7], 2
	s_add_u32 s8, s11, s8
	s_addc_u32 s9, s1, s9
	s_load_dword s1, s[8:9], 0x0
	s_waitcnt lgkmcnt(0)
	v_add_f32_e32 v11, s1, v11
.LBB20_29:
	s_cmp_lt_i32 s10, 2
	s_cbranch_scc1 .LBB20_34
; %bb.30:
	s_cmp_lt_i32 s10, 3
	s_cbranch_scc1 .LBB20_35
; %bb.31:
	v_mov_b32_e32 v0, v1
	s_cmp_eq_u32 s10, 3
	s_cbranch_scc0 .LBB20_33
; %bb.32:
	v_max_f32_e32 v0, v11, v11
	v_min_f32_e32 v0, 0x40e00000, v0
	v_mul_f32_e32 v2, 0xbfd9db23, v0
	v_mul_f32_e32 v3, 0x3fb8aa3b, v2
	v_cmp_ngt_f32_e32 vcc_lo, 0xc2ce8ed0, v2
	v_fma_f32 v4, 0x3fb8aa3b, v2, -v3
	v_rndne_f32_e32 v5, v3
	v_fmamk_f32 v4, v2, 0x32a5705f, v4
	v_sub_f32_e32 v3, v3, v5
	v_add_f32_e32 v3, v3, v4
	v_cvt_i32_f32_e32 v4, v5
	v_exp_f32_e32 v3, v3
	v_ldexp_f32 v3, v3, v4
	v_cndmask_b32_e32 v3, 0, v3, vcc_lo
	v_cmp_nlt_f32_e32 vcc_lo, 0x42b17218, v2
	v_cndmask_b32_e32 v2, 0x7f800000, v3, vcc_lo
	v_add_f32_e32 v2, 1.0, v2
	v_div_scale_f32 v3, null, v2, v2, v0
	v_div_scale_f32 v6, vcc_lo, v0, v2, v0
	v_rcp_f32_e32 v4, v3
	v_fma_f32 v5, -v3, v4, 1.0
	v_fmac_f32_e32 v4, v5, v4
	v_mul_f32_e32 v5, v6, v4
	v_fma_f32 v7, -v3, v5, v6
	v_fmac_f32_e32 v5, v7, v4
	v_max_f32_e32 v7, v1, v1
	v_fma_f32 v3, -v3, v5, v6
	v_min_f32_e32 v6, 0x40e00000, v7
	v_div_fmas_f32 v3, v3, v4, v5
	v_max_f32_e32 v4, 0xc0e00000, v6
	v_div_fixup_f32 v0, v3, v2, v0
	v_add_f32_e32 v2, 1.0, v4
	v_mul_f32_e32 v0, v2, v0
.LBB20_33:
	s_cbranch_execz .LBB20_36
	s_branch .LBB20_37
.LBB20_34:
                                        ; implicit-def: $vgpr0
	s_branch .LBB20_38
.LBB20_35:
                                        ; implicit-def: $vgpr0
.LBB20_36:
	v_mul_f32_e32 v0, 0xbfb8aa3b, v11
	v_cmp_nlt_f32_e32 vcc_lo, 0x42ce8ed0, v11
	v_rndne_f32_e32 v2, v0
	v_fma_f32 v3, 0xbfb8aa3b, v11, -v0
	v_sub_f32_e32 v0, v0, v2
	v_fmamk_f32 v3, v11, 0xb2a5705f, v3
	v_cvt_i32_f32_e32 v2, v2
	v_add_f32_e32 v0, v0, v3
	v_exp_f32_e32 v0, v0
	v_ldexp_f32 v0, v0, v2
	v_cndmask_b32_e32 v0, 0, v0, vcc_lo
	v_cmp_ngt_f32_e32 vcc_lo, 0xc2b17218, v11
	v_cndmask_b32_e32 v0, 0x7f800000, v0, vcc_lo
	v_add_f32_e32 v0, 1.0, v0
	v_div_scale_f32 v2, null, v0, v0, v11
	v_rcp_f32_e32 v3, v2
	v_fma_f32 v4, -v2, v3, 1.0
	v_fmac_f32_e32 v3, v4, v3
	v_div_scale_f32 v4, vcc_lo, v11, v0, v11
	v_mul_f32_e32 v5, v4, v3
	v_fma_f32 v6, -v2, v5, v4
	v_fmac_f32_e32 v5, v6, v3
	v_fma_f32 v2, -v2, v5, v4
	v_div_fmas_f32 v2, v2, v3, v5
	v_div_fixup_f32 v0, v2, v0, v11
	v_mul_f32_e32 v0, v1, v0
.LBB20_37:
	s_cbranch_execnz .LBB20_45
.LBB20_38:
	s_cmp_eq_u32 s10, 1
	s_cbranch_scc0 .LBB20_44
; %bb.39:
	v_mul_f32_e32 v0, 0x3d372713, v11
	v_mul_f32_e32 v2, 0x3f4c422a, v11
	v_fma_f32 v0, v11, v0, 1.0
	v_mul_f32_e32 v0, v2, v0
                                        ; implicit-def: $vgpr2
	v_cmp_ngt_f32_e64 s1, 0x3f200000, |v0|
	s_and_saveexec_b32 s7, s1
	s_xor_b32 s1, exec_lo, s7
	s_cbranch_execz .LBB20_41
; %bb.40:
	v_add_f32_e64 v2, |v0|, |v0|
	v_mul_f32_e32 v3, 0x3fb8aa3b, v2
	v_cmp_ngt_f32_e32 vcc_lo, 0xc2ce8ed0, v2
	v_rndne_f32_e32 v4, v3
	v_fma_f32 v5, 0x3fb8aa3b, v2, -v3
	v_sub_f32_e32 v3, v3, v4
	v_fmamk_f32 v5, v2, 0x32a5705f, v5
	v_cvt_i32_f32_e32 v4, v4
	v_add_f32_e32 v3, v3, v5
	v_exp_f32_e32 v3, v3
	v_ldexp_f32 v3, v3, v4
	v_cndmask_b32_e32 v3, 0, v3, vcc_lo
	v_cmp_nlt_f32_e32 vcc_lo, 0x42b17218, v2
	v_cndmask_b32_e32 v2, 0x7f800000, v3, vcc_lo
	v_add_f32_e32 v2, 1.0, v2
	v_rcp_f32_e32 v2, v2
	v_fma_f32 v2, v2, -2.0, 1.0
.LBB20_41:
	s_andn2_saveexec_b32 s1, s1
	s_cbranch_execz .LBB20_43
; %bb.42:
	v_mul_f32_e32 v2, v0, v0
	s_mov_b32 s7, 0xbbbac73d
	v_fmaak_f32 v3, s7, v2, 0x3ca908c9
	v_fmaak_f32 v3, v2, v3, 0xbd5c1c4e
	;; [unrolled: 1-line block ×4, first 2 shown]
	v_mul_f32_e64 v3, |v0|, v3
	v_fma_f32 v2, v2, v3, |v0|
.LBB20_43:
	s_or_b32 exec_lo, exec_lo, s1
	v_bfi_b32 v0, 0x7fffffff, v2, v0
	v_mul_f32_e32 v2, 0.5, v11
	v_add_f32_e32 v0, 1.0, v0
	v_mul_f32_e32 v0, v2, v0
	v_mul_f32_e32 v1, v1, v0
.LBB20_44:
	v_mov_b32_e32 v0, v1
.LBB20_45:
	v_mov_b32_e32 v1, v0
.LBB20_46:
	s_load_dwordx2 s[4:5], s[4:5], 0x38
	s_mul_i32 s0, s22, s0
	s_lshl_b64 s[2:3], s[2:3], 2
	s_ashr_i32 s1, s0, 31
	v_mov_b32_e32 v0, 0
	s_waitcnt lgkmcnt(0)
	s_add_u32 s2, s4, s2
	s_addc_u32 s3, s5, s3
	s_lshl_b64 s[0:1], s[0:1], 2
	s_add_u32 s2, s2, s0
	s_addc_u32 s3, s3, s1
	s_ashr_i32 s7, s6, 31
	s_lshl_b64 s[0:1], s[6:7], 2
	s_add_u32 s0, s2, s0
	s_addc_u32 s1, s3, s1
	global_store_dword v0, v1, s[0:1]
.LBB20_47:
	s_endpgm
	.section	.rodata,"a",@progbits
	.p2align	6, 0x0
	.amdhsa_kernel _ZL13mul_mat_vec_fIffLi1ELi96ELb1ELb0EEvPKT_PKfPKi31ggml_cuda_mm_fusion_args_devicePfi15HIP_vector_typeIjLj3EEiiiSA_iiiSA_iiii
		.amdhsa_group_segment_fixed_size 0
		.amdhsa_private_segment_fixed_size 0
		.amdhsa_kernarg_size 144
		.amdhsa_user_sgpr_count 6
		.amdhsa_user_sgpr_private_segment_buffer 1
		.amdhsa_user_sgpr_dispatch_ptr 0
		.amdhsa_user_sgpr_queue_ptr 0
		.amdhsa_user_sgpr_kernarg_segment_ptr 1
		.amdhsa_user_sgpr_dispatch_id 0
		.amdhsa_user_sgpr_flat_scratch_init 0
		.amdhsa_user_sgpr_private_segment_size 0
		.amdhsa_wavefront_size32 1
		.amdhsa_uses_dynamic_stack 0
		.amdhsa_system_sgpr_private_segment_wavefront_offset 0
		.amdhsa_system_sgpr_workgroup_id_x 1
		.amdhsa_system_sgpr_workgroup_id_y 1
		.amdhsa_system_sgpr_workgroup_id_z 1
		.amdhsa_system_sgpr_workgroup_info 0
		.amdhsa_system_vgpr_workitem_id 0
		.amdhsa_next_free_vgpr 17
		.amdhsa_next_free_sgpr 40
		.amdhsa_reserve_vcc 1
		.amdhsa_reserve_flat_scratch 0
		.amdhsa_float_round_mode_32 0
		.amdhsa_float_round_mode_16_64 0
		.amdhsa_float_denorm_mode_32 3
		.amdhsa_float_denorm_mode_16_64 3
		.amdhsa_dx10_clamp 1
		.amdhsa_ieee_mode 1
		.amdhsa_fp16_overflow 0
		.amdhsa_workgroup_processor_mode 1
		.amdhsa_memory_ordered 1
		.amdhsa_forward_progress 1
		.amdhsa_shared_vgpr_count 0
		.amdhsa_exception_fp_ieee_invalid_op 0
		.amdhsa_exception_fp_denorm_src 0
		.amdhsa_exception_fp_ieee_div_zero 0
		.amdhsa_exception_fp_ieee_overflow 0
		.amdhsa_exception_fp_ieee_underflow 0
		.amdhsa_exception_fp_ieee_inexact 0
		.amdhsa_exception_int_div_zero 0
	.end_amdhsa_kernel
	.section	.text._ZL13mul_mat_vec_fIffLi1ELi96ELb1ELb0EEvPKT_PKfPKi31ggml_cuda_mm_fusion_args_devicePfi15HIP_vector_typeIjLj3EEiiiSA_iiiSA_iiii,"axG",@progbits,_ZL13mul_mat_vec_fIffLi1ELi96ELb1ELb0EEvPKT_PKfPKi31ggml_cuda_mm_fusion_args_devicePfi15HIP_vector_typeIjLj3EEiiiSA_iiiSA_iiii,comdat
.Lfunc_end20:
	.size	_ZL13mul_mat_vec_fIffLi1ELi96ELb1ELb0EEvPKT_PKfPKi31ggml_cuda_mm_fusion_args_devicePfi15HIP_vector_typeIjLj3EEiiiSA_iiiSA_iiii, .Lfunc_end20-_ZL13mul_mat_vec_fIffLi1ELi96ELb1ELb0EEvPKT_PKfPKi31ggml_cuda_mm_fusion_args_devicePfi15HIP_vector_typeIjLj3EEiiiSA_iiiSA_iiii
                                        ; -- End function
	.set _ZL13mul_mat_vec_fIffLi1ELi96ELb1ELb0EEvPKT_PKfPKi31ggml_cuda_mm_fusion_args_devicePfi15HIP_vector_typeIjLj3EEiiiSA_iiiSA_iiii.num_vgpr, 17
	.set _ZL13mul_mat_vec_fIffLi1ELi96ELb1ELb0EEvPKT_PKfPKi31ggml_cuda_mm_fusion_args_devicePfi15HIP_vector_typeIjLj3EEiiiSA_iiiSA_iiii.num_agpr, 0
	.set _ZL13mul_mat_vec_fIffLi1ELi96ELb1ELb0EEvPKT_PKfPKi31ggml_cuda_mm_fusion_args_devicePfi15HIP_vector_typeIjLj3EEiiiSA_iiiSA_iiii.numbered_sgpr, 40
	.set _ZL13mul_mat_vec_fIffLi1ELi96ELb1ELb0EEvPKT_PKfPKi31ggml_cuda_mm_fusion_args_devicePfi15HIP_vector_typeIjLj3EEiiiSA_iiiSA_iiii.num_named_barrier, 0
	.set _ZL13mul_mat_vec_fIffLi1ELi96ELb1ELb0EEvPKT_PKfPKi31ggml_cuda_mm_fusion_args_devicePfi15HIP_vector_typeIjLj3EEiiiSA_iiiSA_iiii.private_seg_size, 0
	.set _ZL13mul_mat_vec_fIffLi1ELi96ELb1ELb0EEvPKT_PKfPKi31ggml_cuda_mm_fusion_args_devicePfi15HIP_vector_typeIjLj3EEiiiSA_iiiSA_iiii.uses_vcc, 1
	.set _ZL13mul_mat_vec_fIffLi1ELi96ELb1ELb0EEvPKT_PKfPKi31ggml_cuda_mm_fusion_args_devicePfi15HIP_vector_typeIjLj3EEiiiSA_iiiSA_iiii.uses_flat_scratch, 0
	.set _ZL13mul_mat_vec_fIffLi1ELi96ELb1ELb0EEvPKT_PKfPKi31ggml_cuda_mm_fusion_args_devicePfi15HIP_vector_typeIjLj3EEiiiSA_iiiSA_iiii.has_dyn_sized_stack, 0
	.set _ZL13mul_mat_vec_fIffLi1ELi96ELb1ELb0EEvPKT_PKfPKi31ggml_cuda_mm_fusion_args_devicePfi15HIP_vector_typeIjLj3EEiiiSA_iiiSA_iiii.has_recursion, 0
	.set _ZL13mul_mat_vec_fIffLi1ELi96ELb1ELb0EEvPKT_PKfPKi31ggml_cuda_mm_fusion_args_devicePfi15HIP_vector_typeIjLj3EEiiiSA_iiiSA_iiii.has_indirect_call, 0
	.section	.AMDGPU.csdata,"",@progbits
; Kernel info:
; codeLenInByte = 2324
; TotalNumSgprs: 42
; NumVgprs: 17
; ScratchSize: 0
; MemoryBound: 0
; FloatMode: 240
; IeeeMode: 1
; LDSByteSize: 0 bytes/workgroup (compile time only)
; SGPRBlocks: 0
; VGPRBlocks: 2
; NumSGPRsForWavesPerEU: 42
; NumVGPRsForWavesPerEU: 17
; Occupancy: 16
; WaveLimiterHint : 1
; COMPUTE_PGM_RSRC2:SCRATCH_EN: 0
; COMPUTE_PGM_RSRC2:USER_SGPR: 6
; COMPUTE_PGM_RSRC2:TRAP_HANDLER: 0
; COMPUTE_PGM_RSRC2:TGID_X_EN: 1
; COMPUTE_PGM_RSRC2:TGID_Y_EN: 1
; COMPUTE_PGM_RSRC2:TGID_Z_EN: 1
; COMPUTE_PGM_RSRC2:TIDIG_COMP_CNT: 0
	.section	.text._ZL13mul_mat_vec_fIffLi1ELi96ELb0ELb0EEvPKT_PKfPKi31ggml_cuda_mm_fusion_args_devicePfi15HIP_vector_typeIjLj3EEiiiSA_iiiSA_iiii,"axG",@progbits,_ZL13mul_mat_vec_fIffLi1ELi96ELb0ELb0EEvPKT_PKfPKi31ggml_cuda_mm_fusion_args_devicePfi15HIP_vector_typeIjLj3EEiiiSA_iiiSA_iiii,comdat
	.globl	_ZL13mul_mat_vec_fIffLi1ELi96ELb0ELb0EEvPKT_PKfPKi31ggml_cuda_mm_fusion_args_devicePfi15HIP_vector_typeIjLj3EEiiiSA_iiiSA_iiii ; -- Begin function _ZL13mul_mat_vec_fIffLi1ELi96ELb0ELb0EEvPKT_PKfPKi31ggml_cuda_mm_fusion_args_devicePfi15HIP_vector_typeIjLj3EEiiiSA_iiiSA_iiii
	.p2align	8
	.type	_ZL13mul_mat_vec_fIffLi1ELi96ELb0ELb0EEvPKT_PKfPKi31ggml_cuda_mm_fusion_args_devicePfi15HIP_vector_typeIjLj3EEiiiSA_iiiSA_iiii,@function
_ZL13mul_mat_vec_fIffLi1ELi96ELb0ELb0EEvPKT_PKfPKi31ggml_cuda_mm_fusion_args_devicePfi15HIP_vector_typeIjLj3EEiiiSA_iiiSA_iiii: ; @_ZL13mul_mat_vec_fIffLi1ELi96ELb0ELb0EEvPKT_PKfPKi31ggml_cuda_mm_fusion_args_devicePfi15HIP_vector_typeIjLj3EEiiiSA_iiiSA_iiii
; %bb.0:
	s_clause 0x2
	s_load_dwordx2 s[2:3], s[4:5], 0x10
	s_load_dwordx4 s[20:23], s[4:5], 0x40
	s_load_dwordx4 s[12:15], s[4:5], 0x80
	s_waitcnt lgkmcnt(0)
	s_cmp_eq_u64 s[2:3], 0
	s_cselect_b32 s10, -1, 0
	s_cmp_lg_u64 s[2:3], 0
	s_cselect_b32 s9, -1, 0
	s_and_b32 vcc_lo, exec_lo, s10
	s_cbranch_vccnz .LBB21_2
; %bb.1:
	s_mul_i32 s0, s15, s8
	s_mov_b32 s1, 0
	s_add_i32 s0, s0, s7
	s_lshl_b64 s[16:17], s[0:1], 2
	s_add_u32 s2, s2, s16
	s_addc_u32 s3, s3, s17
	s_load_dword s15, s[2:3], 0x0
	s_load_dword s24, s[4:5], 0x50
	s_cbranch_execz .LBB21_3
	s_branch .LBB21_4
.LBB21_2:
                                        ; implicit-def: $sgpr15
	s_load_dword s24, s[4:5], 0x50
.LBB21_3:
	s_load_dwordx2 s[0:1], s[4:5], 0x5c
	s_waitcnt lgkmcnt(0)
	s_mul_hi_u32 s0, s0, s7
	s_add_i32 s0, s7, s0
	s_lshr_b32 s15, s0, s1
.LBB21_4:
	s_load_dwordx4 s[16:19], s[4:5], 0x68
	s_andn2_b32 vcc_lo, exec_lo, s9
	s_mov_b32 s25, s7
	s_cbranch_vccnz .LBB21_6
; %bb.5:
	s_mul_hi_u32 s0, s21, s7
	s_add_i32 s0, s7, s0
	s_lshr_b32 s0, s0, s22
	s_mul_i32 s0, s0, s23
	s_sub_i32 s25, s7, s0
.LBB21_6:
	s_load_dword s11, s[4:5], 0x78
	v_cmp_gt_u32_e32 vcc_lo, 32, v0
	v_lshl_add_u32 v5, v0, 2, 0
	s_and_saveexec_b32 s0, vcc_lo
; %bb.7:
	v_mov_b32_e32 v1, 0
	ds_write_b32 v5, v1
; %bb.8:
	s_or_b32 exec_lo, exec_lo, s0
	v_mov_b32_e32 v6, 0
	s_and_b32 s0, exec_lo, s10
	s_mov_b32 s9, 0
	s_cselect_b32 s8, s8, 0
	s_mov_b32 s10, exec_lo
	s_waitcnt lgkmcnt(0)
	s_barrier
	buffer_gl0_inv
	v_cmpx_gt_i32_e64 s20, v0
	s_cbranch_execz .LBB21_12
; %bb.9:
	s_load_dwordx4 s[0:3], s[4:5], 0x0
	s_mul_hi_u32 s19, s19, s8
	s_mul_i32 s16, s15, s16
	s_add_i32 s15, s8, s19
	s_mul_i32 s22, s24, s6
	s_lshr_b32 s11, s15, s11
	s_mul_i32 s24, s25, s17
	s_ashr_i32 s17, s16, 31
	s_ashr_i32 s23, s22, 31
	s_mul_hi_i32 s29, s11, s12
	s_mul_i32 s28, s11, s12
	s_lshl_b64 s[16:17], s[16:17], 2
	s_ashr_i32 s25, s24, 31
	s_lshl_b64 s[22:23], s[22:23], 2
	s_lshl_b64 s[28:29], s[28:29], 2
	v_lshlrev_b32_e32 v1, 3, v0
	s_mul_hi_i32 s27, s8, s13
	s_mul_i32 s26, s8, s13
	v_mov_b32_e32 v6, 0
	s_waitcnt lgkmcnt(0)
	s_add_u32 s0, s0, s16
	s_addc_u32 s1, s1, s17
	s_add_u32 s0, s0, s22
	s_addc_u32 s1, s1, s23
	;; [unrolled: 2-line block ×3, first 2 shown]
	v_add_co_u32 v2, s0, s0, v1
	v_add_co_ci_u32_e64 v3, null, s1, 0, s0
	s_lshl_b64 s[0:1], s[24:25], 2
	s_lshl_b64 s[12:13], s[26:27], 2
	s_add_u32 s0, s2, s0
	s_addc_u32 s1, s3, s1
	s_add_u32 s0, s0, s12
	s_addc_u32 s1, s1, s13
	v_add_co_u32 v4, s0, s0, v1
	v_add_co_ci_u32_e64 v7, null, s1, 0, s0
	v_add_co_u32 v1, s0, v2, 4
	v_add_co_ci_u32_e64 v2, null, 0, v3, s0
	;; [unrolled: 2-line block ×3, first 2 shown]
	v_mov_b32_e32 v7, v0
	.p2align	6
.LBB21_10:                              ; =>This Inner Loop Header: Depth=1
	global_load_dwordx2 v[8:9], v[1:2], off offset:-4
	global_load_dwordx2 v[10:11], v[3:4], off offset:-4
	v_add_nc_u32_e32 v7, 0x60, v7
	v_add_co_u32 v1, s0, 0x300, v1
	v_add_co_ci_u32_e64 v2, null, 0, v2, s0
	v_add_co_u32 v3, s0, 0x300, v3
	v_cmp_le_i32_e64 s1, s20, v7
	v_add_co_ci_u32_e64 v4, null, 0, v4, s0
	s_or_b32 s9, s1, s9
	s_waitcnt vmcnt(0)
	v_fmac_f32_e32 v6, v8, v10
	v_fmac_f32_e32 v6, v9, v11
	s_andn2_b32 exec_lo, exec_lo, s9
	s_cbranch_execnz .LBB21_10
; %bb.11:
	s_or_b32 exec_lo, exec_lo, s9
.LBB21_12:
	s_or_b32 exec_lo, exec_lo, s10
	v_mbcnt_lo_u32_b32 v2, -1, 0
	v_xor_b32_e32 v1, 16, v2
	v_xor_b32_e32 v3, 8, v2
	v_cmp_gt_i32_e64 s0, 32, v1
	v_cndmask_b32_e64 v1, v2, v1, s0
	v_cmp_gt_i32_e64 s0, 32, v3
	v_lshlrev_b32_e32 v1, 2, v1
	v_cndmask_b32_e64 v3, v2, v3, s0
	ds_bpermute_b32 v4, v1, v6
	v_lshlrev_b32_e32 v3, 2, v3
	s_waitcnt lgkmcnt(0)
	v_add_f32_e32 v6, v6, v4
	v_xor_b32_e32 v4, 4, v2
	ds_bpermute_b32 v7, v3, v6
	v_cmp_gt_i32_e64 s0, 32, v4
	v_cndmask_b32_e64 v4, v2, v4, s0
	v_lshlrev_b32_e32 v4, 2, v4
	s_waitcnt lgkmcnt(0)
	v_add_f32_e32 v7, v6, v7
	v_xor_b32_e32 v6, 2, v2
	ds_bpermute_b32 v8, v4, v7
	v_cmp_gt_i32_e64 s0, 32, v6
	v_cndmask_b32_e64 v6, v2, v6, s0
	;; [unrolled: 7-line block ×3, first 2 shown]
	v_lshlrev_b32_e32 v7, 2, v2
	s_waitcnt lgkmcnt(0)
	v_add_f32_e32 v2, v8, v9
	v_lshrrev_b32_e32 v9, 3, v0
	ds_bpermute_b32 v8, v7, v2
	v_and_b32_e32 v9, 0x7c, v9
	v_add_nc_u32_e32 v9, 0, v9
	s_waitcnt lgkmcnt(0)
	v_add_f32_e32 v2, v2, v8
	ds_write_b32 v9, v2
	s_waitcnt lgkmcnt(0)
	s_barrier
	buffer_gl0_inv
	s_and_saveexec_b32 s0, vcc_lo
	s_cbranch_execz .LBB21_14
; %bb.13:
	ds_read_b32 v2, v5
	s_waitcnt lgkmcnt(0)
	ds_bpermute_b32 v1, v1, v2
	s_waitcnt lgkmcnt(0)
	v_add_f32_e32 v1, v2, v1
	ds_bpermute_b32 v2, v3, v1
	s_waitcnt lgkmcnt(0)
	v_add_f32_e32 v1, v1, v2
	;; [unrolled: 3-line block ×5, first 2 shown]
.LBB21_14:
	s_or_b32 exec_lo, exec_lo, s0
	s_barrier
	buffer_gl0_inv
	s_mov_b32 s0, exec_lo
	v_cmpx_eq_u32_e32 0, v0
	s_cbranch_execz .LBB21_16
; %bb.15:
	s_load_dwordx2 s[0:1], s[4:5], 0x38
	s_mul_hi_i32 s3, s14, s8
	s_mul_i32 s2, s14, s8
	s_mul_i32 s4, s18, s7
	s_lshl_b64 s[2:3], s[2:3], 2
	s_ashr_i32 s5, s4, 31
	v_mov_b32_e32 v0, 0
	s_waitcnt lgkmcnt(0)
	s_add_u32 s2, s0, s2
	s_addc_u32 s3, s1, s3
	s_lshl_b64 s[0:1], s[4:5], 2
	s_add_u32 s2, s2, s0
	s_addc_u32 s3, s3, s1
	s_ashr_i32 s7, s6, 31
	s_lshl_b64 s[0:1], s[6:7], 2
	s_add_u32 s0, s2, s0
	s_addc_u32 s1, s3, s1
	global_store_dword v0, v2, s[0:1]
.LBB21_16:
	s_endpgm
	.section	.rodata,"a",@progbits
	.p2align	6, 0x0
	.amdhsa_kernel _ZL13mul_mat_vec_fIffLi1ELi96ELb0ELb0EEvPKT_PKfPKi31ggml_cuda_mm_fusion_args_devicePfi15HIP_vector_typeIjLj3EEiiiSA_iiiSA_iiii
		.amdhsa_group_segment_fixed_size 0
		.amdhsa_private_segment_fixed_size 0
		.amdhsa_kernarg_size 144
		.amdhsa_user_sgpr_count 6
		.amdhsa_user_sgpr_private_segment_buffer 1
		.amdhsa_user_sgpr_dispatch_ptr 0
		.amdhsa_user_sgpr_queue_ptr 0
		.amdhsa_user_sgpr_kernarg_segment_ptr 1
		.amdhsa_user_sgpr_dispatch_id 0
		.amdhsa_user_sgpr_flat_scratch_init 0
		.amdhsa_user_sgpr_private_segment_size 0
		.amdhsa_wavefront_size32 1
		.amdhsa_uses_dynamic_stack 0
		.amdhsa_system_sgpr_private_segment_wavefront_offset 0
		.amdhsa_system_sgpr_workgroup_id_x 1
		.amdhsa_system_sgpr_workgroup_id_y 1
		.amdhsa_system_sgpr_workgroup_id_z 1
		.amdhsa_system_sgpr_workgroup_info 0
		.amdhsa_system_vgpr_workitem_id 0
		.amdhsa_next_free_vgpr 12
		.amdhsa_next_free_sgpr 30
		.amdhsa_reserve_vcc 1
		.amdhsa_reserve_flat_scratch 0
		.amdhsa_float_round_mode_32 0
		.amdhsa_float_round_mode_16_64 0
		.amdhsa_float_denorm_mode_32 3
		.amdhsa_float_denorm_mode_16_64 3
		.amdhsa_dx10_clamp 1
		.amdhsa_ieee_mode 1
		.amdhsa_fp16_overflow 0
		.amdhsa_workgroup_processor_mode 1
		.amdhsa_memory_ordered 1
		.amdhsa_forward_progress 1
		.amdhsa_shared_vgpr_count 0
		.amdhsa_exception_fp_ieee_invalid_op 0
		.amdhsa_exception_fp_denorm_src 0
		.amdhsa_exception_fp_ieee_div_zero 0
		.amdhsa_exception_fp_ieee_overflow 0
		.amdhsa_exception_fp_ieee_underflow 0
		.amdhsa_exception_fp_ieee_inexact 0
		.amdhsa_exception_int_div_zero 0
	.end_amdhsa_kernel
	.section	.text._ZL13mul_mat_vec_fIffLi1ELi96ELb0ELb0EEvPKT_PKfPKi31ggml_cuda_mm_fusion_args_devicePfi15HIP_vector_typeIjLj3EEiiiSA_iiiSA_iiii,"axG",@progbits,_ZL13mul_mat_vec_fIffLi1ELi96ELb0ELb0EEvPKT_PKfPKi31ggml_cuda_mm_fusion_args_devicePfi15HIP_vector_typeIjLj3EEiiiSA_iiiSA_iiii,comdat
.Lfunc_end21:
	.size	_ZL13mul_mat_vec_fIffLi1ELi96ELb0ELb0EEvPKT_PKfPKi31ggml_cuda_mm_fusion_args_devicePfi15HIP_vector_typeIjLj3EEiiiSA_iiiSA_iiii, .Lfunc_end21-_ZL13mul_mat_vec_fIffLi1ELi96ELb0ELb0EEvPKT_PKfPKi31ggml_cuda_mm_fusion_args_devicePfi15HIP_vector_typeIjLj3EEiiiSA_iiiSA_iiii
                                        ; -- End function
	.set _ZL13mul_mat_vec_fIffLi1ELi96ELb0ELb0EEvPKT_PKfPKi31ggml_cuda_mm_fusion_args_devicePfi15HIP_vector_typeIjLj3EEiiiSA_iiiSA_iiii.num_vgpr, 12
	.set _ZL13mul_mat_vec_fIffLi1ELi96ELb0ELb0EEvPKT_PKfPKi31ggml_cuda_mm_fusion_args_devicePfi15HIP_vector_typeIjLj3EEiiiSA_iiiSA_iiii.num_agpr, 0
	.set _ZL13mul_mat_vec_fIffLi1ELi96ELb0ELb0EEvPKT_PKfPKi31ggml_cuda_mm_fusion_args_devicePfi15HIP_vector_typeIjLj3EEiiiSA_iiiSA_iiii.numbered_sgpr, 30
	.set _ZL13mul_mat_vec_fIffLi1ELi96ELb0ELb0EEvPKT_PKfPKi31ggml_cuda_mm_fusion_args_devicePfi15HIP_vector_typeIjLj3EEiiiSA_iiiSA_iiii.num_named_barrier, 0
	.set _ZL13mul_mat_vec_fIffLi1ELi96ELb0ELb0EEvPKT_PKfPKi31ggml_cuda_mm_fusion_args_devicePfi15HIP_vector_typeIjLj3EEiiiSA_iiiSA_iiii.private_seg_size, 0
	.set _ZL13mul_mat_vec_fIffLi1ELi96ELb0ELb0EEvPKT_PKfPKi31ggml_cuda_mm_fusion_args_devicePfi15HIP_vector_typeIjLj3EEiiiSA_iiiSA_iiii.uses_vcc, 1
	.set _ZL13mul_mat_vec_fIffLi1ELi96ELb0ELb0EEvPKT_PKfPKi31ggml_cuda_mm_fusion_args_devicePfi15HIP_vector_typeIjLj3EEiiiSA_iiiSA_iiii.uses_flat_scratch, 0
	.set _ZL13mul_mat_vec_fIffLi1ELi96ELb0ELb0EEvPKT_PKfPKi31ggml_cuda_mm_fusion_args_devicePfi15HIP_vector_typeIjLj3EEiiiSA_iiiSA_iiii.has_dyn_sized_stack, 0
	.set _ZL13mul_mat_vec_fIffLi1ELi96ELb0ELb0EEvPKT_PKfPKi31ggml_cuda_mm_fusion_args_devicePfi15HIP_vector_typeIjLj3EEiiiSA_iiiSA_iiii.has_recursion, 0
	.set _ZL13mul_mat_vec_fIffLi1ELi96ELb0ELb0EEvPKT_PKfPKi31ggml_cuda_mm_fusion_args_devicePfi15HIP_vector_typeIjLj3EEiiiSA_iiiSA_iiii.has_indirect_call, 0
	.section	.AMDGPU.csdata,"",@progbits
; Kernel info:
; codeLenInByte = 1076
; TotalNumSgprs: 32
; NumVgprs: 12
; ScratchSize: 0
; MemoryBound: 0
; FloatMode: 240
; IeeeMode: 1
; LDSByteSize: 0 bytes/workgroup (compile time only)
; SGPRBlocks: 0
; VGPRBlocks: 1
; NumSGPRsForWavesPerEU: 32
; NumVGPRsForWavesPerEU: 12
; Occupancy: 16
; WaveLimiterHint : 0
; COMPUTE_PGM_RSRC2:SCRATCH_EN: 0
; COMPUTE_PGM_RSRC2:USER_SGPR: 6
; COMPUTE_PGM_RSRC2:TRAP_HANDLER: 0
; COMPUTE_PGM_RSRC2:TGID_X_EN: 1
; COMPUTE_PGM_RSRC2:TGID_Y_EN: 1
; COMPUTE_PGM_RSRC2:TGID_Z_EN: 1
; COMPUTE_PGM_RSRC2:TIDIG_COMP_CNT: 0
	.section	.text._ZL13mul_mat_vec_fIffLi1ELi128ELb1ELb0EEvPKT_PKfPKi31ggml_cuda_mm_fusion_args_devicePfi15HIP_vector_typeIjLj3EEiiiSA_iiiSA_iiii,"axG",@progbits,_ZL13mul_mat_vec_fIffLi1ELi128ELb1ELb0EEvPKT_PKfPKi31ggml_cuda_mm_fusion_args_devicePfi15HIP_vector_typeIjLj3EEiiiSA_iiiSA_iiii,comdat
	.globl	_ZL13mul_mat_vec_fIffLi1ELi128ELb1ELb0EEvPKT_PKfPKi31ggml_cuda_mm_fusion_args_devicePfi15HIP_vector_typeIjLj3EEiiiSA_iiiSA_iiii ; -- Begin function _ZL13mul_mat_vec_fIffLi1ELi128ELb1ELb0EEvPKT_PKfPKi31ggml_cuda_mm_fusion_args_devicePfi15HIP_vector_typeIjLj3EEiiiSA_iiiSA_iiii
	.p2align	8
	.type	_ZL13mul_mat_vec_fIffLi1ELi128ELb1ELb0EEvPKT_PKfPKi31ggml_cuda_mm_fusion_args_devicePfi15HIP_vector_typeIjLj3EEiiiSA_iiiSA_iiii,@function
_ZL13mul_mat_vec_fIffLi1ELi128ELb1ELb0EEvPKT_PKfPKi31ggml_cuda_mm_fusion_args_devicePfi15HIP_vector_typeIjLj3EEiiiSA_iiiSA_iiii: ; @_ZL13mul_mat_vec_fIffLi1ELi128ELb1ELb0EEvPKT_PKfPKi31ggml_cuda_mm_fusion_args_devicePfi15HIP_vector_typeIjLj3EEiiiSA_iiiSA_iiii
; %bb.0:
	s_clause 0x3
	s_load_dwordx8 s[12:19], s[4:5], 0x0
	s_load_dwordx4 s[24:27], s[4:5], 0x20
	s_load_dwordx4 s[36:39], s[4:5], 0x40
	s_load_dwordx4 s[28:31], s[4:5], 0x80
	s_mov_b32 s0, s7
	s_waitcnt lgkmcnt(0)
	s_cmp_eq_u64 s[16:17], 0
	s_cselect_b32 s11, -1, 0
	s_cmp_lg_u64 s[16:17], 0
	s_cselect_b32 s1, -1, 0
	s_and_b32 vcc_lo, exec_lo, s11
	s_cbranch_vccnz .LBB22_2
; %bb.1:
	s_mul_i32 s2, s31, s8
	s_mov_b32 s3, 0
	s_add_i32 s2, s2, s0
	s_lshl_b64 s[20:21], s[2:3], 2
	s_add_u32 s16, s16, s20
	s_addc_u32 s17, s17, s21
	s_load_dword s7, s[16:17], 0x0
	s_load_dword s16, s[4:5], 0x50
	s_waitcnt lgkmcnt(0)
	s_mov_b32 s3, s7
	s_cbranch_execz .LBB22_3
	s_branch .LBB22_4
.LBB22_2:
                                        ; implicit-def: $sgpr7
	s_load_dword s16, s[4:5], 0x50
	s_mov_b32 s3, s7
.LBB22_3:
	s_load_dwordx2 s[2:3], s[4:5], 0x5c
	s_mov_b32 s7, s0
	s_waitcnt lgkmcnt(0)
	s_mul_hi_u32 s2, s2, s0
	s_add_i32 s2, s0, s2
	s_lshr_b32 s3, s2, s3
.LBB22_4:
	s_load_dwordx4 s[20:23], s[4:5], 0x68
	s_andn2_b32 vcc_lo, exec_lo, s1
	s_mov_b32 s17, s0
	s_cbranch_vccnz .LBB22_6
; %bb.5:
	s_mul_hi_u32 s1, s37, s0
	s_add_i32 s1, s0, s1
	s_lshr_b32 s1, s1, s38
	s_mul_i32 s1, s1, s39
	s_sub_i32 s17, s0, s1
.LBB22_6:
	s_load_dword s31, s[4:5], 0x78
	s_cmp_lg_u64 s[24:25], 0
	v_cmp_gt_u32_e64 s2, 32, v0
	v_lshl_add_u32 v12, v0, 2, 0
	s_cselect_b32 s1, -1, 0
	s_cmp_eq_u64 s[24:25], 0
	s_cselect_b32 s9, -1, 0
	s_and_saveexec_b32 s10, s2
	s_cbranch_execz .LBB22_9
; %bb.7:
	v_mov_b32_e32 v1, 0
	s_andn2_b32 vcc_lo, exec_lo, s1
	ds_write_b32 v12, v1
	s_cbranch_vccnz .LBB22_9
; %bb.8:
	ds_write_b32 v12, v1 offset:128
.LBB22_9:
	s_or_b32 exec_lo, exec_lo, s10
	v_mov_b32_e32 v11, 0
	v_mov_b32_e32 v13, 0
	s_and_b32 s11, exec_lo, s11
	s_mov_b32 s10, 0
	s_cselect_b32 s11, s8, 0
	s_mov_b32 s8, exec_lo
	s_waitcnt lgkmcnt(0)
	s_barrier
	buffer_gl0_inv
	v_cmpx_gt_i32_e64 s36, v0
	s_cbranch_execz .LBB22_15
; %bb.10:
	s_mul_hi_u32 s23, s23, s11
	s_mul_i32 s3, s3, s20
	s_add_i32 s23, s11, s23
	s_mul_i32 s16, s16, s6
	s_lshr_b32 s20, s23, s31
	s_ashr_i32 s31, s16, 31
	s_mul_hi_i32 s23, s20, s28
	s_mul_i32 s20, s20, s28
	s_ashr_i32 s28, s3, 31
	s_add_u32 s16, s20, s16
	s_addc_u32 s23, s23, s31
	s_mul_i32 s20, s17, s21
	s_add_u32 s16, s16, s3
	s_addc_u32 s17, s23, s28
	s_ashr_i32 s21, s20, 31
	s_and_b32 s3, s1, exec_lo
	s_cselect_b32 s3, s25, 0
	s_cselect_b32 s23, s24, 0
	;; [unrolled: 1-line block ×4, first 2 shown]
	v_lshlrev_b32_e32 v3, 3, v0
	s_lshl_b64 s[24:25], s[24:25], 2
	v_mov_b32_e32 v11, 0
	s_add_u32 s23, s23, s24
	s_addc_u32 s3, s3, s25
	s_mul_hi_i32 s25, s11, s29
	s_mul_i32 s24, s11, s29
	v_add_co_u32 v1, s23, s23, v3
	s_lshl_b64 s[20:21], s[20:21], 2
	s_lshl_b64 s[24:25], s[24:25], 2
	v_add_co_ci_u32_e64 v2, null, s3, 0, s23
	s_add_u32 s3, s14, s20
	s_addc_u32 s14, s15, s21
	s_add_u32 s3, s3, s24
	s_addc_u32 s20, s14, s25
	s_lshl_b64 s[14:15], s[16:17], 2
	v_add_co_u32 v4, s3, s3, v3
	v_add_co_ci_u32_e64 v5, null, s20, 0, s3
	s_add_u32 s3, s12, s14
	s_addc_u32 s12, s13, s15
	v_add_co_u32 v6, s3, s3, v3
	v_add_co_u32 v1, vcc_lo, v1, 4
	v_add_co_ci_u32_e64 v7, null, s12, 0, s3
	v_add_co_ci_u32_e64 v2, null, 0, v2, vcc_lo
	v_add_co_u32 v3, vcc_lo, v4, 4
	v_add_co_ci_u32_e64 v4, null, 0, v5, vcc_lo
	v_add_co_u32 v5, vcc_lo, v6, 4
	v_add_co_ci_u32_e64 v6, null, 0, v7, vcc_lo
	v_mov_b32_e32 v14, v0
	v_mov_b32_e32 v13, 0
	s_inst_prefetch 0x1
	s_branch .LBB22_12
	.p2align	6
.LBB22_11:                              ;   in Loop: Header=BB22_12 Depth=1
	global_load_dwordx2 v[15:16], v[3:4], off offset:-4
	v_add_nc_u32_e32 v14, 0x80, v14
	v_add_co_u32 v1, vcc_lo, 0x400, v1
	v_add_co_ci_u32_e64 v2, null, 0, v2, vcc_lo
	v_add_co_u32 v3, vcc_lo, 0x400, v3
	v_add_co_ci_u32_e64 v4, null, 0, v4, vcc_lo
	v_cmp_le_i32_e32 vcc_lo, s36, v14
	v_add_co_u32 v5, s3, 0x400, v5
	v_add_co_ci_u32_e64 v6, null, 0, v6, s3
	s_or_b32 s10, vcc_lo, s10
	s_waitcnt vmcnt(0)
	v_fma_f32 v9, v9, v15, v11
	v_fmac_f32_e32 v13, v7, v15
	v_fmac_f32_e32 v9, v10, v16
	;; [unrolled: 1-line block ×3, first 2 shown]
	v_cndmask_b32_e64 v11, v11, v9, s1
	s_andn2_b32 exec_lo, exec_lo, s10
	s_cbranch_execz .LBB22_14
.LBB22_12:                              ; =>This Inner Loop Header: Depth=1
	global_load_dwordx2 v[7:8], v[5:6], off offset:-4
	v_mov_b32_e32 v10, 0
	v_mov_b32_e32 v9, 0
	s_andn2_b32 vcc_lo, exec_lo, s1
	s_cbranch_vccnz .LBB22_11
; %bb.13:                               ;   in Loop: Header=BB22_12 Depth=1
	global_load_dwordx2 v[9:10], v[1:2], off offset:-4
	s_branch .LBB22_11
.LBB22_14:
	s_inst_prefetch 0x2
	s_or_b32 exec_lo, exec_lo, s10
.LBB22_15:
	s_or_b32 exec_lo, exec_lo, s8
	v_mbcnt_lo_u32_b32 v1, -1, 0
	s_load_dword s10, s[4:5], 0x30
	s_mov_b32 s3, -1
	v_xor_b32_e32 v2, 16, v1
	v_xor_b32_e32 v3, 8, v1
	v_cmp_gt_i32_e32 vcc_lo, 32, v2
	v_cndmask_b32_e32 v2, v1, v2, vcc_lo
	v_cmp_gt_i32_e32 vcc_lo, 32, v3
	v_lshlrev_b32_e32 v2, 2, v2
	v_cndmask_b32_e32 v3, v1, v3, vcc_lo
	ds_bpermute_b32 v4, v2, v13
	v_lshlrev_b32_e32 v3, 2, v3
	s_waitcnt lgkmcnt(0)
	v_add_f32_e32 v5, v13, v4
	v_xor_b32_e32 v4, 4, v1
	ds_bpermute_b32 v6, v3, v5
	v_cmp_gt_i32_e32 vcc_lo, 32, v4
	v_cndmask_b32_e32 v4, v1, v4, vcc_lo
	v_lshlrev_b32_e32 v4, 2, v4
	s_waitcnt lgkmcnt(0)
	v_add_f32_e32 v6, v5, v6
	v_xor_b32_e32 v5, 2, v1
	ds_bpermute_b32 v7, v4, v6
	v_cmp_gt_i32_e32 vcc_lo, 32, v5
	v_cndmask_b32_e32 v5, v1, v5, vcc_lo
	;; [unrolled: 7-line block ×3, first 2 shown]
	s_and_b32 vcc_lo, exec_lo, s9
	v_lshlrev_b32_e32 v6, 2, v1
	s_waitcnt lgkmcnt(0)
	v_add_f32_e32 v1, v7, v8
	v_lshrrev_b32_e32 v8, 5, v0
	ds_bpermute_b32 v7, v6, v1
	s_waitcnt lgkmcnt(0)
	v_add_f32_e32 v1, v1, v7
	v_lshl_add_u32 v7, v8, 2, 0
	s_cbranch_vccz .LBB22_17
; %bb.16:
	s_mov_b32 s3, 0
	ds_write_b32 v7, v1
.LBB22_17:
	s_andn2_b32 vcc_lo, exec_lo, s3
	s_cbranch_vccnz .LBB22_19
; %bb.18:
	ds_bpermute_b32 v8, v2, v11
	s_waitcnt lgkmcnt(0)
	v_add_f32_e32 v8, v11, v8
	ds_bpermute_b32 v9, v3, v8
	s_waitcnt lgkmcnt(0)
	v_add_f32_e32 v8, v8, v9
	;; [unrolled: 3-line block ×5, first 2 shown]
	ds_write2_b32 v7, v1, v11 offset1:32
.LBB22_19:
	s_waitcnt lgkmcnt(0)
	s_barrier
	buffer_gl0_inv
	s_and_saveexec_b32 s3, s2
	s_cbranch_execz .LBB22_23
; %bb.20:
	ds_read_b32 v1, v12
	s_andn2_b32 vcc_lo, exec_lo, s1
	s_waitcnt lgkmcnt(0)
	ds_bpermute_b32 v7, v2, v1
	s_waitcnt lgkmcnt(0)
	v_add_f32_e32 v1, v1, v7
	ds_bpermute_b32 v7, v3, v1
	s_waitcnt lgkmcnt(0)
	v_add_f32_e32 v1, v1, v7
	;; [unrolled: 3-line block ×4, first 2 shown]
	ds_bpermute_b32 v7, v6, v1
	s_cbranch_vccnz .LBB22_22
; %bb.21:
	ds_read_b32 v8, v12 offset:128
	s_waitcnt lgkmcnt(0)
	ds_bpermute_b32 v2, v2, v8
	s_waitcnt lgkmcnt(0)
	v_add_f32_e32 v2, v8, v2
	ds_bpermute_b32 v3, v3, v2
	s_waitcnt lgkmcnt(0)
	v_add_f32_e32 v2, v2, v3
	ds_bpermute_b32 v3, v4, v2
	s_waitcnt lgkmcnt(0)
	v_add_f32_e32 v2, v2, v3
	ds_bpermute_b32 v3, v5, v2
	s_waitcnt lgkmcnt(0)
	v_add_f32_e32 v2, v2, v3
	ds_bpermute_b32 v3, v6, v2
	s_waitcnt lgkmcnt(0)
	v_add_f32_e32 v11, v2, v3
.LBB22_22:
	s_waitcnt lgkmcnt(0)
	v_add_f32_e32 v1, v1, v7
.LBB22_23:
	s_or_b32 exec_lo, exec_lo, s3
	s_barrier
	buffer_gl0_inv
	s_mov_b32 s2, exec_lo
	v_cmpx_eq_u32_e32 0, v0
	s_cbranch_execz .LBB22_47
; %bb.24:
	s_cmp_eq_u64 s[18:19], 0
	s_mul_i32 s8, s7, s22
	s_cselect_b32 s2, -1, 0
	s_ashr_i32 s9, s8, 31
	s_mul_hi_i32 s3, s30, s11
	s_and_b32 vcc_lo, exec_lo, s2
	s_mul_i32 s2, s30, s11
	s_cbranch_vccnz .LBB22_26
; %bb.25:
	s_cselect_b32 s7, 0, s19
	s_cselect_b32 s11, 0, s18
	s_lshl_b64 s[12:13], s[2:3], 2
	s_add_u32 s11, s11, s12
	s_addc_u32 s7, s7, s13
	s_lshl_b64 s[12:13], s[8:9], 2
	s_add_u32 s11, s11, s12
	s_addc_u32 s14, s7, s13
	s_ashr_i32 s7, s6, 31
	s_lshl_b64 s[12:13], s[6:7], 2
	s_add_u32 s12, s11, s12
	s_addc_u32 s13, s14, s13
	s_load_dword s7, s[12:13], 0x0
	s_waitcnt lgkmcnt(0)
	v_add_f32_e32 v1, s7, v1
.LBB22_26:
	s_andn2_b32 vcc_lo, exec_lo, s1
	s_cbranch_vccnz .LBB22_46
; %bb.27:
	s_cmp_lg_u64 s[26:27], 0
	s_cselect_b32 s7, -1, 0
	s_and_b32 s1, s7, s1
	s_andn2_b32 vcc_lo, exec_lo, s1
	s_cbranch_vccnz .LBB22_29
; %bb.28:
	s_and_b32 s1, s7, exec_lo
	s_cselect_b32 s1, s27, 0
	s_cselect_b32 s7, s26, 0
	s_lshl_b64 s[12:13], s[2:3], 2
	s_add_u32 s7, s7, s12
	s_addc_u32 s1, s1, s13
	s_lshl_b64 s[8:9], s[8:9], 2
	s_add_u32 s11, s7, s8
	s_addc_u32 s1, s1, s9
	s_ashr_i32 s7, s6, 31
	s_lshl_b64 s[8:9], s[6:7], 2
	s_add_u32 s8, s11, s8
	s_addc_u32 s9, s1, s9
	s_load_dword s1, s[8:9], 0x0
	s_waitcnt lgkmcnt(0)
	v_add_f32_e32 v11, s1, v11
.LBB22_29:
	s_cmp_lt_i32 s10, 2
	s_cbranch_scc1 .LBB22_34
; %bb.30:
	s_cmp_lt_i32 s10, 3
	s_cbranch_scc1 .LBB22_35
; %bb.31:
	v_mov_b32_e32 v0, v1
	s_cmp_eq_u32 s10, 3
	s_cbranch_scc0 .LBB22_33
; %bb.32:
	v_max_f32_e32 v0, v11, v11
	v_min_f32_e32 v0, 0x40e00000, v0
	v_mul_f32_e32 v2, 0xbfd9db23, v0
	v_mul_f32_e32 v3, 0x3fb8aa3b, v2
	v_cmp_ngt_f32_e32 vcc_lo, 0xc2ce8ed0, v2
	v_fma_f32 v4, 0x3fb8aa3b, v2, -v3
	v_rndne_f32_e32 v5, v3
	v_fmamk_f32 v4, v2, 0x32a5705f, v4
	v_sub_f32_e32 v3, v3, v5
	v_add_f32_e32 v3, v3, v4
	v_cvt_i32_f32_e32 v4, v5
	v_exp_f32_e32 v3, v3
	v_ldexp_f32 v3, v3, v4
	v_cndmask_b32_e32 v3, 0, v3, vcc_lo
	v_cmp_nlt_f32_e32 vcc_lo, 0x42b17218, v2
	v_cndmask_b32_e32 v2, 0x7f800000, v3, vcc_lo
	v_add_f32_e32 v2, 1.0, v2
	v_div_scale_f32 v3, null, v2, v2, v0
	v_div_scale_f32 v6, vcc_lo, v0, v2, v0
	v_rcp_f32_e32 v4, v3
	v_fma_f32 v5, -v3, v4, 1.0
	v_fmac_f32_e32 v4, v5, v4
	v_mul_f32_e32 v5, v6, v4
	v_fma_f32 v7, -v3, v5, v6
	v_fmac_f32_e32 v5, v7, v4
	v_max_f32_e32 v7, v1, v1
	v_fma_f32 v3, -v3, v5, v6
	v_min_f32_e32 v6, 0x40e00000, v7
	v_div_fmas_f32 v3, v3, v4, v5
	v_max_f32_e32 v4, 0xc0e00000, v6
	v_div_fixup_f32 v0, v3, v2, v0
	v_add_f32_e32 v2, 1.0, v4
	v_mul_f32_e32 v0, v2, v0
.LBB22_33:
	s_cbranch_execz .LBB22_36
	s_branch .LBB22_37
.LBB22_34:
                                        ; implicit-def: $vgpr0
	s_branch .LBB22_38
.LBB22_35:
                                        ; implicit-def: $vgpr0
.LBB22_36:
	v_mul_f32_e32 v0, 0xbfb8aa3b, v11
	v_cmp_nlt_f32_e32 vcc_lo, 0x42ce8ed0, v11
	v_rndne_f32_e32 v2, v0
	v_fma_f32 v3, 0xbfb8aa3b, v11, -v0
	v_sub_f32_e32 v0, v0, v2
	v_fmamk_f32 v3, v11, 0xb2a5705f, v3
	v_cvt_i32_f32_e32 v2, v2
	v_add_f32_e32 v0, v0, v3
	v_exp_f32_e32 v0, v0
	v_ldexp_f32 v0, v0, v2
	v_cndmask_b32_e32 v0, 0, v0, vcc_lo
	v_cmp_ngt_f32_e32 vcc_lo, 0xc2b17218, v11
	v_cndmask_b32_e32 v0, 0x7f800000, v0, vcc_lo
	v_add_f32_e32 v0, 1.0, v0
	v_div_scale_f32 v2, null, v0, v0, v11
	v_rcp_f32_e32 v3, v2
	v_fma_f32 v4, -v2, v3, 1.0
	v_fmac_f32_e32 v3, v4, v3
	v_div_scale_f32 v4, vcc_lo, v11, v0, v11
	v_mul_f32_e32 v5, v4, v3
	v_fma_f32 v6, -v2, v5, v4
	v_fmac_f32_e32 v5, v6, v3
	v_fma_f32 v2, -v2, v5, v4
	v_div_fmas_f32 v2, v2, v3, v5
	v_div_fixup_f32 v0, v2, v0, v11
	v_mul_f32_e32 v0, v1, v0
.LBB22_37:
	s_cbranch_execnz .LBB22_45
.LBB22_38:
	s_cmp_eq_u32 s10, 1
	s_cbranch_scc0 .LBB22_44
; %bb.39:
	v_mul_f32_e32 v0, 0x3d372713, v11
	v_mul_f32_e32 v2, 0x3f4c422a, v11
	v_fma_f32 v0, v11, v0, 1.0
	v_mul_f32_e32 v0, v2, v0
                                        ; implicit-def: $vgpr2
	v_cmp_ngt_f32_e64 s1, 0x3f200000, |v0|
	s_and_saveexec_b32 s7, s1
	s_xor_b32 s1, exec_lo, s7
	s_cbranch_execz .LBB22_41
; %bb.40:
	v_add_f32_e64 v2, |v0|, |v0|
	v_mul_f32_e32 v3, 0x3fb8aa3b, v2
	v_cmp_ngt_f32_e32 vcc_lo, 0xc2ce8ed0, v2
	v_rndne_f32_e32 v4, v3
	v_fma_f32 v5, 0x3fb8aa3b, v2, -v3
	v_sub_f32_e32 v3, v3, v4
	v_fmamk_f32 v5, v2, 0x32a5705f, v5
	v_cvt_i32_f32_e32 v4, v4
	v_add_f32_e32 v3, v3, v5
	v_exp_f32_e32 v3, v3
	v_ldexp_f32 v3, v3, v4
	v_cndmask_b32_e32 v3, 0, v3, vcc_lo
	v_cmp_nlt_f32_e32 vcc_lo, 0x42b17218, v2
	v_cndmask_b32_e32 v2, 0x7f800000, v3, vcc_lo
	v_add_f32_e32 v2, 1.0, v2
	v_rcp_f32_e32 v2, v2
	v_fma_f32 v2, v2, -2.0, 1.0
.LBB22_41:
	s_andn2_saveexec_b32 s1, s1
	s_cbranch_execz .LBB22_43
; %bb.42:
	v_mul_f32_e32 v2, v0, v0
	s_mov_b32 s7, 0xbbbac73d
	v_fmaak_f32 v3, s7, v2, 0x3ca908c9
	v_fmaak_f32 v3, v2, v3, 0xbd5c1c4e
	;; [unrolled: 1-line block ×4, first 2 shown]
	v_mul_f32_e64 v3, |v0|, v3
	v_fma_f32 v2, v2, v3, |v0|
.LBB22_43:
	s_or_b32 exec_lo, exec_lo, s1
	v_bfi_b32 v0, 0x7fffffff, v2, v0
	v_mul_f32_e32 v2, 0.5, v11
	v_add_f32_e32 v0, 1.0, v0
	v_mul_f32_e32 v0, v2, v0
	v_mul_f32_e32 v1, v1, v0
.LBB22_44:
	v_mov_b32_e32 v0, v1
.LBB22_45:
	v_mov_b32_e32 v1, v0
.LBB22_46:
	s_load_dwordx2 s[4:5], s[4:5], 0x38
	s_mul_i32 s0, s22, s0
	s_lshl_b64 s[2:3], s[2:3], 2
	s_ashr_i32 s1, s0, 31
	v_mov_b32_e32 v0, 0
	s_waitcnt lgkmcnt(0)
	s_add_u32 s2, s4, s2
	s_addc_u32 s3, s5, s3
	s_lshl_b64 s[0:1], s[0:1], 2
	s_add_u32 s2, s2, s0
	s_addc_u32 s3, s3, s1
	s_ashr_i32 s7, s6, 31
	s_lshl_b64 s[0:1], s[6:7], 2
	s_add_u32 s0, s2, s0
	s_addc_u32 s1, s3, s1
	global_store_dword v0, v1, s[0:1]
.LBB22_47:
	s_endpgm
	.section	.rodata,"a",@progbits
	.p2align	6, 0x0
	.amdhsa_kernel _ZL13mul_mat_vec_fIffLi1ELi128ELb1ELb0EEvPKT_PKfPKi31ggml_cuda_mm_fusion_args_devicePfi15HIP_vector_typeIjLj3EEiiiSA_iiiSA_iiii
		.amdhsa_group_segment_fixed_size 0
		.amdhsa_private_segment_fixed_size 0
		.amdhsa_kernarg_size 144
		.amdhsa_user_sgpr_count 6
		.amdhsa_user_sgpr_private_segment_buffer 1
		.amdhsa_user_sgpr_dispatch_ptr 0
		.amdhsa_user_sgpr_queue_ptr 0
		.amdhsa_user_sgpr_kernarg_segment_ptr 1
		.amdhsa_user_sgpr_dispatch_id 0
		.amdhsa_user_sgpr_flat_scratch_init 0
		.amdhsa_user_sgpr_private_segment_size 0
		.amdhsa_wavefront_size32 1
		.amdhsa_uses_dynamic_stack 0
		.amdhsa_system_sgpr_private_segment_wavefront_offset 0
		.amdhsa_system_sgpr_workgroup_id_x 1
		.amdhsa_system_sgpr_workgroup_id_y 1
		.amdhsa_system_sgpr_workgroup_id_z 1
		.amdhsa_system_sgpr_workgroup_info 0
		.amdhsa_system_vgpr_workitem_id 0
		.amdhsa_next_free_vgpr 17
		.amdhsa_next_free_sgpr 40
		.amdhsa_reserve_vcc 1
		.amdhsa_reserve_flat_scratch 0
		.amdhsa_float_round_mode_32 0
		.amdhsa_float_round_mode_16_64 0
		.amdhsa_float_denorm_mode_32 3
		.amdhsa_float_denorm_mode_16_64 3
		.amdhsa_dx10_clamp 1
		.amdhsa_ieee_mode 1
		.amdhsa_fp16_overflow 0
		.amdhsa_workgroup_processor_mode 1
		.amdhsa_memory_ordered 1
		.amdhsa_forward_progress 1
		.amdhsa_shared_vgpr_count 0
		.amdhsa_exception_fp_ieee_invalid_op 0
		.amdhsa_exception_fp_denorm_src 0
		.amdhsa_exception_fp_ieee_div_zero 0
		.amdhsa_exception_fp_ieee_overflow 0
		.amdhsa_exception_fp_ieee_underflow 0
		.amdhsa_exception_fp_ieee_inexact 0
		.amdhsa_exception_int_div_zero 0
	.end_amdhsa_kernel
	.section	.text._ZL13mul_mat_vec_fIffLi1ELi128ELb1ELb0EEvPKT_PKfPKi31ggml_cuda_mm_fusion_args_devicePfi15HIP_vector_typeIjLj3EEiiiSA_iiiSA_iiii,"axG",@progbits,_ZL13mul_mat_vec_fIffLi1ELi128ELb1ELb0EEvPKT_PKfPKi31ggml_cuda_mm_fusion_args_devicePfi15HIP_vector_typeIjLj3EEiiiSA_iiiSA_iiii,comdat
.Lfunc_end22:
	.size	_ZL13mul_mat_vec_fIffLi1ELi128ELb1ELb0EEvPKT_PKfPKi31ggml_cuda_mm_fusion_args_devicePfi15HIP_vector_typeIjLj3EEiiiSA_iiiSA_iiii, .Lfunc_end22-_ZL13mul_mat_vec_fIffLi1ELi128ELb1ELb0EEvPKT_PKfPKi31ggml_cuda_mm_fusion_args_devicePfi15HIP_vector_typeIjLj3EEiiiSA_iiiSA_iiii
                                        ; -- End function
	.set _ZL13mul_mat_vec_fIffLi1ELi128ELb1ELb0EEvPKT_PKfPKi31ggml_cuda_mm_fusion_args_devicePfi15HIP_vector_typeIjLj3EEiiiSA_iiiSA_iiii.num_vgpr, 17
	.set _ZL13mul_mat_vec_fIffLi1ELi128ELb1ELb0EEvPKT_PKfPKi31ggml_cuda_mm_fusion_args_devicePfi15HIP_vector_typeIjLj3EEiiiSA_iiiSA_iiii.num_agpr, 0
	.set _ZL13mul_mat_vec_fIffLi1ELi128ELb1ELb0EEvPKT_PKfPKi31ggml_cuda_mm_fusion_args_devicePfi15HIP_vector_typeIjLj3EEiiiSA_iiiSA_iiii.numbered_sgpr, 40
	.set _ZL13mul_mat_vec_fIffLi1ELi128ELb1ELb0EEvPKT_PKfPKi31ggml_cuda_mm_fusion_args_devicePfi15HIP_vector_typeIjLj3EEiiiSA_iiiSA_iiii.num_named_barrier, 0
	.set _ZL13mul_mat_vec_fIffLi1ELi128ELb1ELb0EEvPKT_PKfPKi31ggml_cuda_mm_fusion_args_devicePfi15HIP_vector_typeIjLj3EEiiiSA_iiiSA_iiii.private_seg_size, 0
	.set _ZL13mul_mat_vec_fIffLi1ELi128ELb1ELb0EEvPKT_PKfPKi31ggml_cuda_mm_fusion_args_devicePfi15HIP_vector_typeIjLj3EEiiiSA_iiiSA_iiii.uses_vcc, 1
	.set _ZL13mul_mat_vec_fIffLi1ELi128ELb1ELb0EEvPKT_PKfPKi31ggml_cuda_mm_fusion_args_devicePfi15HIP_vector_typeIjLj3EEiiiSA_iiiSA_iiii.uses_flat_scratch, 0
	.set _ZL13mul_mat_vec_fIffLi1ELi128ELb1ELb0EEvPKT_PKfPKi31ggml_cuda_mm_fusion_args_devicePfi15HIP_vector_typeIjLj3EEiiiSA_iiiSA_iiii.has_dyn_sized_stack, 0
	.set _ZL13mul_mat_vec_fIffLi1ELi128ELb1ELb0EEvPKT_PKfPKi31ggml_cuda_mm_fusion_args_devicePfi15HIP_vector_typeIjLj3EEiiiSA_iiiSA_iiii.has_recursion, 0
	.set _ZL13mul_mat_vec_fIffLi1ELi128ELb1ELb0EEvPKT_PKfPKi31ggml_cuda_mm_fusion_args_devicePfi15HIP_vector_typeIjLj3EEiiiSA_iiiSA_iiii.has_indirect_call, 0
	.section	.AMDGPU.csdata,"",@progbits
; Kernel info:
; codeLenInByte = 2324
; TotalNumSgprs: 42
; NumVgprs: 17
; ScratchSize: 0
; MemoryBound: 0
; FloatMode: 240
; IeeeMode: 1
; LDSByteSize: 0 bytes/workgroup (compile time only)
; SGPRBlocks: 0
; VGPRBlocks: 2
; NumSGPRsForWavesPerEU: 42
; NumVGPRsForWavesPerEU: 17
; Occupancy: 16
; WaveLimiterHint : 1
; COMPUTE_PGM_RSRC2:SCRATCH_EN: 0
; COMPUTE_PGM_RSRC2:USER_SGPR: 6
; COMPUTE_PGM_RSRC2:TRAP_HANDLER: 0
; COMPUTE_PGM_RSRC2:TGID_X_EN: 1
; COMPUTE_PGM_RSRC2:TGID_Y_EN: 1
; COMPUTE_PGM_RSRC2:TGID_Z_EN: 1
; COMPUTE_PGM_RSRC2:TIDIG_COMP_CNT: 0
	.section	.text._ZL13mul_mat_vec_fIffLi1ELi128ELb0ELb0EEvPKT_PKfPKi31ggml_cuda_mm_fusion_args_devicePfi15HIP_vector_typeIjLj3EEiiiSA_iiiSA_iiii,"axG",@progbits,_ZL13mul_mat_vec_fIffLi1ELi128ELb0ELb0EEvPKT_PKfPKi31ggml_cuda_mm_fusion_args_devicePfi15HIP_vector_typeIjLj3EEiiiSA_iiiSA_iiii,comdat
	.globl	_ZL13mul_mat_vec_fIffLi1ELi128ELb0ELb0EEvPKT_PKfPKi31ggml_cuda_mm_fusion_args_devicePfi15HIP_vector_typeIjLj3EEiiiSA_iiiSA_iiii ; -- Begin function _ZL13mul_mat_vec_fIffLi1ELi128ELb0ELb0EEvPKT_PKfPKi31ggml_cuda_mm_fusion_args_devicePfi15HIP_vector_typeIjLj3EEiiiSA_iiiSA_iiii
	.p2align	8
	.type	_ZL13mul_mat_vec_fIffLi1ELi128ELb0ELb0EEvPKT_PKfPKi31ggml_cuda_mm_fusion_args_devicePfi15HIP_vector_typeIjLj3EEiiiSA_iiiSA_iiii,@function
_ZL13mul_mat_vec_fIffLi1ELi128ELb0ELb0EEvPKT_PKfPKi31ggml_cuda_mm_fusion_args_devicePfi15HIP_vector_typeIjLj3EEiiiSA_iiiSA_iiii: ; @_ZL13mul_mat_vec_fIffLi1ELi128ELb0ELb0EEvPKT_PKfPKi31ggml_cuda_mm_fusion_args_devicePfi15HIP_vector_typeIjLj3EEiiiSA_iiiSA_iiii
; %bb.0:
	s_clause 0x2
	s_load_dwordx2 s[2:3], s[4:5], 0x10
	s_load_dwordx4 s[20:23], s[4:5], 0x40
	s_load_dwordx4 s[12:15], s[4:5], 0x80
	s_waitcnt lgkmcnt(0)
	s_cmp_eq_u64 s[2:3], 0
	s_cselect_b32 s10, -1, 0
	s_cmp_lg_u64 s[2:3], 0
	s_cselect_b32 s9, -1, 0
	s_and_b32 vcc_lo, exec_lo, s10
	s_cbranch_vccnz .LBB23_2
; %bb.1:
	s_mul_i32 s0, s15, s8
	s_mov_b32 s1, 0
	s_add_i32 s0, s0, s7
	s_lshl_b64 s[16:17], s[0:1], 2
	s_add_u32 s2, s2, s16
	s_addc_u32 s3, s3, s17
	s_load_dword s15, s[2:3], 0x0
	s_load_dword s24, s[4:5], 0x50
	s_cbranch_execz .LBB23_3
	s_branch .LBB23_4
.LBB23_2:
                                        ; implicit-def: $sgpr15
	s_load_dword s24, s[4:5], 0x50
.LBB23_3:
	s_load_dwordx2 s[0:1], s[4:5], 0x5c
	s_waitcnt lgkmcnt(0)
	s_mul_hi_u32 s0, s0, s7
	s_add_i32 s0, s7, s0
	s_lshr_b32 s15, s0, s1
.LBB23_4:
	s_load_dwordx4 s[16:19], s[4:5], 0x68
	s_andn2_b32 vcc_lo, exec_lo, s9
	s_mov_b32 s25, s7
	s_cbranch_vccnz .LBB23_6
; %bb.5:
	s_mul_hi_u32 s0, s21, s7
	s_add_i32 s0, s7, s0
	s_lshr_b32 s0, s0, s22
	s_mul_i32 s0, s0, s23
	s_sub_i32 s25, s7, s0
.LBB23_6:
	s_load_dword s11, s[4:5], 0x78
	v_cmp_gt_u32_e32 vcc_lo, 32, v0
	v_lshl_add_u32 v5, v0, 2, 0
	s_and_saveexec_b32 s0, vcc_lo
; %bb.7:
	v_mov_b32_e32 v1, 0
	ds_write_b32 v5, v1
; %bb.8:
	s_or_b32 exec_lo, exec_lo, s0
	v_mov_b32_e32 v6, 0
	s_and_b32 s0, exec_lo, s10
	s_mov_b32 s9, 0
	s_cselect_b32 s8, s8, 0
	s_mov_b32 s10, exec_lo
	s_waitcnt lgkmcnt(0)
	s_barrier
	buffer_gl0_inv
	v_cmpx_gt_i32_e64 s20, v0
	s_cbranch_execz .LBB23_12
; %bb.9:
	s_load_dwordx4 s[0:3], s[4:5], 0x0
	s_mul_hi_u32 s19, s19, s8
	s_mul_i32 s16, s15, s16
	s_add_i32 s15, s8, s19
	s_mul_i32 s22, s24, s6
	s_lshr_b32 s11, s15, s11
	s_mul_i32 s24, s25, s17
	s_ashr_i32 s17, s16, 31
	s_ashr_i32 s23, s22, 31
	s_mul_hi_i32 s29, s11, s12
	s_mul_i32 s28, s11, s12
	s_lshl_b64 s[16:17], s[16:17], 2
	s_ashr_i32 s25, s24, 31
	s_lshl_b64 s[22:23], s[22:23], 2
	s_lshl_b64 s[28:29], s[28:29], 2
	v_lshlrev_b32_e32 v1, 3, v0
	s_mul_hi_i32 s27, s8, s13
	s_mul_i32 s26, s8, s13
	v_mov_b32_e32 v6, 0
	s_waitcnt lgkmcnt(0)
	s_add_u32 s0, s0, s16
	s_addc_u32 s1, s1, s17
	s_add_u32 s0, s0, s22
	s_addc_u32 s1, s1, s23
	;; [unrolled: 2-line block ×3, first 2 shown]
	v_add_co_u32 v2, s0, s0, v1
	v_add_co_ci_u32_e64 v3, null, s1, 0, s0
	s_lshl_b64 s[0:1], s[24:25], 2
	s_lshl_b64 s[12:13], s[26:27], 2
	s_add_u32 s0, s2, s0
	s_addc_u32 s1, s3, s1
	s_add_u32 s0, s0, s12
	s_addc_u32 s1, s1, s13
	v_add_co_u32 v4, s0, s0, v1
	v_add_co_ci_u32_e64 v7, null, s1, 0, s0
	v_add_co_u32 v1, s0, v2, 4
	v_add_co_ci_u32_e64 v2, null, 0, v3, s0
	;; [unrolled: 2-line block ×3, first 2 shown]
	v_mov_b32_e32 v7, v0
	.p2align	6
.LBB23_10:                              ; =>This Inner Loop Header: Depth=1
	global_load_dwordx2 v[8:9], v[1:2], off offset:-4
	global_load_dwordx2 v[10:11], v[3:4], off offset:-4
	v_add_nc_u32_e32 v7, 0x80, v7
	v_add_co_u32 v1, s0, 0x400, v1
	v_add_co_ci_u32_e64 v2, null, 0, v2, s0
	v_add_co_u32 v3, s0, 0x400, v3
	v_cmp_le_i32_e64 s1, s20, v7
	v_add_co_ci_u32_e64 v4, null, 0, v4, s0
	s_or_b32 s9, s1, s9
	s_waitcnt vmcnt(0)
	v_fmac_f32_e32 v6, v8, v10
	v_fmac_f32_e32 v6, v9, v11
	s_andn2_b32 exec_lo, exec_lo, s9
	s_cbranch_execnz .LBB23_10
; %bb.11:
	s_or_b32 exec_lo, exec_lo, s9
.LBB23_12:
	s_or_b32 exec_lo, exec_lo, s10
	v_mbcnt_lo_u32_b32 v2, -1, 0
	v_xor_b32_e32 v1, 16, v2
	v_xor_b32_e32 v3, 8, v2
	v_cmp_gt_i32_e64 s0, 32, v1
	v_cndmask_b32_e64 v1, v2, v1, s0
	v_cmp_gt_i32_e64 s0, 32, v3
	v_lshlrev_b32_e32 v1, 2, v1
	v_cndmask_b32_e64 v3, v2, v3, s0
	ds_bpermute_b32 v4, v1, v6
	v_lshlrev_b32_e32 v3, 2, v3
	s_waitcnt lgkmcnt(0)
	v_add_f32_e32 v6, v6, v4
	v_xor_b32_e32 v4, 4, v2
	ds_bpermute_b32 v7, v3, v6
	v_cmp_gt_i32_e64 s0, 32, v4
	v_cndmask_b32_e64 v4, v2, v4, s0
	v_lshlrev_b32_e32 v4, 2, v4
	s_waitcnt lgkmcnt(0)
	v_add_f32_e32 v7, v6, v7
	v_xor_b32_e32 v6, 2, v2
	ds_bpermute_b32 v8, v4, v7
	v_cmp_gt_i32_e64 s0, 32, v6
	v_cndmask_b32_e64 v6, v2, v6, s0
	;; [unrolled: 7-line block ×3, first 2 shown]
	v_lshlrev_b32_e32 v7, 2, v2
	s_waitcnt lgkmcnt(0)
	v_add_f32_e32 v2, v8, v9
	v_lshrrev_b32_e32 v9, 3, v0
	ds_bpermute_b32 v8, v7, v2
	v_and_b32_e32 v9, 0x7c, v9
	v_add_nc_u32_e32 v9, 0, v9
	s_waitcnt lgkmcnt(0)
	v_add_f32_e32 v2, v2, v8
	ds_write_b32 v9, v2
	s_waitcnt lgkmcnt(0)
	s_barrier
	buffer_gl0_inv
	s_and_saveexec_b32 s0, vcc_lo
	s_cbranch_execz .LBB23_14
; %bb.13:
	ds_read_b32 v2, v5
	s_waitcnt lgkmcnt(0)
	ds_bpermute_b32 v1, v1, v2
	s_waitcnt lgkmcnt(0)
	v_add_f32_e32 v1, v2, v1
	ds_bpermute_b32 v2, v3, v1
	s_waitcnt lgkmcnt(0)
	v_add_f32_e32 v1, v1, v2
	;; [unrolled: 3-line block ×5, first 2 shown]
.LBB23_14:
	s_or_b32 exec_lo, exec_lo, s0
	s_barrier
	buffer_gl0_inv
	s_mov_b32 s0, exec_lo
	v_cmpx_eq_u32_e32 0, v0
	s_cbranch_execz .LBB23_16
; %bb.15:
	s_load_dwordx2 s[0:1], s[4:5], 0x38
	s_mul_hi_i32 s3, s14, s8
	s_mul_i32 s2, s14, s8
	s_mul_i32 s4, s18, s7
	s_lshl_b64 s[2:3], s[2:3], 2
	s_ashr_i32 s5, s4, 31
	v_mov_b32_e32 v0, 0
	s_waitcnt lgkmcnt(0)
	s_add_u32 s2, s0, s2
	s_addc_u32 s3, s1, s3
	s_lshl_b64 s[0:1], s[4:5], 2
	s_add_u32 s2, s2, s0
	s_addc_u32 s3, s3, s1
	s_ashr_i32 s7, s6, 31
	s_lshl_b64 s[0:1], s[6:7], 2
	s_add_u32 s0, s2, s0
	s_addc_u32 s1, s3, s1
	global_store_dword v0, v2, s[0:1]
.LBB23_16:
	s_endpgm
	.section	.rodata,"a",@progbits
	.p2align	6, 0x0
	.amdhsa_kernel _ZL13mul_mat_vec_fIffLi1ELi128ELb0ELb0EEvPKT_PKfPKi31ggml_cuda_mm_fusion_args_devicePfi15HIP_vector_typeIjLj3EEiiiSA_iiiSA_iiii
		.amdhsa_group_segment_fixed_size 0
		.amdhsa_private_segment_fixed_size 0
		.amdhsa_kernarg_size 144
		.amdhsa_user_sgpr_count 6
		.amdhsa_user_sgpr_private_segment_buffer 1
		.amdhsa_user_sgpr_dispatch_ptr 0
		.amdhsa_user_sgpr_queue_ptr 0
		.amdhsa_user_sgpr_kernarg_segment_ptr 1
		.amdhsa_user_sgpr_dispatch_id 0
		.amdhsa_user_sgpr_flat_scratch_init 0
		.amdhsa_user_sgpr_private_segment_size 0
		.amdhsa_wavefront_size32 1
		.amdhsa_uses_dynamic_stack 0
		.amdhsa_system_sgpr_private_segment_wavefront_offset 0
		.amdhsa_system_sgpr_workgroup_id_x 1
		.amdhsa_system_sgpr_workgroup_id_y 1
		.amdhsa_system_sgpr_workgroup_id_z 1
		.amdhsa_system_sgpr_workgroup_info 0
		.amdhsa_system_vgpr_workitem_id 0
		.amdhsa_next_free_vgpr 12
		.amdhsa_next_free_sgpr 30
		.amdhsa_reserve_vcc 1
		.amdhsa_reserve_flat_scratch 0
		.amdhsa_float_round_mode_32 0
		.amdhsa_float_round_mode_16_64 0
		.amdhsa_float_denorm_mode_32 3
		.amdhsa_float_denorm_mode_16_64 3
		.amdhsa_dx10_clamp 1
		.amdhsa_ieee_mode 1
		.amdhsa_fp16_overflow 0
		.amdhsa_workgroup_processor_mode 1
		.amdhsa_memory_ordered 1
		.amdhsa_forward_progress 1
		.amdhsa_shared_vgpr_count 0
		.amdhsa_exception_fp_ieee_invalid_op 0
		.amdhsa_exception_fp_denorm_src 0
		.amdhsa_exception_fp_ieee_div_zero 0
		.amdhsa_exception_fp_ieee_overflow 0
		.amdhsa_exception_fp_ieee_underflow 0
		.amdhsa_exception_fp_ieee_inexact 0
		.amdhsa_exception_int_div_zero 0
	.end_amdhsa_kernel
	.section	.text._ZL13mul_mat_vec_fIffLi1ELi128ELb0ELb0EEvPKT_PKfPKi31ggml_cuda_mm_fusion_args_devicePfi15HIP_vector_typeIjLj3EEiiiSA_iiiSA_iiii,"axG",@progbits,_ZL13mul_mat_vec_fIffLi1ELi128ELb0ELb0EEvPKT_PKfPKi31ggml_cuda_mm_fusion_args_devicePfi15HIP_vector_typeIjLj3EEiiiSA_iiiSA_iiii,comdat
.Lfunc_end23:
	.size	_ZL13mul_mat_vec_fIffLi1ELi128ELb0ELb0EEvPKT_PKfPKi31ggml_cuda_mm_fusion_args_devicePfi15HIP_vector_typeIjLj3EEiiiSA_iiiSA_iiii, .Lfunc_end23-_ZL13mul_mat_vec_fIffLi1ELi128ELb0ELb0EEvPKT_PKfPKi31ggml_cuda_mm_fusion_args_devicePfi15HIP_vector_typeIjLj3EEiiiSA_iiiSA_iiii
                                        ; -- End function
	.set _ZL13mul_mat_vec_fIffLi1ELi128ELb0ELb0EEvPKT_PKfPKi31ggml_cuda_mm_fusion_args_devicePfi15HIP_vector_typeIjLj3EEiiiSA_iiiSA_iiii.num_vgpr, 12
	.set _ZL13mul_mat_vec_fIffLi1ELi128ELb0ELb0EEvPKT_PKfPKi31ggml_cuda_mm_fusion_args_devicePfi15HIP_vector_typeIjLj3EEiiiSA_iiiSA_iiii.num_agpr, 0
	.set _ZL13mul_mat_vec_fIffLi1ELi128ELb0ELb0EEvPKT_PKfPKi31ggml_cuda_mm_fusion_args_devicePfi15HIP_vector_typeIjLj3EEiiiSA_iiiSA_iiii.numbered_sgpr, 30
	.set _ZL13mul_mat_vec_fIffLi1ELi128ELb0ELb0EEvPKT_PKfPKi31ggml_cuda_mm_fusion_args_devicePfi15HIP_vector_typeIjLj3EEiiiSA_iiiSA_iiii.num_named_barrier, 0
	.set _ZL13mul_mat_vec_fIffLi1ELi128ELb0ELb0EEvPKT_PKfPKi31ggml_cuda_mm_fusion_args_devicePfi15HIP_vector_typeIjLj3EEiiiSA_iiiSA_iiii.private_seg_size, 0
	.set _ZL13mul_mat_vec_fIffLi1ELi128ELb0ELb0EEvPKT_PKfPKi31ggml_cuda_mm_fusion_args_devicePfi15HIP_vector_typeIjLj3EEiiiSA_iiiSA_iiii.uses_vcc, 1
	.set _ZL13mul_mat_vec_fIffLi1ELi128ELb0ELb0EEvPKT_PKfPKi31ggml_cuda_mm_fusion_args_devicePfi15HIP_vector_typeIjLj3EEiiiSA_iiiSA_iiii.uses_flat_scratch, 0
	.set _ZL13mul_mat_vec_fIffLi1ELi128ELb0ELb0EEvPKT_PKfPKi31ggml_cuda_mm_fusion_args_devicePfi15HIP_vector_typeIjLj3EEiiiSA_iiiSA_iiii.has_dyn_sized_stack, 0
	.set _ZL13mul_mat_vec_fIffLi1ELi128ELb0ELb0EEvPKT_PKfPKi31ggml_cuda_mm_fusion_args_devicePfi15HIP_vector_typeIjLj3EEiiiSA_iiiSA_iiii.has_recursion, 0
	.set _ZL13mul_mat_vec_fIffLi1ELi128ELb0ELb0EEvPKT_PKfPKi31ggml_cuda_mm_fusion_args_devicePfi15HIP_vector_typeIjLj3EEiiiSA_iiiSA_iiii.has_indirect_call, 0
	.section	.AMDGPU.csdata,"",@progbits
; Kernel info:
; codeLenInByte = 1076
; TotalNumSgprs: 32
; NumVgprs: 12
; ScratchSize: 0
; MemoryBound: 0
; FloatMode: 240
; IeeeMode: 1
; LDSByteSize: 0 bytes/workgroup (compile time only)
; SGPRBlocks: 0
; VGPRBlocks: 1
; NumSGPRsForWavesPerEU: 32
; NumVGPRsForWavesPerEU: 12
; Occupancy: 16
; WaveLimiterHint : 0
; COMPUTE_PGM_RSRC2:SCRATCH_EN: 0
; COMPUTE_PGM_RSRC2:USER_SGPR: 6
; COMPUTE_PGM_RSRC2:TRAP_HANDLER: 0
; COMPUTE_PGM_RSRC2:TGID_X_EN: 1
; COMPUTE_PGM_RSRC2:TGID_Y_EN: 1
; COMPUTE_PGM_RSRC2:TGID_Z_EN: 1
; COMPUTE_PGM_RSRC2:TIDIG_COMP_CNT: 0
	.section	.text._ZL13mul_mat_vec_fIffLi1ELi160ELb1ELb0EEvPKT_PKfPKi31ggml_cuda_mm_fusion_args_devicePfi15HIP_vector_typeIjLj3EEiiiSA_iiiSA_iiii,"axG",@progbits,_ZL13mul_mat_vec_fIffLi1ELi160ELb1ELb0EEvPKT_PKfPKi31ggml_cuda_mm_fusion_args_devicePfi15HIP_vector_typeIjLj3EEiiiSA_iiiSA_iiii,comdat
	.globl	_ZL13mul_mat_vec_fIffLi1ELi160ELb1ELb0EEvPKT_PKfPKi31ggml_cuda_mm_fusion_args_devicePfi15HIP_vector_typeIjLj3EEiiiSA_iiiSA_iiii ; -- Begin function _ZL13mul_mat_vec_fIffLi1ELi160ELb1ELb0EEvPKT_PKfPKi31ggml_cuda_mm_fusion_args_devicePfi15HIP_vector_typeIjLj3EEiiiSA_iiiSA_iiii
	.p2align	8
	.type	_ZL13mul_mat_vec_fIffLi1ELi160ELb1ELb0EEvPKT_PKfPKi31ggml_cuda_mm_fusion_args_devicePfi15HIP_vector_typeIjLj3EEiiiSA_iiiSA_iiii,@function
_ZL13mul_mat_vec_fIffLi1ELi160ELb1ELb0EEvPKT_PKfPKi31ggml_cuda_mm_fusion_args_devicePfi15HIP_vector_typeIjLj3EEiiiSA_iiiSA_iiii: ; @_ZL13mul_mat_vec_fIffLi1ELi160ELb1ELb0EEvPKT_PKfPKi31ggml_cuda_mm_fusion_args_devicePfi15HIP_vector_typeIjLj3EEiiiSA_iiiSA_iiii
; %bb.0:
	s_clause 0x3
	s_load_dwordx8 s[12:19], s[4:5], 0x0
	s_load_dwordx4 s[24:27], s[4:5], 0x20
	s_load_dwordx4 s[36:39], s[4:5], 0x40
	;; [unrolled: 1-line block ×3, first 2 shown]
	s_mov_b32 s0, s7
	s_waitcnt lgkmcnt(0)
	s_cmp_eq_u64 s[16:17], 0
	s_cselect_b32 s11, -1, 0
	s_cmp_lg_u64 s[16:17], 0
	s_cselect_b32 s1, -1, 0
	s_and_b32 vcc_lo, exec_lo, s11
	s_cbranch_vccnz .LBB24_2
; %bb.1:
	s_mul_i32 s2, s31, s8
	s_mov_b32 s3, 0
	s_add_i32 s2, s2, s0
	s_lshl_b64 s[20:21], s[2:3], 2
	s_add_u32 s16, s16, s20
	s_addc_u32 s17, s17, s21
	s_load_dword s7, s[16:17], 0x0
	s_load_dword s16, s[4:5], 0x50
	s_waitcnt lgkmcnt(0)
	s_mov_b32 s3, s7
	s_cbranch_execz .LBB24_3
	s_branch .LBB24_4
.LBB24_2:
                                        ; implicit-def: $sgpr7
	s_load_dword s16, s[4:5], 0x50
	s_mov_b32 s3, s7
.LBB24_3:
	s_load_dwordx2 s[2:3], s[4:5], 0x5c
	s_mov_b32 s7, s0
	s_waitcnt lgkmcnt(0)
	s_mul_hi_u32 s2, s2, s0
	s_add_i32 s2, s0, s2
	s_lshr_b32 s3, s2, s3
.LBB24_4:
	s_load_dwordx4 s[20:23], s[4:5], 0x68
	s_andn2_b32 vcc_lo, exec_lo, s1
	s_mov_b32 s17, s0
	s_cbranch_vccnz .LBB24_6
; %bb.5:
	s_mul_hi_u32 s1, s37, s0
	s_add_i32 s1, s0, s1
	s_lshr_b32 s1, s1, s38
	s_mul_i32 s1, s1, s39
	s_sub_i32 s17, s0, s1
.LBB24_6:
	s_load_dword s31, s[4:5], 0x78
	s_cmp_lg_u64 s[24:25], 0
	v_cmp_gt_u32_e64 s2, 32, v0
	v_lshl_add_u32 v12, v0, 2, 0
	s_cselect_b32 s1, -1, 0
	s_cmp_eq_u64 s[24:25], 0
	s_cselect_b32 s9, -1, 0
	s_and_saveexec_b32 s10, s2
	s_cbranch_execz .LBB24_9
; %bb.7:
	v_mov_b32_e32 v1, 0
	s_andn2_b32 vcc_lo, exec_lo, s1
	ds_write_b32 v12, v1
	s_cbranch_vccnz .LBB24_9
; %bb.8:
	ds_write_b32 v12, v1 offset:128
.LBB24_9:
	s_or_b32 exec_lo, exec_lo, s10
	v_mov_b32_e32 v11, 0
	v_mov_b32_e32 v13, 0
	s_and_b32 s11, exec_lo, s11
	s_mov_b32 s10, 0
	s_cselect_b32 s11, s8, 0
	s_mov_b32 s8, exec_lo
	s_waitcnt lgkmcnt(0)
	s_barrier
	buffer_gl0_inv
	v_cmpx_gt_i32_e64 s36, v0
	s_cbranch_execz .LBB24_15
; %bb.10:
	s_mul_hi_u32 s23, s23, s11
	s_mul_i32 s3, s3, s20
	s_add_i32 s23, s11, s23
	s_mul_i32 s16, s16, s6
	s_lshr_b32 s20, s23, s31
	s_ashr_i32 s31, s16, 31
	s_mul_hi_i32 s23, s20, s28
	s_mul_i32 s20, s20, s28
	s_ashr_i32 s28, s3, 31
	s_add_u32 s16, s20, s16
	s_addc_u32 s23, s23, s31
	s_mul_i32 s20, s17, s21
	s_add_u32 s16, s16, s3
	s_addc_u32 s17, s23, s28
	s_ashr_i32 s21, s20, 31
	s_and_b32 s3, s1, exec_lo
	s_cselect_b32 s3, s25, 0
	s_cselect_b32 s23, s24, 0
	;; [unrolled: 1-line block ×4, first 2 shown]
	v_lshlrev_b32_e32 v3, 3, v0
	s_lshl_b64 s[24:25], s[24:25], 2
	v_mov_b32_e32 v11, 0
	s_add_u32 s23, s23, s24
	s_addc_u32 s3, s3, s25
	s_mul_hi_i32 s25, s11, s29
	s_mul_i32 s24, s11, s29
	v_add_co_u32 v1, s23, s23, v3
	s_lshl_b64 s[20:21], s[20:21], 2
	s_lshl_b64 s[24:25], s[24:25], 2
	v_add_co_ci_u32_e64 v2, null, s3, 0, s23
	s_add_u32 s3, s14, s20
	s_addc_u32 s14, s15, s21
	s_add_u32 s3, s3, s24
	s_addc_u32 s20, s14, s25
	s_lshl_b64 s[14:15], s[16:17], 2
	v_add_co_u32 v4, s3, s3, v3
	v_add_co_ci_u32_e64 v5, null, s20, 0, s3
	s_add_u32 s3, s12, s14
	s_addc_u32 s12, s13, s15
	v_add_co_u32 v6, s3, s3, v3
	v_add_co_u32 v1, vcc_lo, v1, 4
	v_add_co_ci_u32_e64 v7, null, s12, 0, s3
	v_add_co_ci_u32_e64 v2, null, 0, v2, vcc_lo
	v_add_co_u32 v3, vcc_lo, v4, 4
	v_add_co_ci_u32_e64 v4, null, 0, v5, vcc_lo
	v_add_co_u32 v5, vcc_lo, v6, 4
	v_add_co_ci_u32_e64 v6, null, 0, v7, vcc_lo
	v_mov_b32_e32 v14, v0
	v_mov_b32_e32 v13, 0
	s_inst_prefetch 0x1
	s_branch .LBB24_12
	.p2align	6
.LBB24_11:                              ;   in Loop: Header=BB24_12 Depth=1
	global_load_dwordx2 v[15:16], v[3:4], off offset:-4
	v_add_nc_u32_e32 v14, 0xa0, v14
	v_add_co_u32 v1, vcc_lo, 0x500, v1
	v_add_co_ci_u32_e64 v2, null, 0, v2, vcc_lo
	v_add_co_u32 v3, vcc_lo, 0x500, v3
	v_add_co_ci_u32_e64 v4, null, 0, v4, vcc_lo
	v_cmp_le_i32_e32 vcc_lo, s36, v14
	v_add_co_u32 v5, s3, 0x500, v5
	v_add_co_ci_u32_e64 v6, null, 0, v6, s3
	s_or_b32 s10, vcc_lo, s10
	s_waitcnt vmcnt(0)
	v_fma_f32 v9, v9, v15, v11
	v_fmac_f32_e32 v13, v7, v15
	v_fmac_f32_e32 v9, v10, v16
	;; [unrolled: 1-line block ×3, first 2 shown]
	v_cndmask_b32_e64 v11, v11, v9, s1
	s_andn2_b32 exec_lo, exec_lo, s10
	s_cbranch_execz .LBB24_14
.LBB24_12:                              ; =>This Inner Loop Header: Depth=1
	global_load_dwordx2 v[7:8], v[5:6], off offset:-4
	v_mov_b32_e32 v10, 0
	v_mov_b32_e32 v9, 0
	s_andn2_b32 vcc_lo, exec_lo, s1
	s_cbranch_vccnz .LBB24_11
; %bb.13:                               ;   in Loop: Header=BB24_12 Depth=1
	global_load_dwordx2 v[9:10], v[1:2], off offset:-4
	s_branch .LBB24_11
.LBB24_14:
	s_inst_prefetch 0x2
	s_or_b32 exec_lo, exec_lo, s10
.LBB24_15:
	s_or_b32 exec_lo, exec_lo, s8
	v_mbcnt_lo_u32_b32 v1, -1, 0
	s_load_dword s10, s[4:5], 0x30
	s_mov_b32 s3, -1
	v_xor_b32_e32 v2, 16, v1
	v_xor_b32_e32 v3, 8, v1
	v_cmp_gt_i32_e32 vcc_lo, 32, v2
	v_cndmask_b32_e32 v2, v1, v2, vcc_lo
	v_cmp_gt_i32_e32 vcc_lo, 32, v3
	v_lshlrev_b32_e32 v2, 2, v2
	v_cndmask_b32_e32 v3, v1, v3, vcc_lo
	ds_bpermute_b32 v4, v2, v13
	v_lshlrev_b32_e32 v3, 2, v3
	s_waitcnt lgkmcnt(0)
	v_add_f32_e32 v5, v13, v4
	v_xor_b32_e32 v4, 4, v1
	ds_bpermute_b32 v6, v3, v5
	v_cmp_gt_i32_e32 vcc_lo, 32, v4
	v_cndmask_b32_e32 v4, v1, v4, vcc_lo
	v_lshlrev_b32_e32 v4, 2, v4
	s_waitcnt lgkmcnt(0)
	v_add_f32_e32 v6, v5, v6
	v_xor_b32_e32 v5, 2, v1
	ds_bpermute_b32 v7, v4, v6
	v_cmp_gt_i32_e32 vcc_lo, 32, v5
	v_cndmask_b32_e32 v5, v1, v5, vcc_lo
	;; [unrolled: 7-line block ×3, first 2 shown]
	s_and_b32 vcc_lo, exec_lo, s9
	v_lshlrev_b32_e32 v6, 2, v1
	s_waitcnt lgkmcnt(0)
	v_add_f32_e32 v1, v7, v8
	v_lshrrev_b32_e32 v8, 5, v0
	ds_bpermute_b32 v7, v6, v1
	s_waitcnt lgkmcnt(0)
	v_add_f32_e32 v1, v1, v7
	v_lshl_add_u32 v7, v8, 2, 0
	s_cbranch_vccz .LBB24_17
; %bb.16:
	s_mov_b32 s3, 0
	ds_write_b32 v7, v1
.LBB24_17:
	s_andn2_b32 vcc_lo, exec_lo, s3
	s_cbranch_vccnz .LBB24_19
; %bb.18:
	ds_bpermute_b32 v8, v2, v11
	s_waitcnt lgkmcnt(0)
	v_add_f32_e32 v8, v11, v8
	ds_bpermute_b32 v9, v3, v8
	s_waitcnt lgkmcnt(0)
	v_add_f32_e32 v8, v8, v9
	ds_bpermute_b32 v9, v4, v8
	s_waitcnt lgkmcnt(0)
	v_add_f32_e32 v8, v8, v9
	ds_bpermute_b32 v9, v5, v8
	s_waitcnt lgkmcnt(0)
	v_add_f32_e32 v8, v8, v9
	ds_bpermute_b32 v9, v6, v8
	s_waitcnt lgkmcnt(0)
	v_add_f32_e32 v11, v8, v9
	ds_write2_b32 v7, v1, v11 offset1:32
.LBB24_19:
	s_waitcnt lgkmcnt(0)
	s_barrier
	buffer_gl0_inv
	s_and_saveexec_b32 s3, s2
	s_cbranch_execz .LBB24_23
; %bb.20:
	ds_read_b32 v1, v12
	s_andn2_b32 vcc_lo, exec_lo, s1
	s_waitcnt lgkmcnt(0)
	ds_bpermute_b32 v7, v2, v1
	s_waitcnt lgkmcnt(0)
	v_add_f32_e32 v1, v1, v7
	ds_bpermute_b32 v7, v3, v1
	s_waitcnt lgkmcnt(0)
	v_add_f32_e32 v1, v1, v7
	;; [unrolled: 3-line block ×4, first 2 shown]
	ds_bpermute_b32 v7, v6, v1
	s_cbranch_vccnz .LBB24_22
; %bb.21:
	ds_read_b32 v8, v12 offset:128
	s_waitcnt lgkmcnt(0)
	ds_bpermute_b32 v2, v2, v8
	s_waitcnt lgkmcnt(0)
	v_add_f32_e32 v2, v8, v2
	ds_bpermute_b32 v3, v3, v2
	s_waitcnt lgkmcnt(0)
	v_add_f32_e32 v2, v2, v3
	ds_bpermute_b32 v3, v4, v2
	s_waitcnt lgkmcnt(0)
	v_add_f32_e32 v2, v2, v3
	ds_bpermute_b32 v3, v5, v2
	s_waitcnt lgkmcnt(0)
	v_add_f32_e32 v2, v2, v3
	ds_bpermute_b32 v3, v6, v2
	s_waitcnt lgkmcnt(0)
	v_add_f32_e32 v11, v2, v3
.LBB24_22:
	s_waitcnt lgkmcnt(0)
	v_add_f32_e32 v1, v1, v7
.LBB24_23:
	s_or_b32 exec_lo, exec_lo, s3
	s_barrier
	buffer_gl0_inv
	s_mov_b32 s2, exec_lo
	v_cmpx_eq_u32_e32 0, v0
	s_cbranch_execz .LBB24_47
; %bb.24:
	s_cmp_eq_u64 s[18:19], 0
	s_mul_i32 s8, s7, s22
	s_cselect_b32 s2, -1, 0
	s_ashr_i32 s9, s8, 31
	s_mul_hi_i32 s3, s30, s11
	s_and_b32 vcc_lo, exec_lo, s2
	s_mul_i32 s2, s30, s11
	s_cbranch_vccnz .LBB24_26
; %bb.25:
	s_cselect_b32 s7, 0, s19
	s_cselect_b32 s11, 0, s18
	s_lshl_b64 s[12:13], s[2:3], 2
	s_add_u32 s11, s11, s12
	s_addc_u32 s7, s7, s13
	s_lshl_b64 s[12:13], s[8:9], 2
	s_add_u32 s11, s11, s12
	s_addc_u32 s14, s7, s13
	s_ashr_i32 s7, s6, 31
	s_lshl_b64 s[12:13], s[6:7], 2
	s_add_u32 s12, s11, s12
	s_addc_u32 s13, s14, s13
	s_load_dword s7, s[12:13], 0x0
	s_waitcnt lgkmcnt(0)
	v_add_f32_e32 v1, s7, v1
.LBB24_26:
	s_andn2_b32 vcc_lo, exec_lo, s1
	s_cbranch_vccnz .LBB24_46
; %bb.27:
	s_cmp_lg_u64 s[26:27], 0
	s_cselect_b32 s7, -1, 0
	s_and_b32 s1, s7, s1
	s_andn2_b32 vcc_lo, exec_lo, s1
	s_cbranch_vccnz .LBB24_29
; %bb.28:
	s_and_b32 s1, s7, exec_lo
	s_cselect_b32 s1, s27, 0
	s_cselect_b32 s7, s26, 0
	s_lshl_b64 s[12:13], s[2:3], 2
	s_add_u32 s7, s7, s12
	s_addc_u32 s1, s1, s13
	s_lshl_b64 s[8:9], s[8:9], 2
	s_add_u32 s11, s7, s8
	s_addc_u32 s1, s1, s9
	s_ashr_i32 s7, s6, 31
	s_lshl_b64 s[8:9], s[6:7], 2
	s_add_u32 s8, s11, s8
	s_addc_u32 s9, s1, s9
	s_load_dword s1, s[8:9], 0x0
	s_waitcnt lgkmcnt(0)
	v_add_f32_e32 v11, s1, v11
.LBB24_29:
	s_cmp_lt_i32 s10, 2
	s_cbranch_scc1 .LBB24_34
; %bb.30:
	s_cmp_lt_i32 s10, 3
	s_cbranch_scc1 .LBB24_35
; %bb.31:
	v_mov_b32_e32 v0, v1
	s_cmp_eq_u32 s10, 3
	s_cbranch_scc0 .LBB24_33
; %bb.32:
	v_max_f32_e32 v0, v11, v11
	v_min_f32_e32 v0, 0x40e00000, v0
	v_mul_f32_e32 v2, 0xbfd9db23, v0
	v_mul_f32_e32 v3, 0x3fb8aa3b, v2
	v_cmp_ngt_f32_e32 vcc_lo, 0xc2ce8ed0, v2
	v_fma_f32 v4, 0x3fb8aa3b, v2, -v3
	v_rndne_f32_e32 v5, v3
	v_fmamk_f32 v4, v2, 0x32a5705f, v4
	v_sub_f32_e32 v3, v3, v5
	v_add_f32_e32 v3, v3, v4
	v_cvt_i32_f32_e32 v4, v5
	v_exp_f32_e32 v3, v3
	v_ldexp_f32 v3, v3, v4
	v_cndmask_b32_e32 v3, 0, v3, vcc_lo
	v_cmp_nlt_f32_e32 vcc_lo, 0x42b17218, v2
	v_cndmask_b32_e32 v2, 0x7f800000, v3, vcc_lo
	v_add_f32_e32 v2, 1.0, v2
	v_div_scale_f32 v3, null, v2, v2, v0
	v_div_scale_f32 v6, vcc_lo, v0, v2, v0
	v_rcp_f32_e32 v4, v3
	v_fma_f32 v5, -v3, v4, 1.0
	v_fmac_f32_e32 v4, v5, v4
	v_mul_f32_e32 v5, v6, v4
	v_fma_f32 v7, -v3, v5, v6
	v_fmac_f32_e32 v5, v7, v4
	v_max_f32_e32 v7, v1, v1
	v_fma_f32 v3, -v3, v5, v6
	v_min_f32_e32 v6, 0x40e00000, v7
	v_div_fmas_f32 v3, v3, v4, v5
	v_max_f32_e32 v4, 0xc0e00000, v6
	v_div_fixup_f32 v0, v3, v2, v0
	v_add_f32_e32 v2, 1.0, v4
	v_mul_f32_e32 v0, v2, v0
.LBB24_33:
	s_cbranch_execz .LBB24_36
	s_branch .LBB24_37
.LBB24_34:
                                        ; implicit-def: $vgpr0
	s_branch .LBB24_38
.LBB24_35:
                                        ; implicit-def: $vgpr0
.LBB24_36:
	v_mul_f32_e32 v0, 0xbfb8aa3b, v11
	v_cmp_nlt_f32_e32 vcc_lo, 0x42ce8ed0, v11
	v_rndne_f32_e32 v2, v0
	v_fma_f32 v3, 0xbfb8aa3b, v11, -v0
	v_sub_f32_e32 v0, v0, v2
	v_fmamk_f32 v3, v11, 0xb2a5705f, v3
	v_cvt_i32_f32_e32 v2, v2
	v_add_f32_e32 v0, v0, v3
	v_exp_f32_e32 v0, v0
	v_ldexp_f32 v0, v0, v2
	v_cndmask_b32_e32 v0, 0, v0, vcc_lo
	v_cmp_ngt_f32_e32 vcc_lo, 0xc2b17218, v11
	v_cndmask_b32_e32 v0, 0x7f800000, v0, vcc_lo
	v_add_f32_e32 v0, 1.0, v0
	v_div_scale_f32 v2, null, v0, v0, v11
	v_rcp_f32_e32 v3, v2
	v_fma_f32 v4, -v2, v3, 1.0
	v_fmac_f32_e32 v3, v4, v3
	v_div_scale_f32 v4, vcc_lo, v11, v0, v11
	v_mul_f32_e32 v5, v4, v3
	v_fma_f32 v6, -v2, v5, v4
	v_fmac_f32_e32 v5, v6, v3
	v_fma_f32 v2, -v2, v5, v4
	v_div_fmas_f32 v2, v2, v3, v5
	v_div_fixup_f32 v0, v2, v0, v11
	v_mul_f32_e32 v0, v1, v0
.LBB24_37:
	s_cbranch_execnz .LBB24_45
.LBB24_38:
	s_cmp_eq_u32 s10, 1
	s_cbranch_scc0 .LBB24_44
; %bb.39:
	v_mul_f32_e32 v0, 0x3d372713, v11
	v_mul_f32_e32 v2, 0x3f4c422a, v11
	v_fma_f32 v0, v11, v0, 1.0
	v_mul_f32_e32 v0, v2, v0
                                        ; implicit-def: $vgpr2
	v_cmp_ngt_f32_e64 s1, 0x3f200000, |v0|
	s_and_saveexec_b32 s7, s1
	s_xor_b32 s1, exec_lo, s7
	s_cbranch_execz .LBB24_41
; %bb.40:
	v_add_f32_e64 v2, |v0|, |v0|
	v_mul_f32_e32 v3, 0x3fb8aa3b, v2
	v_cmp_ngt_f32_e32 vcc_lo, 0xc2ce8ed0, v2
	v_rndne_f32_e32 v4, v3
	v_fma_f32 v5, 0x3fb8aa3b, v2, -v3
	v_sub_f32_e32 v3, v3, v4
	v_fmamk_f32 v5, v2, 0x32a5705f, v5
	v_cvt_i32_f32_e32 v4, v4
	v_add_f32_e32 v3, v3, v5
	v_exp_f32_e32 v3, v3
	v_ldexp_f32 v3, v3, v4
	v_cndmask_b32_e32 v3, 0, v3, vcc_lo
	v_cmp_nlt_f32_e32 vcc_lo, 0x42b17218, v2
	v_cndmask_b32_e32 v2, 0x7f800000, v3, vcc_lo
	v_add_f32_e32 v2, 1.0, v2
	v_rcp_f32_e32 v2, v2
	v_fma_f32 v2, v2, -2.0, 1.0
.LBB24_41:
	s_andn2_saveexec_b32 s1, s1
	s_cbranch_execz .LBB24_43
; %bb.42:
	v_mul_f32_e32 v2, v0, v0
	s_mov_b32 s7, 0xbbbac73d
	v_fmaak_f32 v3, s7, v2, 0x3ca908c9
	v_fmaak_f32 v3, v2, v3, 0xbd5c1c4e
	;; [unrolled: 1-line block ×4, first 2 shown]
	v_mul_f32_e64 v3, |v0|, v3
	v_fma_f32 v2, v2, v3, |v0|
.LBB24_43:
	s_or_b32 exec_lo, exec_lo, s1
	v_bfi_b32 v0, 0x7fffffff, v2, v0
	v_mul_f32_e32 v2, 0.5, v11
	v_add_f32_e32 v0, 1.0, v0
	v_mul_f32_e32 v0, v2, v0
	v_mul_f32_e32 v1, v1, v0
.LBB24_44:
	v_mov_b32_e32 v0, v1
.LBB24_45:
	v_mov_b32_e32 v1, v0
.LBB24_46:
	s_load_dwordx2 s[4:5], s[4:5], 0x38
	s_mul_i32 s0, s22, s0
	s_lshl_b64 s[2:3], s[2:3], 2
	s_ashr_i32 s1, s0, 31
	v_mov_b32_e32 v0, 0
	s_waitcnt lgkmcnt(0)
	s_add_u32 s2, s4, s2
	s_addc_u32 s3, s5, s3
	s_lshl_b64 s[0:1], s[0:1], 2
	s_add_u32 s2, s2, s0
	s_addc_u32 s3, s3, s1
	s_ashr_i32 s7, s6, 31
	s_lshl_b64 s[0:1], s[6:7], 2
	s_add_u32 s0, s2, s0
	s_addc_u32 s1, s3, s1
	global_store_dword v0, v1, s[0:1]
.LBB24_47:
	s_endpgm
	.section	.rodata,"a",@progbits
	.p2align	6, 0x0
	.amdhsa_kernel _ZL13mul_mat_vec_fIffLi1ELi160ELb1ELb0EEvPKT_PKfPKi31ggml_cuda_mm_fusion_args_devicePfi15HIP_vector_typeIjLj3EEiiiSA_iiiSA_iiii
		.amdhsa_group_segment_fixed_size 0
		.amdhsa_private_segment_fixed_size 0
		.amdhsa_kernarg_size 144
		.amdhsa_user_sgpr_count 6
		.amdhsa_user_sgpr_private_segment_buffer 1
		.amdhsa_user_sgpr_dispatch_ptr 0
		.amdhsa_user_sgpr_queue_ptr 0
		.amdhsa_user_sgpr_kernarg_segment_ptr 1
		.amdhsa_user_sgpr_dispatch_id 0
		.amdhsa_user_sgpr_flat_scratch_init 0
		.amdhsa_user_sgpr_private_segment_size 0
		.amdhsa_wavefront_size32 1
		.amdhsa_uses_dynamic_stack 0
		.amdhsa_system_sgpr_private_segment_wavefront_offset 0
		.amdhsa_system_sgpr_workgroup_id_x 1
		.amdhsa_system_sgpr_workgroup_id_y 1
		.amdhsa_system_sgpr_workgroup_id_z 1
		.amdhsa_system_sgpr_workgroup_info 0
		.amdhsa_system_vgpr_workitem_id 0
		.amdhsa_next_free_vgpr 17
		.amdhsa_next_free_sgpr 40
		.amdhsa_reserve_vcc 1
		.amdhsa_reserve_flat_scratch 0
		.amdhsa_float_round_mode_32 0
		.amdhsa_float_round_mode_16_64 0
		.amdhsa_float_denorm_mode_32 3
		.amdhsa_float_denorm_mode_16_64 3
		.amdhsa_dx10_clamp 1
		.amdhsa_ieee_mode 1
		.amdhsa_fp16_overflow 0
		.amdhsa_workgroup_processor_mode 1
		.amdhsa_memory_ordered 1
		.amdhsa_forward_progress 1
		.amdhsa_shared_vgpr_count 0
		.amdhsa_exception_fp_ieee_invalid_op 0
		.amdhsa_exception_fp_denorm_src 0
		.amdhsa_exception_fp_ieee_div_zero 0
		.amdhsa_exception_fp_ieee_overflow 0
		.amdhsa_exception_fp_ieee_underflow 0
		.amdhsa_exception_fp_ieee_inexact 0
		.amdhsa_exception_int_div_zero 0
	.end_amdhsa_kernel
	.section	.text._ZL13mul_mat_vec_fIffLi1ELi160ELb1ELb0EEvPKT_PKfPKi31ggml_cuda_mm_fusion_args_devicePfi15HIP_vector_typeIjLj3EEiiiSA_iiiSA_iiii,"axG",@progbits,_ZL13mul_mat_vec_fIffLi1ELi160ELb1ELb0EEvPKT_PKfPKi31ggml_cuda_mm_fusion_args_devicePfi15HIP_vector_typeIjLj3EEiiiSA_iiiSA_iiii,comdat
.Lfunc_end24:
	.size	_ZL13mul_mat_vec_fIffLi1ELi160ELb1ELb0EEvPKT_PKfPKi31ggml_cuda_mm_fusion_args_devicePfi15HIP_vector_typeIjLj3EEiiiSA_iiiSA_iiii, .Lfunc_end24-_ZL13mul_mat_vec_fIffLi1ELi160ELb1ELb0EEvPKT_PKfPKi31ggml_cuda_mm_fusion_args_devicePfi15HIP_vector_typeIjLj3EEiiiSA_iiiSA_iiii
                                        ; -- End function
	.set _ZL13mul_mat_vec_fIffLi1ELi160ELb1ELb0EEvPKT_PKfPKi31ggml_cuda_mm_fusion_args_devicePfi15HIP_vector_typeIjLj3EEiiiSA_iiiSA_iiii.num_vgpr, 17
	.set _ZL13mul_mat_vec_fIffLi1ELi160ELb1ELb0EEvPKT_PKfPKi31ggml_cuda_mm_fusion_args_devicePfi15HIP_vector_typeIjLj3EEiiiSA_iiiSA_iiii.num_agpr, 0
	.set _ZL13mul_mat_vec_fIffLi1ELi160ELb1ELb0EEvPKT_PKfPKi31ggml_cuda_mm_fusion_args_devicePfi15HIP_vector_typeIjLj3EEiiiSA_iiiSA_iiii.numbered_sgpr, 40
	.set _ZL13mul_mat_vec_fIffLi1ELi160ELb1ELb0EEvPKT_PKfPKi31ggml_cuda_mm_fusion_args_devicePfi15HIP_vector_typeIjLj3EEiiiSA_iiiSA_iiii.num_named_barrier, 0
	.set _ZL13mul_mat_vec_fIffLi1ELi160ELb1ELb0EEvPKT_PKfPKi31ggml_cuda_mm_fusion_args_devicePfi15HIP_vector_typeIjLj3EEiiiSA_iiiSA_iiii.private_seg_size, 0
	.set _ZL13mul_mat_vec_fIffLi1ELi160ELb1ELb0EEvPKT_PKfPKi31ggml_cuda_mm_fusion_args_devicePfi15HIP_vector_typeIjLj3EEiiiSA_iiiSA_iiii.uses_vcc, 1
	.set _ZL13mul_mat_vec_fIffLi1ELi160ELb1ELb0EEvPKT_PKfPKi31ggml_cuda_mm_fusion_args_devicePfi15HIP_vector_typeIjLj3EEiiiSA_iiiSA_iiii.uses_flat_scratch, 0
	.set _ZL13mul_mat_vec_fIffLi1ELi160ELb1ELb0EEvPKT_PKfPKi31ggml_cuda_mm_fusion_args_devicePfi15HIP_vector_typeIjLj3EEiiiSA_iiiSA_iiii.has_dyn_sized_stack, 0
	.set _ZL13mul_mat_vec_fIffLi1ELi160ELb1ELb0EEvPKT_PKfPKi31ggml_cuda_mm_fusion_args_devicePfi15HIP_vector_typeIjLj3EEiiiSA_iiiSA_iiii.has_recursion, 0
	.set _ZL13mul_mat_vec_fIffLi1ELi160ELb1ELb0EEvPKT_PKfPKi31ggml_cuda_mm_fusion_args_devicePfi15HIP_vector_typeIjLj3EEiiiSA_iiiSA_iiii.has_indirect_call, 0
	.section	.AMDGPU.csdata,"",@progbits
; Kernel info:
; codeLenInByte = 2324
; TotalNumSgprs: 42
; NumVgprs: 17
; ScratchSize: 0
; MemoryBound: 0
; FloatMode: 240
; IeeeMode: 1
; LDSByteSize: 0 bytes/workgroup (compile time only)
; SGPRBlocks: 0
; VGPRBlocks: 2
; NumSGPRsForWavesPerEU: 42
; NumVGPRsForWavesPerEU: 17
; Occupancy: 16
; WaveLimiterHint : 1
; COMPUTE_PGM_RSRC2:SCRATCH_EN: 0
; COMPUTE_PGM_RSRC2:USER_SGPR: 6
; COMPUTE_PGM_RSRC2:TRAP_HANDLER: 0
; COMPUTE_PGM_RSRC2:TGID_X_EN: 1
; COMPUTE_PGM_RSRC2:TGID_Y_EN: 1
; COMPUTE_PGM_RSRC2:TGID_Z_EN: 1
; COMPUTE_PGM_RSRC2:TIDIG_COMP_CNT: 0
	.section	.text._ZL13mul_mat_vec_fIffLi1ELi160ELb0ELb0EEvPKT_PKfPKi31ggml_cuda_mm_fusion_args_devicePfi15HIP_vector_typeIjLj3EEiiiSA_iiiSA_iiii,"axG",@progbits,_ZL13mul_mat_vec_fIffLi1ELi160ELb0ELb0EEvPKT_PKfPKi31ggml_cuda_mm_fusion_args_devicePfi15HIP_vector_typeIjLj3EEiiiSA_iiiSA_iiii,comdat
	.globl	_ZL13mul_mat_vec_fIffLi1ELi160ELb0ELb0EEvPKT_PKfPKi31ggml_cuda_mm_fusion_args_devicePfi15HIP_vector_typeIjLj3EEiiiSA_iiiSA_iiii ; -- Begin function _ZL13mul_mat_vec_fIffLi1ELi160ELb0ELb0EEvPKT_PKfPKi31ggml_cuda_mm_fusion_args_devicePfi15HIP_vector_typeIjLj3EEiiiSA_iiiSA_iiii
	.p2align	8
	.type	_ZL13mul_mat_vec_fIffLi1ELi160ELb0ELb0EEvPKT_PKfPKi31ggml_cuda_mm_fusion_args_devicePfi15HIP_vector_typeIjLj3EEiiiSA_iiiSA_iiii,@function
_ZL13mul_mat_vec_fIffLi1ELi160ELb0ELb0EEvPKT_PKfPKi31ggml_cuda_mm_fusion_args_devicePfi15HIP_vector_typeIjLj3EEiiiSA_iiiSA_iiii: ; @_ZL13mul_mat_vec_fIffLi1ELi160ELb0ELb0EEvPKT_PKfPKi31ggml_cuda_mm_fusion_args_devicePfi15HIP_vector_typeIjLj3EEiiiSA_iiiSA_iiii
; %bb.0:
	s_clause 0x2
	s_load_dwordx2 s[2:3], s[4:5], 0x10
	s_load_dwordx4 s[20:23], s[4:5], 0x40
	s_load_dwordx4 s[12:15], s[4:5], 0x80
	s_waitcnt lgkmcnt(0)
	s_cmp_eq_u64 s[2:3], 0
	s_cselect_b32 s10, -1, 0
	s_cmp_lg_u64 s[2:3], 0
	s_cselect_b32 s9, -1, 0
	s_and_b32 vcc_lo, exec_lo, s10
	s_cbranch_vccnz .LBB25_2
; %bb.1:
	s_mul_i32 s0, s15, s8
	s_mov_b32 s1, 0
	s_add_i32 s0, s0, s7
	s_lshl_b64 s[16:17], s[0:1], 2
	s_add_u32 s2, s2, s16
	s_addc_u32 s3, s3, s17
	s_load_dword s15, s[2:3], 0x0
	s_load_dword s24, s[4:5], 0x50
	s_cbranch_execz .LBB25_3
	s_branch .LBB25_4
.LBB25_2:
                                        ; implicit-def: $sgpr15
	s_load_dword s24, s[4:5], 0x50
.LBB25_3:
	s_load_dwordx2 s[0:1], s[4:5], 0x5c
	s_waitcnt lgkmcnt(0)
	s_mul_hi_u32 s0, s0, s7
	s_add_i32 s0, s7, s0
	s_lshr_b32 s15, s0, s1
.LBB25_4:
	s_load_dwordx4 s[16:19], s[4:5], 0x68
	s_andn2_b32 vcc_lo, exec_lo, s9
	s_mov_b32 s25, s7
	s_cbranch_vccnz .LBB25_6
; %bb.5:
	s_mul_hi_u32 s0, s21, s7
	s_add_i32 s0, s7, s0
	s_lshr_b32 s0, s0, s22
	s_mul_i32 s0, s0, s23
	s_sub_i32 s25, s7, s0
.LBB25_6:
	s_load_dword s11, s[4:5], 0x78
	v_cmp_gt_u32_e32 vcc_lo, 32, v0
	v_lshl_add_u32 v5, v0, 2, 0
	s_and_saveexec_b32 s0, vcc_lo
; %bb.7:
	v_mov_b32_e32 v1, 0
	ds_write_b32 v5, v1
; %bb.8:
	s_or_b32 exec_lo, exec_lo, s0
	v_mov_b32_e32 v6, 0
	s_and_b32 s0, exec_lo, s10
	s_mov_b32 s9, 0
	s_cselect_b32 s8, s8, 0
	s_mov_b32 s10, exec_lo
	s_waitcnt lgkmcnt(0)
	s_barrier
	buffer_gl0_inv
	v_cmpx_gt_i32_e64 s20, v0
	s_cbranch_execz .LBB25_12
; %bb.9:
	s_load_dwordx4 s[0:3], s[4:5], 0x0
	s_mul_hi_u32 s19, s19, s8
	s_mul_i32 s16, s15, s16
	s_add_i32 s15, s8, s19
	s_mul_i32 s22, s24, s6
	s_lshr_b32 s11, s15, s11
	s_mul_i32 s24, s25, s17
	s_ashr_i32 s17, s16, 31
	s_ashr_i32 s23, s22, 31
	s_mul_hi_i32 s29, s11, s12
	s_mul_i32 s28, s11, s12
	s_lshl_b64 s[16:17], s[16:17], 2
	s_ashr_i32 s25, s24, 31
	s_lshl_b64 s[22:23], s[22:23], 2
	s_lshl_b64 s[28:29], s[28:29], 2
	v_lshlrev_b32_e32 v1, 3, v0
	s_mul_hi_i32 s27, s8, s13
	s_mul_i32 s26, s8, s13
	v_mov_b32_e32 v6, 0
	s_waitcnt lgkmcnt(0)
	s_add_u32 s0, s0, s16
	s_addc_u32 s1, s1, s17
	s_add_u32 s0, s0, s22
	s_addc_u32 s1, s1, s23
	;; [unrolled: 2-line block ×3, first 2 shown]
	v_add_co_u32 v2, s0, s0, v1
	v_add_co_ci_u32_e64 v3, null, s1, 0, s0
	s_lshl_b64 s[0:1], s[24:25], 2
	s_lshl_b64 s[12:13], s[26:27], 2
	s_add_u32 s0, s2, s0
	s_addc_u32 s1, s3, s1
	s_add_u32 s0, s0, s12
	s_addc_u32 s1, s1, s13
	v_add_co_u32 v4, s0, s0, v1
	v_add_co_ci_u32_e64 v7, null, s1, 0, s0
	v_add_co_u32 v1, s0, v2, 4
	v_add_co_ci_u32_e64 v2, null, 0, v3, s0
	;; [unrolled: 2-line block ×3, first 2 shown]
	v_mov_b32_e32 v7, v0
	.p2align	6
.LBB25_10:                              ; =>This Inner Loop Header: Depth=1
	global_load_dwordx2 v[8:9], v[1:2], off offset:-4
	global_load_dwordx2 v[10:11], v[3:4], off offset:-4
	v_add_nc_u32_e32 v7, 0xa0, v7
	v_add_co_u32 v1, s0, 0x500, v1
	v_add_co_ci_u32_e64 v2, null, 0, v2, s0
	v_add_co_u32 v3, s0, 0x500, v3
	v_cmp_le_i32_e64 s1, s20, v7
	v_add_co_ci_u32_e64 v4, null, 0, v4, s0
	s_or_b32 s9, s1, s9
	s_waitcnt vmcnt(0)
	v_fmac_f32_e32 v6, v8, v10
	v_fmac_f32_e32 v6, v9, v11
	s_andn2_b32 exec_lo, exec_lo, s9
	s_cbranch_execnz .LBB25_10
; %bb.11:
	s_or_b32 exec_lo, exec_lo, s9
.LBB25_12:
	s_or_b32 exec_lo, exec_lo, s10
	v_mbcnt_lo_u32_b32 v2, -1, 0
	v_xor_b32_e32 v1, 16, v2
	v_xor_b32_e32 v3, 8, v2
	v_cmp_gt_i32_e64 s0, 32, v1
	v_cndmask_b32_e64 v1, v2, v1, s0
	v_cmp_gt_i32_e64 s0, 32, v3
	v_lshlrev_b32_e32 v1, 2, v1
	v_cndmask_b32_e64 v3, v2, v3, s0
	ds_bpermute_b32 v4, v1, v6
	v_lshlrev_b32_e32 v3, 2, v3
	s_waitcnt lgkmcnt(0)
	v_add_f32_e32 v6, v6, v4
	v_xor_b32_e32 v4, 4, v2
	ds_bpermute_b32 v7, v3, v6
	v_cmp_gt_i32_e64 s0, 32, v4
	v_cndmask_b32_e64 v4, v2, v4, s0
	v_lshlrev_b32_e32 v4, 2, v4
	s_waitcnt lgkmcnt(0)
	v_add_f32_e32 v7, v6, v7
	v_xor_b32_e32 v6, 2, v2
	ds_bpermute_b32 v8, v4, v7
	v_cmp_gt_i32_e64 s0, 32, v6
	v_cndmask_b32_e64 v6, v2, v6, s0
	;; [unrolled: 7-line block ×3, first 2 shown]
	v_lshlrev_b32_e32 v7, 2, v2
	s_waitcnt lgkmcnt(0)
	v_add_f32_e32 v2, v8, v9
	v_lshrrev_b32_e32 v9, 3, v0
	ds_bpermute_b32 v8, v7, v2
	v_and_b32_e32 v9, 0x7c, v9
	v_add_nc_u32_e32 v9, 0, v9
	s_waitcnt lgkmcnt(0)
	v_add_f32_e32 v2, v2, v8
	ds_write_b32 v9, v2
	s_waitcnt lgkmcnt(0)
	s_barrier
	buffer_gl0_inv
	s_and_saveexec_b32 s0, vcc_lo
	s_cbranch_execz .LBB25_14
; %bb.13:
	ds_read_b32 v2, v5
	s_waitcnt lgkmcnt(0)
	ds_bpermute_b32 v1, v1, v2
	s_waitcnt lgkmcnt(0)
	v_add_f32_e32 v1, v2, v1
	ds_bpermute_b32 v2, v3, v1
	s_waitcnt lgkmcnt(0)
	v_add_f32_e32 v1, v1, v2
	;; [unrolled: 3-line block ×5, first 2 shown]
.LBB25_14:
	s_or_b32 exec_lo, exec_lo, s0
	s_barrier
	buffer_gl0_inv
	s_mov_b32 s0, exec_lo
	v_cmpx_eq_u32_e32 0, v0
	s_cbranch_execz .LBB25_16
; %bb.15:
	s_load_dwordx2 s[0:1], s[4:5], 0x38
	s_mul_hi_i32 s3, s14, s8
	s_mul_i32 s2, s14, s8
	s_mul_i32 s4, s18, s7
	s_lshl_b64 s[2:3], s[2:3], 2
	s_ashr_i32 s5, s4, 31
	v_mov_b32_e32 v0, 0
	s_waitcnt lgkmcnt(0)
	s_add_u32 s2, s0, s2
	s_addc_u32 s3, s1, s3
	s_lshl_b64 s[0:1], s[4:5], 2
	s_add_u32 s2, s2, s0
	s_addc_u32 s3, s3, s1
	s_ashr_i32 s7, s6, 31
	s_lshl_b64 s[0:1], s[6:7], 2
	s_add_u32 s0, s2, s0
	s_addc_u32 s1, s3, s1
	global_store_dword v0, v2, s[0:1]
.LBB25_16:
	s_endpgm
	.section	.rodata,"a",@progbits
	.p2align	6, 0x0
	.amdhsa_kernel _ZL13mul_mat_vec_fIffLi1ELi160ELb0ELb0EEvPKT_PKfPKi31ggml_cuda_mm_fusion_args_devicePfi15HIP_vector_typeIjLj3EEiiiSA_iiiSA_iiii
		.amdhsa_group_segment_fixed_size 0
		.amdhsa_private_segment_fixed_size 0
		.amdhsa_kernarg_size 144
		.amdhsa_user_sgpr_count 6
		.amdhsa_user_sgpr_private_segment_buffer 1
		.amdhsa_user_sgpr_dispatch_ptr 0
		.amdhsa_user_sgpr_queue_ptr 0
		.amdhsa_user_sgpr_kernarg_segment_ptr 1
		.amdhsa_user_sgpr_dispatch_id 0
		.amdhsa_user_sgpr_flat_scratch_init 0
		.amdhsa_user_sgpr_private_segment_size 0
		.amdhsa_wavefront_size32 1
		.amdhsa_uses_dynamic_stack 0
		.amdhsa_system_sgpr_private_segment_wavefront_offset 0
		.amdhsa_system_sgpr_workgroup_id_x 1
		.amdhsa_system_sgpr_workgroup_id_y 1
		.amdhsa_system_sgpr_workgroup_id_z 1
		.amdhsa_system_sgpr_workgroup_info 0
		.amdhsa_system_vgpr_workitem_id 0
		.amdhsa_next_free_vgpr 12
		.amdhsa_next_free_sgpr 30
		.amdhsa_reserve_vcc 1
		.amdhsa_reserve_flat_scratch 0
		.amdhsa_float_round_mode_32 0
		.amdhsa_float_round_mode_16_64 0
		.amdhsa_float_denorm_mode_32 3
		.amdhsa_float_denorm_mode_16_64 3
		.amdhsa_dx10_clamp 1
		.amdhsa_ieee_mode 1
		.amdhsa_fp16_overflow 0
		.amdhsa_workgroup_processor_mode 1
		.amdhsa_memory_ordered 1
		.amdhsa_forward_progress 1
		.amdhsa_shared_vgpr_count 0
		.amdhsa_exception_fp_ieee_invalid_op 0
		.amdhsa_exception_fp_denorm_src 0
		.amdhsa_exception_fp_ieee_div_zero 0
		.amdhsa_exception_fp_ieee_overflow 0
		.amdhsa_exception_fp_ieee_underflow 0
		.amdhsa_exception_fp_ieee_inexact 0
		.amdhsa_exception_int_div_zero 0
	.end_amdhsa_kernel
	.section	.text._ZL13mul_mat_vec_fIffLi1ELi160ELb0ELb0EEvPKT_PKfPKi31ggml_cuda_mm_fusion_args_devicePfi15HIP_vector_typeIjLj3EEiiiSA_iiiSA_iiii,"axG",@progbits,_ZL13mul_mat_vec_fIffLi1ELi160ELb0ELb0EEvPKT_PKfPKi31ggml_cuda_mm_fusion_args_devicePfi15HIP_vector_typeIjLj3EEiiiSA_iiiSA_iiii,comdat
.Lfunc_end25:
	.size	_ZL13mul_mat_vec_fIffLi1ELi160ELb0ELb0EEvPKT_PKfPKi31ggml_cuda_mm_fusion_args_devicePfi15HIP_vector_typeIjLj3EEiiiSA_iiiSA_iiii, .Lfunc_end25-_ZL13mul_mat_vec_fIffLi1ELi160ELb0ELb0EEvPKT_PKfPKi31ggml_cuda_mm_fusion_args_devicePfi15HIP_vector_typeIjLj3EEiiiSA_iiiSA_iiii
                                        ; -- End function
	.set _ZL13mul_mat_vec_fIffLi1ELi160ELb0ELb0EEvPKT_PKfPKi31ggml_cuda_mm_fusion_args_devicePfi15HIP_vector_typeIjLj3EEiiiSA_iiiSA_iiii.num_vgpr, 12
	.set _ZL13mul_mat_vec_fIffLi1ELi160ELb0ELb0EEvPKT_PKfPKi31ggml_cuda_mm_fusion_args_devicePfi15HIP_vector_typeIjLj3EEiiiSA_iiiSA_iiii.num_agpr, 0
	.set _ZL13mul_mat_vec_fIffLi1ELi160ELb0ELb0EEvPKT_PKfPKi31ggml_cuda_mm_fusion_args_devicePfi15HIP_vector_typeIjLj3EEiiiSA_iiiSA_iiii.numbered_sgpr, 30
	.set _ZL13mul_mat_vec_fIffLi1ELi160ELb0ELb0EEvPKT_PKfPKi31ggml_cuda_mm_fusion_args_devicePfi15HIP_vector_typeIjLj3EEiiiSA_iiiSA_iiii.num_named_barrier, 0
	.set _ZL13mul_mat_vec_fIffLi1ELi160ELb0ELb0EEvPKT_PKfPKi31ggml_cuda_mm_fusion_args_devicePfi15HIP_vector_typeIjLj3EEiiiSA_iiiSA_iiii.private_seg_size, 0
	.set _ZL13mul_mat_vec_fIffLi1ELi160ELb0ELb0EEvPKT_PKfPKi31ggml_cuda_mm_fusion_args_devicePfi15HIP_vector_typeIjLj3EEiiiSA_iiiSA_iiii.uses_vcc, 1
	.set _ZL13mul_mat_vec_fIffLi1ELi160ELb0ELb0EEvPKT_PKfPKi31ggml_cuda_mm_fusion_args_devicePfi15HIP_vector_typeIjLj3EEiiiSA_iiiSA_iiii.uses_flat_scratch, 0
	.set _ZL13mul_mat_vec_fIffLi1ELi160ELb0ELb0EEvPKT_PKfPKi31ggml_cuda_mm_fusion_args_devicePfi15HIP_vector_typeIjLj3EEiiiSA_iiiSA_iiii.has_dyn_sized_stack, 0
	.set _ZL13mul_mat_vec_fIffLi1ELi160ELb0ELb0EEvPKT_PKfPKi31ggml_cuda_mm_fusion_args_devicePfi15HIP_vector_typeIjLj3EEiiiSA_iiiSA_iiii.has_recursion, 0
	.set _ZL13mul_mat_vec_fIffLi1ELi160ELb0ELb0EEvPKT_PKfPKi31ggml_cuda_mm_fusion_args_devicePfi15HIP_vector_typeIjLj3EEiiiSA_iiiSA_iiii.has_indirect_call, 0
	.section	.AMDGPU.csdata,"",@progbits
; Kernel info:
; codeLenInByte = 1076
; TotalNumSgprs: 32
; NumVgprs: 12
; ScratchSize: 0
; MemoryBound: 0
; FloatMode: 240
; IeeeMode: 1
; LDSByteSize: 0 bytes/workgroup (compile time only)
; SGPRBlocks: 0
; VGPRBlocks: 1
; NumSGPRsForWavesPerEU: 32
; NumVGPRsForWavesPerEU: 12
; Occupancy: 16
; WaveLimiterHint : 0
; COMPUTE_PGM_RSRC2:SCRATCH_EN: 0
; COMPUTE_PGM_RSRC2:USER_SGPR: 6
; COMPUTE_PGM_RSRC2:TRAP_HANDLER: 0
; COMPUTE_PGM_RSRC2:TGID_X_EN: 1
; COMPUTE_PGM_RSRC2:TGID_Y_EN: 1
; COMPUTE_PGM_RSRC2:TGID_Z_EN: 1
; COMPUTE_PGM_RSRC2:TIDIG_COMP_CNT: 0
	.section	.text._ZL13mul_mat_vec_fIffLi1ELi192ELb1ELb0EEvPKT_PKfPKi31ggml_cuda_mm_fusion_args_devicePfi15HIP_vector_typeIjLj3EEiiiSA_iiiSA_iiii,"axG",@progbits,_ZL13mul_mat_vec_fIffLi1ELi192ELb1ELb0EEvPKT_PKfPKi31ggml_cuda_mm_fusion_args_devicePfi15HIP_vector_typeIjLj3EEiiiSA_iiiSA_iiii,comdat
	.globl	_ZL13mul_mat_vec_fIffLi1ELi192ELb1ELb0EEvPKT_PKfPKi31ggml_cuda_mm_fusion_args_devicePfi15HIP_vector_typeIjLj3EEiiiSA_iiiSA_iiii ; -- Begin function _ZL13mul_mat_vec_fIffLi1ELi192ELb1ELb0EEvPKT_PKfPKi31ggml_cuda_mm_fusion_args_devicePfi15HIP_vector_typeIjLj3EEiiiSA_iiiSA_iiii
	.p2align	8
	.type	_ZL13mul_mat_vec_fIffLi1ELi192ELb1ELb0EEvPKT_PKfPKi31ggml_cuda_mm_fusion_args_devicePfi15HIP_vector_typeIjLj3EEiiiSA_iiiSA_iiii,@function
_ZL13mul_mat_vec_fIffLi1ELi192ELb1ELb0EEvPKT_PKfPKi31ggml_cuda_mm_fusion_args_devicePfi15HIP_vector_typeIjLj3EEiiiSA_iiiSA_iiii: ; @_ZL13mul_mat_vec_fIffLi1ELi192ELb1ELb0EEvPKT_PKfPKi31ggml_cuda_mm_fusion_args_devicePfi15HIP_vector_typeIjLj3EEiiiSA_iiiSA_iiii
; %bb.0:
	s_clause 0x3
	s_load_dwordx8 s[12:19], s[4:5], 0x0
	s_load_dwordx4 s[24:27], s[4:5], 0x20
	s_load_dwordx4 s[36:39], s[4:5], 0x40
	s_load_dwordx4 s[28:31], s[4:5], 0x80
	s_mov_b32 s0, s7
	s_waitcnt lgkmcnt(0)
	s_cmp_eq_u64 s[16:17], 0
	s_cselect_b32 s11, -1, 0
	s_cmp_lg_u64 s[16:17], 0
	s_cselect_b32 s1, -1, 0
	s_and_b32 vcc_lo, exec_lo, s11
	s_cbranch_vccnz .LBB26_2
; %bb.1:
	s_mul_i32 s2, s31, s8
	s_mov_b32 s3, 0
	s_add_i32 s2, s2, s0
	s_lshl_b64 s[20:21], s[2:3], 2
	s_add_u32 s16, s16, s20
	s_addc_u32 s17, s17, s21
	s_load_dword s7, s[16:17], 0x0
	s_load_dword s16, s[4:5], 0x50
	s_waitcnt lgkmcnt(0)
	s_mov_b32 s3, s7
	s_cbranch_execz .LBB26_3
	s_branch .LBB26_4
.LBB26_2:
                                        ; implicit-def: $sgpr7
	s_load_dword s16, s[4:5], 0x50
	s_mov_b32 s3, s7
.LBB26_3:
	s_load_dwordx2 s[2:3], s[4:5], 0x5c
	s_mov_b32 s7, s0
	s_waitcnt lgkmcnt(0)
	s_mul_hi_u32 s2, s2, s0
	s_add_i32 s2, s0, s2
	s_lshr_b32 s3, s2, s3
.LBB26_4:
	s_load_dwordx4 s[20:23], s[4:5], 0x68
	s_andn2_b32 vcc_lo, exec_lo, s1
	s_mov_b32 s17, s0
	s_cbranch_vccnz .LBB26_6
; %bb.5:
	s_mul_hi_u32 s1, s37, s0
	s_add_i32 s1, s0, s1
	s_lshr_b32 s1, s1, s38
	s_mul_i32 s1, s1, s39
	s_sub_i32 s17, s0, s1
.LBB26_6:
	s_load_dword s31, s[4:5], 0x78
	s_cmp_lg_u64 s[24:25], 0
	v_cmp_gt_u32_e64 s2, 32, v0
	v_lshl_add_u32 v12, v0, 2, 0
	s_cselect_b32 s1, -1, 0
	s_cmp_eq_u64 s[24:25], 0
	s_cselect_b32 s9, -1, 0
	s_and_saveexec_b32 s10, s2
	s_cbranch_execz .LBB26_9
; %bb.7:
	v_mov_b32_e32 v1, 0
	s_andn2_b32 vcc_lo, exec_lo, s1
	ds_write_b32 v12, v1
	s_cbranch_vccnz .LBB26_9
; %bb.8:
	ds_write_b32 v12, v1 offset:128
.LBB26_9:
	s_or_b32 exec_lo, exec_lo, s10
	v_mov_b32_e32 v11, 0
	v_mov_b32_e32 v13, 0
	s_and_b32 s11, exec_lo, s11
	s_mov_b32 s10, 0
	s_cselect_b32 s11, s8, 0
	s_mov_b32 s8, exec_lo
	s_waitcnt lgkmcnt(0)
	s_barrier
	buffer_gl0_inv
	v_cmpx_gt_i32_e64 s36, v0
	s_cbranch_execz .LBB26_15
; %bb.10:
	s_mul_hi_u32 s23, s23, s11
	s_mul_i32 s3, s3, s20
	s_add_i32 s23, s11, s23
	s_mul_i32 s16, s16, s6
	s_lshr_b32 s20, s23, s31
	s_ashr_i32 s31, s16, 31
	s_mul_hi_i32 s23, s20, s28
	s_mul_i32 s20, s20, s28
	s_ashr_i32 s28, s3, 31
	s_add_u32 s16, s20, s16
	s_addc_u32 s23, s23, s31
	s_mul_i32 s20, s17, s21
	s_add_u32 s16, s16, s3
	s_addc_u32 s17, s23, s28
	s_ashr_i32 s21, s20, 31
	s_and_b32 s3, s1, exec_lo
	s_cselect_b32 s3, s25, 0
	s_cselect_b32 s23, s24, 0
	s_cselect_b32 s25, s17, 0
	s_cselect_b32 s24, s16, 0
	v_lshlrev_b32_e32 v3, 3, v0
	s_lshl_b64 s[24:25], s[24:25], 2
	v_mov_b32_e32 v11, 0
	s_add_u32 s23, s23, s24
	s_addc_u32 s3, s3, s25
	s_mul_hi_i32 s25, s11, s29
	s_mul_i32 s24, s11, s29
	v_add_co_u32 v1, s23, s23, v3
	s_lshl_b64 s[20:21], s[20:21], 2
	s_lshl_b64 s[24:25], s[24:25], 2
	v_add_co_ci_u32_e64 v2, null, s3, 0, s23
	s_add_u32 s3, s14, s20
	s_addc_u32 s14, s15, s21
	s_add_u32 s3, s3, s24
	s_addc_u32 s20, s14, s25
	s_lshl_b64 s[14:15], s[16:17], 2
	v_add_co_u32 v4, s3, s3, v3
	v_add_co_ci_u32_e64 v5, null, s20, 0, s3
	s_add_u32 s3, s12, s14
	s_addc_u32 s12, s13, s15
	v_add_co_u32 v6, s3, s3, v3
	v_add_co_u32 v1, vcc_lo, v1, 4
	v_add_co_ci_u32_e64 v7, null, s12, 0, s3
	v_add_co_ci_u32_e64 v2, null, 0, v2, vcc_lo
	v_add_co_u32 v3, vcc_lo, v4, 4
	v_add_co_ci_u32_e64 v4, null, 0, v5, vcc_lo
	v_add_co_u32 v5, vcc_lo, v6, 4
	v_add_co_ci_u32_e64 v6, null, 0, v7, vcc_lo
	v_mov_b32_e32 v14, v0
	v_mov_b32_e32 v13, 0
	s_inst_prefetch 0x1
	s_branch .LBB26_12
	.p2align	6
.LBB26_11:                              ;   in Loop: Header=BB26_12 Depth=1
	global_load_dwordx2 v[15:16], v[3:4], off offset:-4
	v_add_nc_u32_e32 v14, 0xc0, v14
	v_add_co_u32 v1, vcc_lo, 0x600, v1
	v_add_co_ci_u32_e64 v2, null, 0, v2, vcc_lo
	v_add_co_u32 v3, vcc_lo, 0x600, v3
	v_add_co_ci_u32_e64 v4, null, 0, v4, vcc_lo
	v_cmp_le_i32_e32 vcc_lo, s36, v14
	v_add_co_u32 v5, s3, 0x600, v5
	v_add_co_ci_u32_e64 v6, null, 0, v6, s3
	s_or_b32 s10, vcc_lo, s10
	s_waitcnt vmcnt(0)
	v_fma_f32 v9, v9, v15, v11
	v_fmac_f32_e32 v13, v7, v15
	v_fmac_f32_e32 v9, v10, v16
	;; [unrolled: 1-line block ×3, first 2 shown]
	v_cndmask_b32_e64 v11, v11, v9, s1
	s_andn2_b32 exec_lo, exec_lo, s10
	s_cbranch_execz .LBB26_14
.LBB26_12:                              ; =>This Inner Loop Header: Depth=1
	global_load_dwordx2 v[7:8], v[5:6], off offset:-4
	v_mov_b32_e32 v10, 0
	v_mov_b32_e32 v9, 0
	s_andn2_b32 vcc_lo, exec_lo, s1
	s_cbranch_vccnz .LBB26_11
; %bb.13:                               ;   in Loop: Header=BB26_12 Depth=1
	global_load_dwordx2 v[9:10], v[1:2], off offset:-4
	s_branch .LBB26_11
.LBB26_14:
	s_inst_prefetch 0x2
	s_or_b32 exec_lo, exec_lo, s10
.LBB26_15:
	s_or_b32 exec_lo, exec_lo, s8
	v_mbcnt_lo_u32_b32 v1, -1, 0
	s_load_dword s10, s[4:5], 0x30
	s_mov_b32 s3, -1
	v_xor_b32_e32 v2, 16, v1
	v_xor_b32_e32 v3, 8, v1
	v_cmp_gt_i32_e32 vcc_lo, 32, v2
	v_cndmask_b32_e32 v2, v1, v2, vcc_lo
	v_cmp_gt_i32_e32 vcc_lo, 32, v3
	v_lshlrev_b32_e32 v2, 2, v2
	v_cndmask_b32_e32 v3, v1, v3, vcc_lo
	ds_bpermute_b32 v4, v2, v13
	v_lshlrev_b32_e32 v3, 2, v3
	s_waitcnt lgkmcnt(0)
	v_add_f32_e32 v5, v13, v4
	v_xor_b32_e32 v4, 4, v1
	ds_bpermute_b32 v6, v3, v5
	v_cmp_gt_i32_e32 vcc_lo, 32, v4
	v_cndmask_b32_e32 v4, v1, v4, vcc_lo
	v_lshlrev_b32_e32 v4, 2, v4
	s_waitcnt lgkmcnt(0)
	v_add_f32_e32 v6, v5, v6
	v_xor_b32_e32 v5, 2, v1
	ds_bpermute_b32 v7, v4, v6
	v_cmp_gt_i32_e32 vcc_lo, 32, v5
	v_cndmask_b32_e32 v5, v1, v5, vcc_lo
	;; [unrolled: 7-line block ×3, first 2 shown]
	s_and_b32 vcc_lo, exec_lo, s9
	v_lshlrev_b32_e32 v6, 2, v1
	s_waitcnt lgkmcnt(0)
	v_add_f32_e32 v1, v7, v8
	v_lshrrev_b32_e32 v8, 5, v0
	ds_bpermute_b32 v7, v6, v1
	s_waitcnt lgkmcnt(0)
	v_add_f32_e32 v1, v1, v7
	v_lshl_add_u32 v7, v8, 2, 0
	s_cbranch_vccz .LBB26_17
; %bb.16:
	s_mov_b32 s3, 0
	ds_write_b32 v7, v1
.LBB26_17:
	s_andn2_b32 vcc_lo, exec_lo, s3
	s_cbranch_vccnz .LBB26_19
; %bb.18:
	ds_bpermute_b32 v8, v2, v11
	s_waitcnt lgkmcnt(0)
	v_add_f32_e32 v8, v11, v8
	ds_bpermute_b32 v9, v3, v8
	s_waitcnt lgkmcnt(0)
	v_add_f32_e32 v8, v8, v9
	ds_bpermute_b32 v9, v4, v8
	s_waitcnt lgkmcnt(0)
	v_add_f32_e32 v8, v8, v9
	ds_bpermute_b32 v9, v5, v8
	s_waitcnt lgkmcnt(0)
	v_add_f32_e32 v8, v8, v9
	ds_bpermute_b32 v9, v6, v8
	s_waitcnt lgkmcnt(0)
	v_add_f32_e32 v11, v8, v9
	ds_write2_b32 v7, v1, v11 offset1:32
.LBB26_19:
	s_waitcnt lgkmcnt(0)
	s_barrier
	buffer_gl0_inv
	s_and_saveexec_b32 s3, s2
	s_cbranch_execz .LBB26_23
; %bb.20:
	ds_read_b32 v1, v12
	s_andn2_b32 vcc_lo, exec_lo, s1
	s_waitcnt lgkmcnt(0)
	ds_bpermute_b32 v7, v2, v1
	s_waitcnt lgkmcnt(0)
	v_add_f32_e32 v1, v1, v7
	ds_bpermute_b32 v7, v3, v1
	s_waitcnt lgkmcnt(0)
	v_add_f32_e32 v1, v1, v7
	;; [unrolled: 3-line block ×4, first 2 shown]
	ds_bpermute_b32 v7, v6, v1
	s_cbranch_vccnz .LBB26_22
; %bb.21:
	ds_read_b32 v8, v12 offset:128
	s_waitcnt lgkmcnt(0)
	ds_bpermute_b32 v2, v2, v8
	s_waitcnt lgkmcnt(0)
	v_add_f32_e32 v2, v8, v2
	ds_bpermute_b32 v3, v3, v2
	s_waitcnt lgkmcnt(0)
	v_add_f32_e32 v2, v2, v3
	;; [unrolled: 3-line block ×5, first 2 shown]
.LBB26_22:
	s_waitcnt lgkmcnt(0)
	v_add_f32_e32 v1, v1, v7
.LBB26_23:
	s_or_b32 exec_lo, exec_lo, s3
	s_barrier
	buffer_gl0_inv
	s_mov_b32 s2, exec_lo
	v_cmpx_eq_u32_e32 0, v0
	s_cbranch_execz .LBB26_47
; %bb.24:
	s_cmp_eq_u64 s[18:19], 0
	s_mul_i32 s8, s7, s22
	s_cselect_b32 s2, -1, 0
	s_ashr_i32 s9, s8, 31
	s_mul_hi_i32 s3, s30, s11
	s_and_b32 vcc_lo, exec_lo, s2
	s_mul_i32 s2, s30, s11
	s_cbranch_vccnz .LBB26_26
; %bb.25:
	s_cselect_b32 s7, 0, s19
	s_cselect_b32 s11, 0, s18
	s_lshl_b64 s[12:13], s[2:3], 2
	s_add_u32 s11, s11, s12
	s_addc_u32 s7, s7, s13
	s_lshl_b64 s[12:13], s[8:9], 2
	s_add_u32 s11, s11, s12
	s_addc_u32 s14, s7, s13
	s_ashr_i32 s7, s6, 31
	s_lshl_b64 s[12:13], s[6:7], 2
	s_add_u32 s12, s11, s12
	s_addc_u32 s13, s14, s13
	s_load_dword s7, s[12:13], 0x0
	s_waitcnt lgkmcnt(0)
	v_add_f32_e32 v1, s7, v1
.LBB26_26:
	s_andn2_b32 vcc_lo, exec_lo, s1
	s_cbranch_vccnz .LBB26_46
; %bb.27:
	s_cmp_lg_u64 s[26:27], 0
	s_cselect_b32 s7, -1, 0
	s_and_b32 s1, s7, s1
	s_andn2_b32 vcc_lo, exec_lo, s1
	s_cbranch_vccnz .LBB26_29
; %bb.28:
	s_and_b32 s1, s7, exec_lo
	s_cselect_b32 s1, s27, 0
	s_cselect_b32 s7, s26, 0
	s_lshl_b64 s[12:13], s[2:3], 2
	s_add_u32 s7, s7, s12
	s_addc_u32 s1, s1, s13
	s_lshl_b64 s[8:9], s[8:9], 2
	s_add_u32 s11, s7, s8
	s_addc_u32 s1, s1, s9
	s_ashr_i32 s7, s6, 31
	s_lshl_b64 s[8:9], s[6:7], 2
	s_add_u32 s8, s11, s8
	s_addc_u32 s9, s1, s9
	s_load_dword s1, s[8:9], 0x0
	s_waitcnt lgkmcnt(0)
	v_add_f32_e32 v11, s1, v11
.LBB26_29:
	s_cmp_lt_i32 s10, 2
	s_cbranch_scc1 .LBB26_34
; %bb.30:
	s_cmp_lt_i32 s10, 3
	s_cbranch_scc1 .LBB26_35
; %bb.31:
	v_mov_b32_e32 v0, v1
	s_cmp_eq_u32 s10, 3
	s_cbranch_scc0 .LBB26_33
; %bb.32:
	v_max_f32_e32 v0, v11, v11
	v_min_f32_e32 v0, 0x40e00000, v0
	v_mul_f32_e32 v2, 0xbfd9db23, v0
	v_mul_f32_e32 v3, 0x3fb8aa3b, v2
	v_cmp_ngt_f32_e32 vcc_lo, 0xc2ce8ed0, v2
	v_fma_f32 v4, 0x3fb8aa3b, v2, -v3
	v_rndne_f32_e32 v5, v3
	v_fmamk_f32 v4, v2, 0x32a5705f, v4
	v_sub_f32_e32 v3, v3, v5
	v_add_f32_e32 v3, v3, v4
	v_cvt_i32_f32_e32 v4, v5
	v_exp_f32_e32 v3, v3
	v_ldexp_f32 v3, v3, v4
	v_cndmask_b32_e32 v3, 0, v3, vcc_lo
	v_cmp_nlt_f32_e32 vcc_lo, 0x42b17218, v2
	v_cndmask_b32_e32 v2, 0x7f800000, v3, vcc_lo
	v_add_f32_e32 v2, 1.0, v2
	v_div_scale_f32 v3, null, v2, v2, v0
	v_div_scale_f32 v6, vcc_lo, v0, v2, v0
	v_rcp_f32_e32 v4, v3
	v_fma_f32 v5, -v3, v4, 1.0
	v_fmac_f32_e32 v4, v5, v4
	v_mul_f32_e32 v5, v6, v4
	v_fma_f32 v7, -v3, v5, v6
	v_fmac_f32_e32 v5, v7, v4
	v_max_f32_e32 v7, v1, v1
	v_fma_f32 v3, -v3, v5, v6
	v_min_f32_e32 v6, 0x40e00000, v7
	v_div_fmas_f32 v3, v3, v4, v5
	v_max_f32_e32 v4, 0xc0e00000, v6
	v_div_fixup_f32 v0, v3, v2, v0
	v_add_f32_e32 v2, 1.0, v4
	v_mul_f32_e32 v0, v2, v0
.LBB26_33:
	s_cbranch_execz .LBB26_36
	s_branch .LBB26_37
.LBB26_34:
                                        ; implicit-def: $vgpr0
	s_branch .LBB26_38
.LBB26_35:
                                        ; implicit-def: $vgpr0
.LBB26_36:
	v_mul_f32_e32 v0, 0xbfb8aa3b, v11
	v_cmp_nlt_f32_e32 vcc_lo, 0x42ce8ed0, v11
	v_rndne_f32_e32 v2, v0
	v_fma_f32 v3, 0xbfb8aa3b, v11, -v0
	v_sub_f32_e32 v0, v0, v2
	v_fmamk_f32 v3, v11, 0xb2a5705f, v3
	v_cvt_i32_f32_e32 v2, v2
	v_add_f32_e32 v0, v0, v3
	v_exp_f32_e32 v0, v0
	v_ldexp_f32 v0, v0, v2
	v_cndmask_b32_e32 v0, 0, v0, vcc_lo
	v_cmp_ngt_f32_e32 vcc_lo, 0xc2b17218, v11
	v_cndmask_b32_e32 v0, 0x7f800000, v0, vcc_lo
	v_add_f32_e32 v0, 1.0, v0
	v_div_scale_f32 v2, null, v0, v0, v11
	v_rcp_f32_e32 v3, v2
	v_fma_f32 v4, -v2, v3, 1.0
	v_fmac_f32_e32 v3, v4, v3
	v_div_scale_f32 v4, vcc_lo, v11, v0, v11
	v_mul_f32_e32 v5, v4, v3
	v_fma_f32 v6, -v2, v5, v4
	v_fmac_f32_e32 v5, v6, v3
	v_fma_f32 v2, -v2, v5, v4
	v_div_fmas_f32 v2, v2, v3, v5
	v_div_fixup_f32 v0, v2, v0, v11
	v_mul_f32_e32 v0, v1, v0
.LBB26_37:
	s_cbranch_execnz .LBB26_45
.LBB26_38:
	s_cmp_eq_u32 s10, 1
	s_cbranch_scc0 .LBB26_44
; %bb.39:
	v_mul_f32_e32 v0, 0x3d372713, v11
	v_mul_f32_e32 v2, 0x3f4c422a, v11
	v_fma_f32 v0, v11, v0, 1.0
	v_mul_f32_e32 v0, v2, v0
                                        ; implicit-def: $vgpr2
	v_cmp_ngt_f32_e64 s1, 0x3f200000, |v0|
	s_and_saveexec_b32 s7, s1
	s_xor_b32 s1, exec_lo, s7
	s_cbranch_execz .LBB26_41
; %bb.40:
	v_add_f32_e64 v2, |v0|, |v0|
	v_mul_f32_e32 v3, 0x3fb8aa3b, v2
	v_cmp_ngt_f32_e32 vcc_lo, 0xc2ce8ed0, v2
	v_rndne_f32_e32 v4, v3
	v_fma_f32 v5, 0x3fb8aa3b, v2, -v3
	v_sub_f32_e32 v3, v3, v4
	v_fmamk_f32 v5, v2, 0x32a5705f, v5
	v_cvt_i32_f32_e32 v4, v4
	v_add_f32_e32 v3, v3, v5
	v_exp_f32_e32 v3, v3
	v_ldexp_f32 v3, v3, v4
	v_cndmask_b32_e32 v3, 0, v3, vcc_lo
	v_cmp_nlt_f32_e32 vcc_lo, 0x42b17218, v2
	v_cndmask_b32_e32 v2, 0x7f800000, v3, vcc_lo
	v_add_f32_e32 v2, 1.0, v2
	v_rcp_f32_e32 v2, v2
	v_fma_f32 v2, v2, -2.0, 1.0
.LBB26_41:
	s_andn2_saveexec_b32 s1, s1
	s_cbranch_execz .LBB26_43
; %bb.42:
	v_mul_f32_e32 v2, v0, v0
	s_mov_b32 s7, 0xbbbac73d
	v_fmaak_f32 v3, s7, v2, 0x3ca908c9
	v_fmaak_f32 v3, v2, v3, 0xbd5c1c4e
	v_fmaak_f32 v3, v2, v3, 0x3e088382
	v_fmaak_f32 v3, v2, v3, 0xbeaaaa99
	v_mul_f32_e64 v3, |v0|, v3
	v_fma_f32 v2, v2, v3, |v0|
.LBB26_43:
	s_or_b32 exec_lo, exec_lo, s1
	v_bfi_b32 v0, 0x7fffffff, v2, v0
	v_mul_f32_e32 v2, 0.5, v11
	v_add_f32_e32 v0, 1.0, v0
	v_mul_f32_e32 v0, v2, v0
	v_mul_f32_e32 v1, v1, v0
.LBB26_44:
	v_mov_b32_e32 v0, v1
.LBB26_45:
	v_mov_b32_e32 v1, v0
.LBB26_46:
	s_load_dwordx2 s[4:5], s[4:5], 0x38
	s_mul_i32 s0, s22, s0
	s_lshl_b64 s[2:3], s[2:3], 2
	s_ashr_i32 s1, s0, 31
	v_mov_b32_e32 v0, 0
	s_waitcnt lgkmcnt(0)
	s_add_u32 s2, s4, s2
	s_addc_u32 s3, s5, s3
	s_lshl_b64 s[0:1], s[0:1], 2
	s_add_u32 s2, s2, s0
	s_addc_u32 s3, s3, s1
	s_ashr_i32 s7, s6, 31
	s_lshl_b64 s[0:1], s[6:7], 2
	s_add_u32 s0, s2, s0
	s_addc_u32 s1, s3, s1
	global_store_dword v0, v1, s[0:1]
.LBB26_47:
	s_endpgm
	.section	.rodata,"a",@progbits
	.p2align	6, 0x0
	.amdhsa_kernel _ZL13mul_mat_vec_fIffLi1ELi192ELb1ELb0EEvPKT_PKfPKi31ggml_cuda_mm_fusion_args_devicePfi15HIP_vector_typeIjLj3EEiiiSA_iiiSA_iiii
		.amdhsa_group_segment_fixed_size 0
		.amdhsa_private_segment_fixed_size 0
		.amdhsa_kernarg_size 144
		.amdhsa_user_sgpr_count 6
		.amdhsa_user_sgpr_private_segment_buffer 1
		.amdhsa_user_sgpr_dispatch_ptr 0
		.amdhsa_user_sgpr_queue_ptr 0
		.amdhsa_user_sgpr_kernarg_segment_ptr 1
		.amdhsa_user_sgpr_dispatch_id 0
		.amdhsa_user_sgpr_flat_scratch_init 0
		.amdhsa_user_sgpr_private_segment_size 0
		.amdhsa_wavefront_size32 1
		.amdhsa_uses_dynamic_stack 0
		.amdhsa_system_sgpr_private_segment_wavefront_offset 0
		.amdhsa_system_sgpr_workgroup_id_x 1
		.amdhsa_system_sgpr_workgroup_id_y 1
		.amdhsa_system_sgpr_workgroup_id_z 1
		.amdhsa_system_sgpr_workgroup_info 0
		.amdhsa_system_vgpr_workitem_id 0
		.amdhsa_next_free_vgpr 17
		.amdhsa_next_free_sgpr 40
		.amdhsa_reserve_vcc 1
		.amdhsa_reserve_flat_scratch 0
		.amdhsa_float_round_mode_32 0
		.amdhsa_float_round_mode_16_64 0
		.amdhsa_float_denorm_mode_32 3
		.amdhsa_float_denorm_mode_16_64 3
		.amdhsa_dx10_clamp 1
		.amdhsa_ieee_mode 1
		.amdhsa_fp16_overflow 0
		.amdhsa_workgroup_processor_mode 1
		.amdhsa_memory_ordered 1
		.amdhsa_forward_progress 1
		.amdhsa_shared_vgpr_count 0
		.amdhsa_exception_fp_ieee_invalid_op 0
		.amdhsa_exception_fp_denorm_src 0
		.amdhsa_exception_fp_ieee_div_zero 0
		.amdhsa_exception_fp_ieee_overflow 0
		.amdhsa_exception_fp_ieee_underflow 0
		.amdhsa_exception_fp_ieee_inexact 0
		.amdhsa_exception_int_div_zero 0
	.end_amdhsa_kernel
	.section	.text._ZL13mul_mat_vec_fIffLi1ELi192ELb1ELb0EEvPKT_PKfPKi31ggml_cuda_mm_fusion_args_devicePfi15HIP_vector_typeIjLj3EEiiiSA_iiiSA_iiii,"axG",@progbits,_ZL13mul_mat_vec_fIffLi1ELi192ELb1ELb0EEvPKT_PKfPKi31ggml_cuda_mm_fusion_args_devicePfi15HIP_vector_typeIjLj3EEiiiSA_iiiSA_iiii,comdat
.Lfunc_end26:
	.size	_ZL13mul_mat_vec_fIffLi1ELi192ELb1ELb0EEvPKT_PKfPKi31ggml_cuda_mm_fusion_args_devicePfi15HIP_vector_typeIjLj3EEiiiSA_iiiSA_iiii, .Lfunc_end26-_ZL13mul_mat_vec_fIffLi1ELi192ELb1ELb0EEvPKT_PKfPKi31ggml_cuda_mm_fusion_args_devicePfi15HIP_vector_typeIjLj3EEiiiSA_iiiSA_iiii
                                        ; -- End function
	.set _ZL13mul_mat_vec_fIffLi1ELi192ELb1ELb0EEvPKT_PKfPKi31ggml_cuda_mm_fusion_args_devicePfi15HIP_vector_typeIjLj3EEiiiSA_iiiSA_iiii.num_vgpr, 17
	.set _ZL13mul_mat_vec_fIffLi1ELi192ELb1ELb0EEvPKT_PKfPKi31ggml_cuda_mm_fusion_args_devicePfi15HIP_vector_typeIjLj3EEiiiSA_iiiSA_iiii.num_agpr, 0
	.set _ZL13mul_mat_vec_fIffLi1ELi192ELb1ELb0EEvPKT_PKfPKi31ggml_cuda_mm_fusion_args_devicePfi15HIP_vector_typeIjLj3EEiiiSA_iiiSA_iiii.numbered_sgpr, 40
	.set _ZL13mul_mat_vec_fIffLi1ELi192ELb1ELb0EEvPKT_PKfPKi31ggml_cuda_mm_fusion_args_devicePfi15HIP_vector_typeIjLj3EEiiiSA_iiiSA_iiii.num_named_barrier, 0
	.set _ZL13mul_mat_vec_fIffLi1ELi192ELb1ELb0EEvPKT_PKfPKi31ggml_cuda_mm_fusion_args_devicePfi15HIP_vector_typeIjLj3EEiiiSA_iiiSA_iiii.private_seg_size, 0
	.set _ZL13mul_mat_vec_fIffLi1ELi192ELb1ELb0EEvPKT_PKfPKi31ggml_cuda_mm_fusion_args_devicePfi15HIP_vector_typeIjLj3EEiiiSA_iiiSA_iiii.uses_vcc, 1
	.set _ZL13mul_mat_vec_fIffLi1ELi192ELb1ELb0EEvPKT_PKfPKi31ggml_cuda_mm_fusion_args_devicePfi15HIP_vector_typeIjLj3EEiiiSA_iiiSA_iiii.uses_flat_scratch, 0
	.set _ZL13mul_mat_vec_fIffLi1ELi192ELb1ELb0EEvPKT_PKfPKi31ggml_cuda_mm_fusion_args_devicePfi15HIP_vector_typeIjLj3EEiiiSA_iiiSA_iiii.has_dyn_sized_stack, 0
	.set _ZL13mul_mat_vec_fIffLi1ELi192ELb1ELb0EEvPKT_PKfPKi31ggml_cuda_mm_fusion_args_devicePfi15HIP_vector_typeIjLj3EEiiiSA_iiiSA_iiii.has_recursion, 0
	.set _ZL13mul_mat_vec_fIffLi1ELi192ELb1ELb0EEvPKT_PKfPKi31ggml_cuda_mm_fusion_args_devicePfi15HIP_vector_typeIjLj3EEiiiSA_iiiSA_iiii.has_indirect_call, 0
	.section	.AMDGPU.csdata,"",@progbits
; Kernel info:
; codeLenInByte = 2324
; TotalNumSgprs: 42
; NumVgprs: 17
; ScratchSize: 0
; MemoryBound: 0
; FloatMode: 240
; IeeeMode: 1
; LDSByteSize: 0 bytes/workgroup (compile time only)
; SGPRBlocks: 0
; VGPRBlocks: 2
; NumSGPRsForWavesPerEU: 42
; NumVGPRsForWavesPerEU: 17
; Occupancy: 16
; WaveLimiterHint : 1
; COMPUTE_PGM_RSRC2:SCRATCH_EN: 0
; COMPUTE_PGM_RSRC2:USER_SGPR: 6
; COMPUTE_PGM_RSRC2:TRAP_HANDLER: 0
; COMPUTE_PGM_RSRC2:TGID_X_EN: 1
; COMPUTE_PGM_RSRC2:TGID_Y_EN: 1
; COMPUTE_PGM_RSRC2:TGID_Z_EN: 1
; COMPUTE_PGM_RSRC2:TIDIG_COMP_CNT: 0
	.section	.text._ZL13mul_mat_vec_fIffLi1ELi192ELb0ELb0EEvPKT_PKfPKi31ggml_cuda_mm_fusion_args_devicePfi15HIP_vector_typeIjLj3EEiiiSA_iiiSA_iiii,"axG",@progbits,_ZL13mul_mat_vec_fIffLi1ELi192ELb0ELb0EEvPKT_PKfPKi31ggml_cuda_mm_fusion_args_devicePfi15HIP_vector_typeIjLj3EEiiiSA_iiiSA_iiii,comdat
	.globl	_ZL13mul_mat_vec_fIffLi1ELi192ELb0ELb0EEvPKT_PKfPKi31ggml_cuda_mm_fusion_args_devicePfi15HIP_vector_typeIjLj3EEiiiSA_iiiSA_iiii ; -- Begin function _ZL13mul_mat_vec_fIffLi1ELi192ELb0ELb0EEvPKT_PKfPKi31ggml_cuda_mm_fusion_args_devicePfi15HIP_vector_typeIjLj3EEiiiSA_iiiSA_iiii
	.p2align	8
	.type	_ZL13mul_mat_vec_fIffLi1ELi192ELb0ELb0EEvPKT_PKfPKi31ggml_cuda_mm_fusion_args_devicePfi15HIP_vector_typeIjLj3EEiiiSA_iiiSA_iiii,@function
_ZL13mul_mat_vec_fIffLi1ELi192ELb0ELb0EEvPKT_PKfPKi31ggml_cuda_mm_fusion_args_devicePfi15HIP_vector_typeIjLj3EEiiiSA_iiiSA_iiii: ; @_ZL13mul_mat_vec_fIffLi1ELi192ELb0ELb0EEvPKT_PKfPKi31ggml_cuda_mm_fusion_args_devicePfi15HIP_vector_typeIjLj3EEiiiSA_iiiSA_iiii
; %bb.0:
	s_clause 0x2
	s_load_dwordx2 s[2:3], s[4:5], 0x10
	s_load_dwordx4 s[20:23], s[4:5], 0x40
	s_load_dwordx4 s[12:15], s[4:5], 0x80
	s_waitcnt lgkmcnt(0)
	s_cmp_eq_u64 s[2:3], 0
	s_cselect_b32 s10, -1, 0
	s_cmp_lg_u64 s[2:3], 0
	s_cselect_b32 s9, -1, 0
	s_and_b32 vcc_lo, exec_lo, s10
	s_cbranch_vccnz .LBB27_2
; %bb.1:
	s_mul_i32 s0, s15, s8
	s_mov_b32 s1, 0
	s_add_i32 s0, s0, s7
	s_lshl_b64 s[16:17], s[0:1], 2
	s_add_u32 s2, s2, s16
	s_addc_u32 s3, s3, s17
	s_load_dword s15, s[2:3], 0x0
	s_load_dword s24, s[4:5], 0x50
	s_cbranch_execz .LBB27_3
	s_branch .LBB27_4
.LBB27_2:
                                        ; implicit-def: $sgpr15
	s_load_dword s24, s[4:5], 0x50
.LBB27_3:
	s_load_dwordx2 s[0:1], s[4:5], 0x5c
	s_waitcnt lgkmcnt(0)
	s_mul_hi_u32 s0, s0, s7
	s_add_i32 s0, s7, s0
	s_lshr_b32 s15, s0, s1
.LBB27_4:
	s_load_dwordx4 s[16:19], s[4:5], 0x68
	s_andn2_b32 vcc_lo, exec_lo, s9
	s_mov_b32 s25, s7
	s_cbranch_vccnz .LBB27_6
; %bb.5:
	s_mul_hi_u32 s0, s21, s7
	s_add_i32 s0, s7, s0
	s_lshr_b32 s0, s0, s22
	s_mul_i32 s0, s0, s23
	s_sub_i32 s25, s7, s0
.LBB27_6:
	s_load_dword s11, s[4:5], 0x78
	v_cmp_gt_u32_e32 vcc_lo, 32, v0
	v_lshl_add_u32 v5, v0, 2, 0
	s_and_saveexec_b32 s0, vcc_lo
; %bb.7:
	v_mov_b32_e32 v1, 0
	ds_write_b32 v5, v1
; %bb.8:
	s_or_b32 exec_lo, exec_lo, s0
	v_mov_b32_e32 v6, 0
	s_and_b32 s0, exec_lo, s10
	s_mov_b32 s9, 0
	s_cselect_b32 s8, s8, 0
	s_mov_b32 s10, exec_lo
	s_waitcnt lgkmcnt(0)
	s_barrier
	buffer_gl0_inv
	v_cmpx_gt_i32_e64 s20, v0
	s_cbranch_execz .LBB27_12
; %bb.9:
	s_load_dwordx4 s[0:3], s[4:5], 0x0
	s_mul_hi_u32 s19, s19, s8
	s_mul_i32 s16, s15, s16
	s_add_i32 s15, s8, s19
	s_mul_i32 s22, s24, s6
	s_lshr_b32 s11, s15, s11
	s_mul_i32 s24, s25, s17
	s_ashr_i32 s17, s16, 31
	s_ashr_i32 s23, s22, 31
	s_mul_hi_i32 s29, s11, s12
	s_mul_i32 s28, s11, s12
	s_lshl_b64 s[16:17], s[16:17], 2
	s_ashr_i32 s25, s24, 31
	s_lshl_b64 s[22:23], s[22:23], 2
	s_lshl_b64 s[28:29], s[28:29], 2
	v_lshlrev_b32_e32 v1, 3, v0
	s_mul_hi_i32 s27, s8, s13
	s_mul_i32 s26, s8, s13
	v_mov_b32_e32 v6, 0
	s_waitcnt lgkmcnt(0)
	s_add_u32 s0, s0, s16
	s_addc_u32 s1, s1, s17
	s_add_u32 s0, s0, s22
	s_addc_u32 s1, s1, s23
	;; [unrolled: 2-line block ×3, first 2 shown]
	v_add_co_u32 v2, s0, s0, v1
	v_add_co_ci_u32_e64 v3, null, s1, 0, s0
	s_lshl_b64 s[0:1], s[24:25], 2
	s_lshl_b64 s[12:13], s[26:27], 2
	s_add_u32 s0, s2, s0
	s_addc_u32 s1, s3, s1
	s_add_u32 s0, s0, s12
	s_addc_u32 s1, s1, s13
	v_add_co_u32 v4, s0, s0, v1
	v_add_co_ci_u32_e64 v7, null, s1, 0, s0
	v_add_co_u32 v1, s0, v2, 4
	v_add_co_ci_u32_e64 v2, null, 0, v3, s0
	;; [unrolled: 2-line block ×3, first 2 shown]
	v_mov_b32_e32 v7, v0
	.p2align	6
.LBB27_10:                              ; =>This Inner Loop Header: Depth=1
	global_load_dwordx2 v[8:9], v[1:2], off offset:-4
	global_load_dwordx2 v[10:11], v[3:4], off offset:-4
	v_add_nc_u32_e32 v7, 0xc0, v7
	v_add_co_u32 v1, s0, 0x600, v1
	v_add_co_ci_u32_e64 v2, null, 0, v2, s0
	v_add_co_u32 v3, s0, 0x600, v3
	v_cmp_le_i32_e64 s1, s20, v7
	v_add_co_ci_u32_e64 v4, null, 0, v4, s0
	s_or_b32 s9, s1, s9
	s_waitcnt vmcnt(0)
	v_fmac_f32_e32 v6, v8, v10
	v_fmac_f32_e32 v6, v9, v11
	s_andn2_b32 exec_lo, exec_lo, s9
	s_cbranch_execnz .LBB27_10
; %bb.11:
	s_or_b32 exec_lo, exec_lo, s9
.LBB27_12:
	s_or_b32 exec_lo, exec_lo, s10
	v_mbcnt_lo_u32_b32 v2, -1, 0
	v_xor_b32_e32 v1, 16, v2
	v_xor_b32_e32 v3, 8, v2
	v_cmp_gt_i32_e64 s0, 32, v1
	v_cndmask_b32_e64 v1, v2, v1, s0
	v_cmp_gt_i32_e64 s0, 32, v3
	v_lshlrev_b32_e32 v1, 2, v1
	v_cndmask_b32_e64 v3, v2, v3, s0
	ds_bpermute_b32 v4, v1, v6
	v_lshlrev_b32_e32 v3, 2, v3
	s_waitcnt lgkmcnt(0)
	v_add_f32_e32 v6, v6, v4
	v_xor_b32_e32 v4, 4, v2
	ds_bpermute_b32 v7, v3, v6
	v_cmp_gt_i32_e64 s0, 32, v4
	v_cndmask_b32_e64 v4, v2, v4, s0
	v_lshlrev_b32_e32 v4, 2, v4
	s_waitcnt lgkmcnt(0)
	v_add_f32_e32 v7, v6, v7
	v_xor_b32_e32 v6, 2, v2
	ds_bpermute_b32 v8, v4, v7
	v_cmp_gt_i32_e64 s0, 32, v6
	v_cndmask_b32_e64 v6, v2, v6, s0
	;; [unrolled: 7-line block ×3, first 2 shown]
	v_lshlrev_b32_e32 v7, 2, v2
	s_waitcnt lgkmcnt(0)
	v_add_f32_e32 v2, v8, v9
	v_lshrrev_b32_e32 v9, 3, v0
	ds_bpermute_b32 v8, v7, v2
	v_and_b32_e32 v9, 0x7c, v9
	v_add_nc_u32_e32 v9, 0, v9
	s_waitcnt lgkmcnt(0)
	v_add_f32_e32 v2, v2, v8
	ds_write_b32 v9, v2
	s_waitcnt lgkmcnt(0)
	s_barrier
	buffer_gl0_inv
	s_and_saveexec_b32 s0, vcc_lo
	s_cbranch_execz .LBB27_14
; %bb.13:
	ds_read_b32 v2, v5
	s_waitcnt lgkmcnt(0)
	ds_bpermute_b32 v1, v1, v2
	s_waitcnt lgkmcnt(0)
	v_add_f32_e32 v1, v2, v1
	ds_bpermute_b32 v2, v3, v1
	s_waitcnt lgkmcnt(0)
	v_add_f32_e32 v1, v1, v2
	;; [unrolled: 3-line block ×5, first 2 shown]
.LBB27_14:
	s_or_b32 exec_lo, exec_lo, s0
	s_barrier
	buffer_gl0_inv
	s_mov_b32 s0, exec_lo
	v_cmpx_eq_u32_e32 0, v0
	s_cbranch_execz .LBB27_16
; %bb.15:
	s_load_dwordx2 s[0:1], s[4:5], 0x38
	s_mul_hi_i32 s3, s14, s8
	s_mul_i32 s2, s14, s8
	s_mul_i32 s4, s18, s7
	s_lshl_b64 s[2:3], s[2:3], 2
	s_ashr_i32 s5, s4, 31
	v_mov_b32_e32 v0, 0
	s_waitcnt lgkmcnt(0)
	s_add_u32 s2, s0, s2
	s_addc_u32 s3, s1, s3
	s_lshl_b64 s[0:1], s[4:5], 2
	s_add_u32 s2, s2, s0
	s_addc_u32 s3, s3, s1
	s_ashr_i32 s7, s6, 31
	s_lshl_b64 s[0:1], s[6:7], 2
	s_add_u32 s0, s2, s0
	s_addc_u32 s1, s3, s1
	global_store_dword v0, v2, s[0:1]
.LBB27_16:
	s_endpgm
	.section	.rodata,"a",@progbits
	.p2align	6, 0x0
	.amdhsa_kernel _ZL13mul_mat_vec_fIffLi1ELi192ELb0ELb0EEvPKT_PKfPKi31ggml_cuda_mm_fusion_args_devicePfi15HIP_vector_typeIjLj3EEiiiSA_iiiSA_iiii
		.amdhsa_group_segment_fixed_size 0
		.amdhsa_private_segment_fixed_size 0
		.amdhsa_kernarg_size 144
		.amdhsa_user_sgpr_count 6
		.amdhsa_user_sgpr_private_segment_buffer 1
		.amdhsa_user_sgpr_dispatch_ptr 0
		.amdhsa_user_sgpr_queue_ptr 0
		.amdhsa_user_sgpr_kernarg_segment_ptr 1
		.amdhsa_user_sgpr_dispatch_id 0
		.amdhsa_user_sgpr_flat_scratch_init 0
		.amdhsa_user_sgpr_private_segment_size 0
		.amdhsa_wavefront_size32 1
		.amdhsa_uses_dynamic_stack 0
		.amdhsa_system_sgpr_private_segment_wavefront_offset 0
		.amdhsa_system_sgpr_workgroup_id_x 1
		.amdhsa_system_sgpr_workgroup_id_y 1
		.amdhsa_system_sgpr_workgroup_id_z 1
		.amdhsa_system_sgpr_workgroup_info 0
		.amdhsa_system_vgpr_workitem_id 0
		.amdhsa_next_free_vgpr 12
		.amdhsa_next_free_sgpr 30
		.amdhsa_reserve_vcc 1
		.amdhsa_reserve_flat_scratch 0
		.amdhsa_float_round_mode_32 0
		.amdhsa_float_round_mode_16_64 0
		.amdhsa_float_denorm_mode_32 3
		.amdhsa_float_denorm_mode_16_64 3
		.amdhsa_dx10_clamp 1
		.amdhsa_ieee_mode 1
		.amdhsa_fp16_overflow 0
		.amdhsa_workgroup_processor_mode 1
		.amdhsa_memory_ordered 1
		.amdhsa_forward_progress 1
		.amdhsa_shared_vgpr_count 0
		.amdhsa_exception_fp_ieee_invalid_op 0
		.amdhsa_exception_fp_denorm_src 0
		.amdhsa_exception_fp_ieee_div_zero 0
		.amdhsa_exception_fp_ieee_overflow 0
		.amdhsa_exception_fp_ieee_underflow 0
		.amdhsa_exception_fp_ieee_inexact 0
		.amdhsa_exception_int_div_zero 0
	.end_amdhsa_kernel
	.section	.text._ZL13mul_mat_vec_fIffLi1ELi192ELb0ELb0EEvPKT_PKfPKi31ggml_cuda_mm_fusion_args_devicePfi15HIP_vector_typeIjLj3EEiiiSA_iiiSA_iiii,"axG",@progbits,_ZL13mul_mat_vec_fIffLi1ELi192ELb0ELb0EEvPKT_PKfPKi31ggml_cuda_mm_fusion_args_devicePfi15HIP_vector_typeIjLj3EEiiiSA_iiiSA_iiii,comdat
.Lfunc_end27:
	.size	_ZL13mul_mat_vec_fIffLi1ELi192ELb0ELb0EEvPKT_PKfPKi31ggml_cuda_mm_fusion_args_devicePfi15HIP_vector_typeIjLj3EEiiiSA_iiiSA_iiii, .Lfunc_end27-_ZL13mul_mat_vec_fIffLi1ELi192ELb0ELb0EEvPKT_PKfPKi31ggml_cuda_mm_fusion_args_devicePfi15HIP_vector_typeIjLj3EEiiiSA_iiiSA_iiii
                                        ; -- End function
	.set _ZL13mul_mat_vec_fIffLi1ELi192ELb0ELb0EEvPKT_PKfPKi31ggml_cuda_mm_fusion_args_devicePfi15HIP_vector_typeIjLj3EEiiiSA_iiiSA_iiii.num_vgpr, 12
	.set _ZL13mul_mat_vec_fIffLi1ELi192ELb0ELb0EEvPKT_PKfPKi31ggml_cuda_mm_fusion_args_devicePfi15HIP_vector_typeIjLj3EEiiiSA_iiiSA_iiii.num_agpr, 0
	.set _ZL13mul_mat_vec_fIffLi1ELi192ELb0ELb0EEvPKT_PKfPKi31ggml_cuda_mm_fusion_args_devicePfi15HIP_vector_typeIjLj3EEiiiSA_iiiSA_iiii.numbered_sgpr, 30
	.set _ZL13mul_mat_vec_fIffLi1ELi192ELb0ELb0EEvPKT_PKfPKi31ggml_cuda_mm_fusion_args_devicePfi15HIP_vector_typeIjLj3EEiiiSA_iiiSA_iiii.num_named_barrier, 0
	.set _ZL13mul_mat_vec_fIffLi1ELi192ELb0ELb0EEvPKT_PKfPKi31ggml_cuda_mm_fusion_args_devicePfi15HIP_vector_typeIjLj3EEiiiSA_iiiSA_iiii.private_seg_size, 0
	.set _ZL13mul_mat_vec_fIffLi1ELi192ELb0ELb0EEvPKT_PKfPKi31ggml_cuda_mm_fusion_args_devicePfi15HIP_vector_typeIjLj3EEiiiSA_iiiSA_iiii.uses_vcc, 1
	.set _ZL13mul_mat_vec_fIffLi1ELi192ELb0ELb0EEvPKT_PKfPKi31ggml_cuda_mm_fusion_args_devicePfi15HIP_vector_typeIjLj3EEiiiSA_iiiSA_iiii.uses_flat_scratch, 0
	.set _ZL13mul_mat_vec_fIffLi1ELi192ELb0ELb0EEvPKT_PKfPKi31ggml_cuda_mm_fusion_args_devicePfi15HIP_vector_typeIjLj3EEiiiSA_iiiSA_iiii.has_dyn_sized_stack, 0
	.set _ZL13mul_mat_vec_fIffLi1ELi192ELb0ELb0EEvPKT_PKfPKi31ggml_cuda_mm_fusion_args_devicePfi15HIP_vector_typeIjLj3EEiiiSA_iiiSA_iiii.has_recursion, 0
	.set _ZL13mul_mat_vec_fIffLi1ELi192ELb0ELb0EEvPKT_PKfPKi31ggml_cuda_mm_fusion_args_devicePfi15HIP_vector_typeIjLj3EEiiiSA_iiiSA_iiii.has_indirect_call, 0
	.section	.AMDGPU.csdata,"",@progbits
; Kernel info:
; codeLenInByte = 1076
; TotalNumSgprs: 32
; NumVgprs: 12
; ScratchSize: 0
; MemoryBound: 0
; FloatMode: 240
; IeeeMode: 1
; LDSByteSize: 0 bytes/workgroup (compile time only)
; SGPRBlocks: 0
; VGPRBlocks: 1
; NumSGPRsForWavesPerEU: 32
; NumVGPRsForWavesPerEU: 12
; Occupancy: 16
; WaveLimiterHint : 0
; COMPUTE_PGM_RSRC2:SCRATCH_EN: 0
; COMPUTE_PGM_RSRC2:USER_SGPR: 6
; COMPUTE_PGM_RSRC2:TRAP_HANDLER: 0
; COMPUTE_PGM_RSRC2:TGID_X_EN: 1
; COMPUTE_PGM_RSRC2:TGID_Y_EN: 1
; COMPUTE_PGM_RSRC2:TGID_Z_EN: 1
; COMPUTE_PGM_RSRC2:TIDIG_COMP_CNT: 0
	.section	.text._ZL13mul_mat_vec_fIffLi1ELi224ELb1ELb0EEvPKT_PKfPKi31ggml_cuda_mm_fusion_args_devicePfi15HIP_vector_typeIjLj3EEiiiSA_iiiSA_iiii,"axG",@progbits,_ZL13mul_mat_vec_fIffLi1ELi224ELb1ELb0EEvPKT_PKfPKi31ggml_cuda_mm_fusion_args_devicePfi15HIP_vector_typeIjLj3EEiiiSA_iiiSA_iiii,comdat
	.globl	_ZL13mul_mat_vec_fIffLi1ELi224ELb1ELb0EEvPKT_PKfPKi31ggml_cuda_mm_fusion_args_devicePfi15HIP_vector_typeIjLj3EEiiiSA_iiiSA_iiii ; -- Begin function _ZL13mul_mat_vec_fIffLi1ELi224ELb1ELb0EEvPKT_PKfPKi31ggml_cuda_mm_fusion_args_devicePfi15HIP_vector_typeIjLj3EEiiiSA_iiiSA_iiii
	.p2align	8
	.type	_ZL13mul_mat_vec_fIffLi1ELi224ELb1ELb0EEvPKT_PKfPKi31ggml_cuda_mm_fusion_args_devicePfi15HIP_vector_typeIjLj3EEiiiSA_iiiSA_iiii,@function
_ZL13mul_mat_vec_fIffLi1ELi224ELb1ELb0EEvPKT_PKfPKi31ggml_cuda_mm_fusion_args_devicePfi15HIP_vector_typeIjLj3EEiiiSA_iiiSA_iiii: ; @_ZL13mul_mat_vec_fIffLi1ELi224ELb1ELb0EEvPKT_PKfPKi31ggml_cuda_mm_fusion_args_devicePfi15HIP_vector_typeIjLj3EEiiiSA_iiiSA_iiii
; %bb.0:
	s_clause 0x3
	s_load_dwordx8 s[12:19], s[4:5], 0x0
	s_load_dwordx4 s[24:27], s[4:5], 0x20
	s_load_dwordx4 s[36:39], s[4:5], 0x40
	s_load_dwordx4 s[28:31], s[4:5], 0x80
	s_mov_b32 s0, s7
	s_waitcnt lgkmcnt(0)
	s_cmp_eq_u64 s[16:17], 0
	s_cselect_b32 s11, -1, 0
	s_cmp_lg_u64 s[16:17], 0
	s_cselect_b32 s1, -1, 0
	s_and_b32 vcc_lo, exec_lo, s11
	s_cbranch_vccnz .LBB28_2
; %bb.1:
	s_mul_i32 s2, s31, s8
	s_mov_b32 s3, 0
	s_add_i32 s2, s2, s0
	s_lshl_b64 s[20:21], s[2:3], 2
	s_add_u32 s16, s16, s20
	s_addc_u32 s17, s17, s21
	s_load_dword s7, s[16:17], 0x0
	s_load_dword s16, s[4:5], 0x50
	s_waitcnt lgkmcnt(0)
	s_mov_b32 s3, s7
	s_cbranch_execz .LBB28_3
	s_branch .LBB28_4
.LBB28_2:
                                        ; implicit-def: $sgpr7
	s_load_dword s16, s[4:5], 0x50
	s_mov_b32 s3, s7
.LBB28_3:
	s_load_dwordx2 s[2:3], s[4:5], 0x5c
	s_mov_b32 s7, s0
	s_waitcnt lgkmcnt(0)
	s_mul_hi_u32 s2, s2, s0
	s_add_i32 s2, s0, s2
	s_lshr_b32 s3, s2, s3
.LBB28_4:
	s_load_dwordx4 s[20:23], s[4:5], 0x68
	s_andn2_b32 vcc_lo, exec_lo, s1
	s_mov_b32 s17, s0
	s_cbranch_vccnz .LBB28_6
; %bb.5:
	s_mul_hi_u32 s1, s37, s0
	s_add_i32 s1, s0, s1
	s_lshr_b32 s1, s1, s38
	s_mul_i32 s1, s1, s39
	s_sub_i32 s17, s0, s1
.LBB28_6:
	s_load_dword s31, s[4:5], 0x78
	s_cmp_lg_u64 s[24:25], 0
	v_cmp_gt_u32_e64 s2, 32, v0
	v_lshl_add_u32 v12, v0, 2, 0
	s_cselect_b32 s1, -1, 0
	s_cmp_eq_u64 s[24:25], 0
	s_cselect_b32 s9, -1, 0
	s_and_saveexec_b32 s10, s2
	s_cbranch_execz .LBB28_9
; %bb.7:
	v_mov_b32_e32 v1, 0
	s_andn2_b32 vcc_lo, exec_lo, s1
	ds_write_b32 v12, v1
	s_cbranch_vccnz .LBB28_9
; %bb.8:
	ds_write_b32 v12, v1 offset:128
.LBB28_9:
	s_or_b32 exec_lo, exec_lo, s10
	v_mov_b32_e32 v11, 0
	v_mov_b32_e32 v13, 0
	s_and_b32 s11, exec_lo, s11
	s_mov_b32 s10, 0
	s_cselect_b32 s11, s8, 0
	s_mov_b32 s8, exec_lo
	s_waitcnt lgkmcnt(0)
	s_barrier
	buffer_gl0_inv
	v_cmpx_gt_i32_e64 s36, v0
	s_cbranch_execz .LBB28_15
; %bb.10:
	s_mul_hi_u32 s23, s23, s11
	s_mul_i32 s3, s3, s20
	s_add_i32 s23, s11, s23
	s_mul_i32 s16, s16, s6
	s_lshr_b32 s20, s23, s31
	s_ashr_i32 s31, s16, 31
	s_mul_hi_i32 s23, s20, s28
	s_mul_i32 s20, s20, s28
	s_ashr_i32 s28, s3, 31
	s_add_u32 s16, s20, s16
	s_addc_u32 s23, s23, s31
	s_mul_i32 s20, s17, s21
	s_add_u32 s16, s16, s3
	s_addc_u32 s17, s23, s28
	s_ashr_i32 s21, s20, 31
	s_and_b32 s3, s1, exec_lo
	s_cselect_b32 s3, s25, 0
	s_cselect_b32 s23, s24, 0
	;; [unrolled: 1-line block ×4, first 2 shown]
	v_lshlrev_b32_e32 v3, 3, v0
	s_lshl_b64 s[24:25], s[24:25], 2
	v_mov_b32_e32 v11, 0
	s_add_u32 s23, s23, s24
	s_addc_u32 s3, s3, s25
	s_mul_hi_i32 s25, s11, s29
	s_mul_i32 s24, s11, s29
	v_add_co_u32 v1, s23, s23, v3
	s_lshl_b64 s[20:21], s[20:21], 2
	s_lshl_b64 s[24:25], s[24:25], 2
	v_add_co_ci_u32_e64 v2, null, s3, 0, s23
	s_add_u32 s3, s14, s20
	s_addc_u32 s14, s15, s21
	s_add_u32 s3, s3, s24
	s_addc_u32 s20, s14, s25
	s_lshl_b64 s[14:15], s[16:17], 2
	v_add_co_u32 v4, s3, s3, v3
	v_add_co_ci_u32_e64 v5, null, s20, 0, s3
	s_add_u32 s3, s12, s14
	s_addc_u32 s12, s13, s15
	v_add_co_u32 v6, s3, s3, v3
	v_add_co_u32 v1, vcc_lo, v1, 4
	v_add_co_ci_u32_e64 v7, null, s12, 0, s3
	v_add_co_ci_u32_e64 v2, null, 0, v2, vcc_lo
	v_add_co_u32 v3, vcc_lo, v4, 4
	v_add_co_ci_u32_e64 v4, null, 0, v5, vcc_lo
	v_add_co_u32 v5, vcc_lo, v6, 4
	v_add_co_ci_u32_e64 v6, null, 0, v7, vcc_lo
	v_mov_b32_e32 v14, v0
	v_mov_b32_e32 v13, 0
	s_inst_prefetch 0x1
	s_branch .LBB28_12
	.p2align	6
.LBB28_11:                              ;   in Loop: Header=BB28_12 Depth=1
	global_load_dwordx2 v[15:16], v[3:4], off offset:-4
	v_add_nc_u32_e32 v14, 0xe0, v14
	v_add_co_u32 v1, vcc_lo, 0x700, v1
	v_add_co_ci_u32_e64 v2, null, 0, v2, vcc_lo
	v_add_co_u32 v3, vcc_lo, 0x700, v3
	v_add_co_ci_u32_e64 v4, null, 0, v4, vcc_lo
	v_cmp_le_i32_e32 vcc_lo, s36, v14
	v_add_co_u32 v5, s3, 0x700, v5
	v_add_co_ci_u32_e64 v6, null, 0, v6, s3
	s_or_b32 s10, vcc_lo, s10
	s_waitcnt vmcnt(0)
	v_fma_f32 v9, v9, v15, v11
	v_fmac_f32_e32 v13, v7, v15
	v_fmac_f32_e32 v9, v10, v16
	;; [unrolled: 1-line block ×3, first 2 shown]
	v_cndmask_b32_e64 v11, v11, v9, s1
	s_andn2_b32 exec_lo, exec_lo, s10
	s_cbranch_execz .LBB28_14
.LBB28_12:                              ; =>This Inner Loop Header: Depth=1
	global_load_dwordx2 v[7:8], v[5:6], off offset:-4
	v_mov_b32_e32 v10, 0
	v_mov_b32_e32 v9, 0
	s_andn2_b32 vcc_lo, exec_lo, s1
	s_cbranch_vccnz .LBB28_11
; %bb.13:                               ;   in Loop: Header=BB28_12 Depth=1
	global_load_dwordx2 v[9:10], v[1:2], off offset:-4
	s_branch .LBB28_11
.LBB28_14:
	s_inst_prefetch 0x2
	s_or_b32 exec_lo, exec_lo, s10
.LBB28_15:
	s_or_b32 exec_lo, exec_lo, s8
	v_mbcnt_lo_u32_b32 v1, -1, 0
	s_load_dword s10, s[4:5], 0x30
	s_mov_b32 s3, -1
	v_xor_b32_e32 v2, 16, v1
	v_xor_b32_e32 v3, 8, v1
	v_cmp_gt_i32_e32 vcc_lo, 32, v2
	v_cndmask_b32_e32 v2, v1, v2, vcc_lo
	v_cmp_gt_i32_e32 vcc_lo, 32, v3
	v_lshlrev_b32_e32 v2, 2, v2
	v_cndmask_b32_e32 v3, v1, v3, vcc_lo
	ds_bpermute_b32 v4, v2, v13
	v_lshlrev_b32_e32 v3, 2, v3
	s_waitcnt lgkmcnt(0)
	v_add_f32_e32 v5, v13, v4
	v_xor_b32_e32 v4, 4, v1
	ds_bpermute_b32 v6, v3, v5
	v_cmp_gt_i32_e32 vcc_lo, 32, v4
	v_cndmask_b32_e32 v4, v1, v4, vcc_lo
	v_lshlrev_b32_e32 v4, 2, v4
	s_waitcnt lgkmcnt(0)
	v_add_f32_e32 v6, v5, v6
	v_xor_b32_e32 v5, 2, v1
	ds_bpermute_b32 v7, v4, v6
	v_cmp_gt_i32_e32 vcc_lo, 32, v5
	v_cndmask_b32_e32 v5, v1, v5, vcc_lo
	;; [unrolled: 7-line block ×3, first 2 shown]
	s_and_b32 vcc_lo, exec_lo, s9
	v_lshlrev_b32_e32 v6, 2, v1
	s_waitcnt lgkmcnt(0)
	v_add_f32_e32 v1, v7, v8
	v_lshrrev_b32_e32 v8, 5, v0
	ds_bpermute_b32 v7, v6, v1
	s_waitcnt lgkmcnt(0)
	v_add_f32_e32 v1, v1, v7
	v_lshl_add_u32 v7, v8, 2, 0
	s_cbranch_vccz .LBB28_17
; %bb.16:
	s_mov_b32 s3, 0
	ds_write_b32 v7, v1
.LBB28_17:
	s_andn2_b32 vcc_lo, exec_lo, s3
	s_cbranch_vccnz .LBB28_19
; %bb.18:
	ds_bpermute_b32 v8, v2, v11
	s_waitcnt lgkmcnt(0)
	v_add_f32_e32 v8, v11, v8
	ds_bpermute_b32 v9, v3, v8
	s_waitcnt lgkmcnt(0)
	v_add_f32_e32 v8, v8, v9
	;; [unrolled: 3-line block ×5, first 2 shown]
	ds_write2_b32 v7, v1, v11 offset1:32
.LBB28_19:
	s_waitcnt lgkmcnt(0)
	s_barrier
	buffer_gl0_inv
	s_and_saveexec_b32 s3, s2
	s_cbranch_execz .LBB28_23
; %bb.20:
	ds_read_b32 v1, v12
	s_andn2_b32 vcc_lo, exec_lo, s1
	s_waitcnt lgkmcnt(0)
	ds_bpermute_b32 v7, v2, v1
	s_waitcnt lgkmcnt(0)
	v_add_f32_e32 v1, v1, v7
	ds_bpermute_b32 v7, v3, v1
	s_waitcnt lgkmcnt(0)
	v_add_f32_e32 v1, v1, v7
	ds_bpermute_b32 v7, v4, v1
	s_waitcnt lgkmcnt(0)
	v_add_f32_e32 v1, v1, v7
	ds_bpermute_b32 v7, v5, v1
	s_waitcnt lgkmcnt(0)
	v_add_f32_e32 v1, v1, v7
	ds_bpermute_b32 v7, v6, v1
	s_cbranch_vccnz .LBB28_22
; %bb.21:
	ds_read_b32 v8, v12 offset:128
	s_waitcnt lgkmcnt(0)
	ds_bpermute_b32 v2, v2, v8
	s_waitcnt lgkmcnt(0)
	v_add_f32_e32 v2, v8, v2
	ds_bpermute_b32 v3, v3, v2
	s_waitcnt lgkmcnt(0)
	v_add_f32_e32 v2, v2, v3
	;; [unrolled: 3-line block ×5, first 2 shown]
.LBB28_22:
	s_waitcnt lgkmcnt(0)
	v_add_f32_e32 v1, v1, v7
.LBB28_23:
	s_or_b32 exec_lo, exec_lo, s3
	s_barrier
	buffer_gl0_inv
	s_mov_b32 s2, exec_lo
	v_cmpx_eq_u32_e32 0, v0
	s_cbranch_execz .LBB28_47
; %bb.24:
	s_cmp_eq_u64 s[18:19], 0
	s_mul_i32 s8, s7, s22
	s_cselect_b32 s2, -1, 0
	s_ashr_i32 s9, s8, 31
	s_mul_hi_i32 s3, s30, s11
	s_and_b32 vcc_lo, exec_lo, s2
	s_mul_i32 s2, s30, s11
	s_cbranch_vccnz .LBB28_26
; %bb.25:
	s_cselect_b32 s7, 0, s19
	s_cselect_b32 s11, 0, s18
	s_lshl_b64 s[12:13], s[2:3], 2
	s_add_u32 s11, s11, s12
	s_addc_u32 s7, s7, s13
	s_lshl_b64 s[12:13], s[8:9], 2
	s_add_u32 s11, s11, s12
	s_addc_u32 s14, s7, s13
	s_ashr_i32 s7, s6, 31
	s_lshl_b64 s[12:13], s[6:7], 2
	s_add_u32 s12, s11, s12
	s_addc_u32 s13, s14, s13
	s_load_dword s7, s[12:13], 0x0
	s_waitcnt lgkmcnt(0)
	v_add_f32_e32 v1, s7, v1
.LBB28_26:
	s_andn2_b32 vcc_lo, exec_lo, s1
	s_cbranch_vccnz .LBB28_46
; %bb.27:
	s_cmp_lg_u64 s[26:27], 0
	s_cselect_b32 s7, -1, 0
	s_and_b32 s1, s7, s1
	s_andn2_b32 vcc_lo, exec_lo, s1
	s_cbranch_vccnz .LBB28_29
; %bb.28:
	s_and_b32 s1, s7, exec_lo
	s_cselect_b32 s1, s27, 0
	s_cselect_b32 s7, s26, 0
	s_lshl_b64 s[12:13], s[2:3], 2
	s_add_u32 s7, s7, s12
	s_addc_u32 s1, s1, s13
	s_lshl_b64 s[8:9], s[8:9], 2
	s_add_u32 s11, s7, s8
	s_addc_u32 s1, s1, s9
	s_ashr_i32 s7, s6, 31
	s_lshl_b64 s[8:9], s[6:7], 2
	s_add_u32 s8, s11, s8
	s_addc_u32 s9, s1, s9
	s_load_dword s1, s[8:9], 0x0
	s_waitcnt lgkmcnt(0)
	v_add_f32_e32 v11, s1, v11
.LBB28_29:
	s_cmp_lt_i32 s10, 2
	s_cbranch_scc1 .LBB28_34
; %bb.30:
	s_cmp_lt_i32 s10, 3
	s_cbranch_scc1 .LBB28_35
; %bb.31:
	v_mov_b32_e32 v0, v1
	s_cmp_eq_u32 s10, 3
	s_cbranch_scc0 .LBB28_33
; %bb.32:
	v_max_f32_e32 v0, v11, v11
	v_min_f32_e32 v0, 0x40e00000, v0
	v_mul_f32_e32 v2, 0xbfd9db23, v0
	v_mul_f32_e32 v3, 0x3fb8aa3b, v2
	v_cmp_ngt_f32_e32 vcc_lo, 0xc2ce8ed0, v2
	v_fma_f32 v4, 0x3fb8aa3b, v2, -v3
	v_rndne_f32_e32 v5, v3
	v_fmamk_f32 v4, v2, 0x32a5705f, v4
	v_sub_f32_e32 v3, v3, v5
	v_add_f32_e32 v3, v3, v4
	v_cvt_i32_f32_e32 v4, v5
	v_exp_f32_e32 v3, v3
	v_ldexp_f32 v3, v3, v4
	v_cndmask_b32_e32 v3, 0, v3, vcc_lo
	v_cmp_nlt_f32_e32 vcc_lo, 0x42b17218, v2
	v_cndmask_b32_e32 v2, 0x7f800000, v3, vcc_lo
	v_add_f32_e32 v2, 1.0, v2
	v_div_scale_f32 v3, null, v2, v2, v0
	v_div_scale_f32 v6, vcc_lo, v0, v2, v0
	v_rcp_f32_e32 v4, v3
	v_fma_f32 v5, -v3, v4, 1.0
	v_fmac_f32_e32 v4, v5, v4
	v_mul_f32_e32 v5, v6, v4
	v_fma_f32 v7, -v3, v5, v6
	v_fmac_f32_e32 v5, v7, v4
	v_max_f32_e32 v7, v1, v1
	v_fma_f32 v3, -v3, v5, v6
	v_min_f32_e32 v6, 0x40e00000, v7
	v_div_fmas_f32 v3, v3, v4, v5
	v_max_f32_e32 v4, 0xc0e00000, v6
	v_div_fixup_f32 v0, v3, v2, v0
	v_add_f32_e32 v2, 1.0, v4
	v_mul_f32_e32 v0, v2, v0
.LBB28_33:
	s_cbranch_execz .LBB28_36
	s_branch .LBB28_37
.LBB28_34:
                                        ; implicit-def: $vgpr0
	s_branch .LBB28_38
.LBB28_35:
                                        ; implicit-def: $vgpr0
.LBB28_36:
	v_mul_f32_e32 v0, 0xbfb8aa3b, v11
	v_cmp_nlt_f32_e32 vcc_lo, 0x42ce8ed0, v11
	v_rndne_f32_e32 v2, v0
	v_fma_f32 v3, 0xbfb8aa3b, v11, -v0
	v_sub_f32_e32 v0, v0, v2
	v_fmamk_f32 v3, v11, 0xb2a5705f, v3
	v_cvt_i32_f32_e32 v2, v2
	v_add_f32_e32 v0, v0, v3
	v_exp_f32_e32 v0, v0
	v_ldexp_f32 v0, v0, v2
	v_cndmask_b32_e32 v0, 0, v0, vcc_lo
	v_cmp_ngt_f32_e32 vcc_lo, 0xc2b17218, v11
	v_cndmask_b32_e32 v0, 0x7f800000, v0, vcc_lo
	v_add_f32_e32 v0, 1.0, v0
	v_div_scale_f32 v2, null, v0, v0, v11
	v_rcp_f32_e32 v3, v2
	v_fma_f32 v4, -v2, v3, 1.0
	v_fmac_f32_e32 v3, v4, v3
	v_div_scale_f32 v4, vcc_lo, v11, v0, v11
	v_mul_f32_e32 v5, v4, v3
	v_fma_f32 v6, -v2, v5, v4
	v_fmac_f32_e32 v5, v6, v3
	v_fma_f32 v2, -v2, v5, v4
	v_div_fmas_f32 v2, v2, v3, v5
	v_div_fixup_f32 v0, v2, v0, v11
	v_mul_f32_e32 v0, v1, v0
.LBB28_37:
	s_cbranch_execnz .LBB28_45
.LBB28_38:
	s_cmp_eq_u32 s10, 1
	s_cbranch_scc0 .LBB28_44
; %bb.39:
	v_mul_f32_e32 v0, 0x3d372713, v11
	v_mul_f32_e32 v2, 0x3f4c422a, v11
	v_fma_f32 v0, v11, v0, 1.0
	v_mul_f32_e32 v0, v2, v0
                                        ; implicit-def: $vgpr2
	v_cmp_ngt_f32_e64 s1, 0x3f200000, |v0|
	s_and_saveexec_b32 s7, s1
	s_xor_b32 s1, exec_lo, s7
	s_cbranch_execz .LBB28_41
; %bb.40:
	v_add_f32_e64 v2, |v0|, |v0|
	v_mul_f32_e32 v3, 0x3fb8aa3b, v2
	v_cmp_ngt_f32_e32 vcc_lo, 0xc2ce8ed0, v2
	v_rndne_f32_e32 v4, v3
	v_fma_f32 v5, 0x3fb8aa3b, v2, -v3
	v_sub_f32_e32 v3, v3, v4
	v_fmamk_f32 v5, v2, 0x32a5705f, v5
	v_cvt_i32_f32_e32 v4, v4
	v_add_f32_e32 v3, v3, v5
	v_exp_f32_e32 v3, v3
	v_ldexp_f32 v3, v3, v4
	v_cndmask_b32_e32 v3, 0, v3, vcc_lo
	v_cmp_nlt_f32_e32 vcc_lo, 0x42b17218, v2
	v_cndmask_b32_e32 v2, 0x7f800000, v3, vcc_lo
	v_add_f32_e32 v2, 1.0, v2
	v_rcp_f32_e32 v2, v2
	v_fma_f32 v2, v2, -2.0, 1.0
.LBB28_41:
	s_andn2_saveexec_b32 s1, s1
	s_cbranch_execz .LBB28_43
; %bb.42:
	v_mul_f32_e32 v2, v0, v0
	s_mov_b32 s7, 0xbbbac73d
	v_fmaak_f32 v3, s7, v2, 0x3ca908c9
	v_fmaak_f32 v3, v2, v3, 0xbd5c1c4e
	;; [unrolled: 1-line block ×4, first 2 shown]
	v_mul_f32_e64 v3, |v0|, v3
	v_fma_f32 v2, v2, v3, |v0|
.LBB28_43:
	s_or_b32 exec_lo, exec_lo, s1
	v_bfi_b32 v0, 0x7fffffff, v2, v0
	v_mul_f32_e32 v2, 0.5, v11
	v_add_f32_e32 v0, 1.0, v0
	v_mul_f32_e32 v0, v2, v0
	v_mul_f32_e32 v1, v1, v0
.LBB28_44:
	v_mov_b32_e32 v0, v1
.LBB28_45:
	v_mov_b32_e32 v1, v0
.LBB28_46:
	s_load_dwordx2 s[4:5], s[4:5], 0x38
	s_mul_i32 s0, s22, s0
	s_lshl_b64 s[2:3], s[2:3], 2
	s_ashr_i32 s1, s0, 31
	v_mov_b32_e32 v0, 0
	s_waitcnt lgkmcnt(0)
	s_add_u32 s2, s4, s2
	s_addc_u32 s3, s5, s3
	s_lshl_b64 s[0:1], s[0:1], 2
	s_add_u32 s2, s2, s0
	s_addc_u32 s3, s3, s1
	s_ashr_i32 s7, s6, 31
	s_lshl_b64 s[0:1], s[6:7], 2
	s_add_u32 s0, s2, s0
	s_addc_u32 s1, s3, s1
	global_store_dword v0, v1, s[0:1]
.LBB28_47:
	s_endpgm
	.section	.rodata,"a",@progbits
	.p2align	6, 0x0
	.amdhsa_kernel _ZL13mul_mat_vec_fIffLi1ELi224ELb1ELb0EEvPKT_PKfPKi31ggml_cuda_mm_fusion_args_devicePfi15HIP_vector_typeIjLj3EEiiiSA_iiiSA_iiii
		.amdhsa_group_segment_fixed_size 0
		.amdhsa_private_segment_fixed_size 0
		.amdhsa_kernarg_size 144
		.amdhsa_user_sgpr_count 6
		.amdhsa_user_sgpr_private_segment_buffer 1
		.amdhsa_user_sgpr_dispatch_ptr 0
		.amdhsa_user_sgpr_queue_ptr 0
		.amdhsa_user_sgpr_kernarg_segment_ptr 1
		.amdhsa_user_sgpr_dispatch_id 0
		.amdhsa_user_sgpr_flat_scratch_init 0
		.amdhsa_user_sgpr_private_segment_size 0
		.amdhsa_wavefront_size32 1
		.amdhsa_uses_dynamic_stack 0
		.amdhsa_system_sgpr_private_segment_wavefront_offset 0
		.amdhsa_system_sgpr_workgroup_id_x 1
		.amdhsa_system_sgpr_workgroup_id_y 1
		.amdhsa_system_sgpr_workgroup_id_z 1
		.amdhsa_system_sgpr_workgroup_info 0
		.amdhsa_system_vgpr_workitem_id 0
		.amdhsa_next_free_vgpr 17
		.amdhsa_next_free_sgpr 40
		.amdhsa_reserve_vcc 1
		.amdhsa_reserve_flat_scratch 0
		.amdhsa_float_round_mode_32 0
		.amdhsa_float_round_mode_16_64 0
		.amdhsa_float_denorm_mode_32 3
		.amdhsa_float_denorm_mode_16_64 3
		.amdhsa_dx10_clamp 1
		.amdhsa_ieee_mode 1
		.amdhsa_fp16_overflow 0
		.amdhsa_workgroup_processor_mode 1
		.amdhsa_memory_ordered 1
		.amdhsa_forward_progress 1
		.amdhsa_shared_vgpr_count 0
		.amdhsa_exception_fp_ieee_invalid_op 0
		.amdhsa_exception_fp_denorm_src 0
		.amdhsa_exception_fp_ieee_div_zero 0
		.amdhsa_exception_fp_ieee_overflow 0
		.amdhsa_exception_fp_ieee_underflow 0
		.amdhsa_exception_fp_ieee_inexact 0
		.amdhsa_exception_int_div_zero 0
	.end_amdhsa_kernel
	.section	.text._ZL13mul_mat_vec_fIffLi1ELi224ELb1ELb0EEvPKT_PKfPKi31ggml_cuda_mm_fusion_args_devicePfi15HIP_vector_typeIjLj3EEiiiSA_iiiSA_iiii,"axG",@progbits,_ZL13mul_mat_vec_fIffLi1ELi224ELb1ELb0EEvPKT_PKfPKi31ggml_cuda_mm_fusion_args_devicePfi15HIP_vector_typeIjLj3EEiiiSA_iiiSA_iiii,comdat
.Lfunc_end28:
	.size	_ZL13mul_mat_vec_fIffLi1ELi224ELb1ELb0EEvPKT_PKfPKi31ggml_cuda_mm_fusion_args_devicePfi15HIP_vector_typeIjLj3EEiiiSA_iiiSA_iiii, .Lfunc_end28-_ZL13mul_mat_vec_fIffLi1ELi224ELb1ELb0EEvPKT_PKfPKi31ggml_cuda_mm_fusion_args_devicePfi15HIP_vector_typeIjLj3EEiiiSA_iiiSA_iiii
                                        ; -- End function
	.set _ZL13mul_mat_vec_fIffLi1ELi224ELb1ELb0EEvPKT_PKfPKi31ggml_cuda_mm_fusion_args_devicePfi15HIP_vector_typeIjLj3EEiiiSA_iiiSA_iiii.num_vgpr, 17
	.set _ZL13mul_mat_vec_fIffLi1ELi224ELb1ELb0EEvPKT_PKfPKi31ggml_cuda_mm_fusion_args_devicePfi15HIP_vector_typeIjLj3EEiiiSA_iiiSA_iiii.num_agpr, 0
	.set _ZL13mul_mat_vec_fIffLi1ELi224ELb1ELb0EEvPKT_PKfPKi31ggml_cuda_mm_fusion_args_devicePfi15HIP_vector_typeIjLj3EEiiiSA_iiiSA_iiii.numbered_sgpr, 40
	.set _ZL13mul_mat_vec_fIffLi1ELi224ELb1ELb0EEvPKT_PKfPKi31ggml_cuda_mm_fusion_args_devicePfi15HIP_vector_typeIjLj3EEiiiSA_iiiSA_iiii.num_named_barrier, 0
	.set _ZL13mul_mat_vec_fIffLi1ELi224ELb1ELb0EEvPKT_PKfPKi31ggml_cuda_mm_fusion_args_devicePfi15HIP_vector_typeIjLj3EEiiiSA_iiiSA_iiii.private_seg_size, 0
	.set _ZL13mul_mat_vec_fIffLi1ELi224ELb1ELb0EEvPKT_PKfPKi31ggml_cuda_mm_fusion_args_devicePfi15HIP_vector_typeIjLj3EEiiiSA_iiiSA_iiii.uses_vcc, 1
	.set _ZL13mul_mat_vec_fIffLi1ELi224ELb1ELb0EEvPKT_PKfPKi31ggml_cuda_mm_fusion_args_devicePfi15HIP_vector_typeIjLj3EEiiiSA_iiiSA_iiii.uses_flat_scratch, 0
	.set _ZL13mul_mat_vec_fIffLi1ELi224ELb1ELb0EEvPKT_PKfPKi31ggml_cuda_mm_fusion_args_devicePfi15HIP_vector_typeIjLj3EEiiiSA_iiiSA_iiii.has_dyn_sized_stack, 0
	.set _ZL13mul_mat_vec_fIffLi1ELi224ELb1ELb0EEvPKT_PKfPKi31ggml_cuda_mm_fusion_args_devicePfi15HIP_vector_typeIjLj3EEiiiSA_iiiSA_iiii.has_recursion, 0
	.set _ZL13mul_mat_vec_fIffLi1ELi224ELb1ELb0EEvPKT_PKfPKi31ggml_cuda_mm_fusion_args_devicePfi15HIP_vector_typeIjLj3EEiiiSA_iiiSA_iiii.has_indirect_call, 0
	.section	.AMDGPU.csdata,"",@progbits
; Kernel info:
; codeLenInByte = 2324
; TotalNumSgprs: 42
; NumVgprs: 17
; ScratchSize: 0
; MemoryBound: 0
; FloatMode: 240
; IeeeMode: 1
; LDSByteSize: 0 bytes/workgroup (compile time only)
; SGPRBlocks: 0
; VGPRBlocks: 2
; NumSGPRsForWavesPerEU: 42
; NumVGPRsForWavesPerEU: 17
; Occupancy: 16
; WaveLimiterHint : 1
; COMPUTE_PGM_RSRC2:SCRATCH_EN: 0
; COMPUTE_PGM_RSRC2:USER_SGPR: 6
; COMPUTE_PGM_RSRC2:TRAP_HANDLER: 0
; COMPUTE_PGM_RSRC2:TGID_X_EN: 1
; COMPUTE_PGM_RSRC2:TGID_Y_EN: 1
; COMPUTE_PGM_RSRC2:TGID_Z_EN: 1
; COMPUTE_PGM_RSRC2:TIDIG_COMP_CNT: 0
	.section	.text._ZL13mul_mat_vec_fIffLi1ELi224ELb0ELb0EEvPKT_PKfPKi31ggml_cuda_mm_fusion_args_devicePfi15HIP_vector_typeIjLj3EEiiiSA_iiiSA_iiii,"axG",@progbits,_ZL13mul_mat_vec_fIffLi1ELi224ELb0ELb0EEvPKT_PKfPKi31ggml_cuda_mm_fusion_args_devicePfi15HIP_vector_typeIjLj3EEiiiSA_iiiSA_iiii,comdat
	.globl	_ZL13mul_mat_vec_fIffLi1ELi224ELb0ELb0EEvPKT_PKfPKi31ggml_cuda_mm_fusion_args_devicePfi15HIP_vector_typeIjLj3EEiiiSA_iiiSA_iiii ; -- Begin function _ZL13mul_mat_vec_fIffLi1ELi224ELb0ELb0EEvPKT_PKfPKi31ggml_cuda_mm_fusion_args_devicePfi15HIP_vector_typeIjLj3EEiiiSA_iiiSA_iiii
	.p2align	8
	.type	_ZL13mul_mat_vec_fIffLi1ELi224ELb0ELb0EEvPKT_PKfPKi31ggml_cuda_mm_fusion_args_devicePfi15HIP_vector_typeIjLj3EEiiiSA_iiiSA_iiii,@function
_ZL13mul_mat_vec_fIffLi1ELi224ELb0ELb0EEvPKT_PKfPKi31ggml_cuda_mm_fusion_args_devicePfi15HIP_vector_typeIjLj3EEiiiSA_iiiSA_iiii: ; @_ZL13mul_mat_vec_fIffLi1ELi224ELb0ELb0EEvPKT_PKfPKi31ggml_cuda_mm_fusion_args_devicePfi15HIP_vector_typeIjLj3EEiiiSA_iiiSA_iiii
; %bb.0:
	s_clause 0x2
	s_load_dwordx2 s[2:3], s[4:5], 0x10
	s_load_dwordx4 s[20:23], s[4:5], 0x40
	s_load_dwordx4 s[12:15], s[4:5], 0x80
	s_waitcnt lgkmcnt(0)
	s_cmp_eq_u64 s[2:3], 0
	s_cselect_b32 s10, -1, 0
	s_cmp_lg_u64 s[2:3], 0
	s_cselect_b32 s9, -1, 0
	s_and_b32 vcc_lo, exec_lo, s10
	s_cbranch_vccnz .LBB29_2
; %bb.1:
	s_mul_i32 s0, s15, s8
	s_mov_b32 s1, 0
	s_add_i32 s0, s0, s7
	s_lshl_b64 s[16:17], s[0:1], 2
	s_add_u32 s2, s2, s16
	s_addc_u32 s3, s3, s17
	s_load_dword s15, s[2:3], 0x0
	s_load_dword s24, s[4:5], 0x50
	s_cbranch_execz .LBB29_3
	s_branch .LBB29_4
.LBB29_2:
                                        ; implicit-def: $sgpr15
	s_load_dword s24, s[4:5], 0x50
.LBB29_3:
	s_load_dwordx2 s[0:1], s[4:5], 0x5c
	s_waitcnt lgkmcnt(0)
	s_mul_hi_u32 s0, s0, s7
	s_add_i32 s0, s7, s0
	s_lshr_b32 s15, s0, s1
.LBB29_4:
	s_load_dwordx4 s[16:19], s[4:5], 0x68
	s_andn2_b32 vcc_lo, exec_lo, s9
	s_mov_b32 s25, s7
	s_cbranch_vccnz .LBB29_6
; %bb.5:
	s_mul_hi_u32 s0, s21, s7
	s_add_i32 s0, s7, s0
	s_lshr_b32 s0, s0, s22
	s_mul_i32 s0, s0, s23
	s_sub_i32 s25, s7, s0
.LBB29_6:
	s_load_dword s11, s[4:5], 0x78
	v_cmp_gt_u32_e32 vcc_lo, 32, v0
	v_lshl_add_u32 v5, v0, 2, 0
	s_and_saveexec_b32 s0, vcc_lo
; %bb.7:
	v_mov_b32_e32 v1, 0
	ds_write_b32 v5, v1
; %bb.8:
	s_or_b32 exec_lo, exec_lo, s0
	v_mov_b32_e32 v6, 0
	s_and_b32 s0, exec_lo, s10
	s_mov_b32 s9, 0
	s_cselect_b32 s8, s8, 0
	s_mov_b32 s10, exec_lo
	s_waitcnt lgkmcnt(0)
	s_barrier
	buffer_gl0_inv
	v_cmpx_gt_i32_e64 s20, v0
	s_cbranch_execz .LBB29_12
; %bb.9:
	s_load_dwordx4 s[0:3], s[4:5], 0x0
	s_mul_hi_u32 s19, s19, s8
	s_mul_i32 s16, s15, s16
	s_add_i32 s15, s8, s19
	s_mul_i32 s22, s24, s6
	s_lshr_b32 s11, s15, s11
	s_mul_i32 s24, s25, s17
	s_ashr_i32 s17, s16, 31
	s_ashr_i32 s23, s22, 31
	s_mul_hi_i32 s29, s11, s12
	s_mul_i32 s28, s11, s12
	s_lshl_b64 s[16:17], s[16:17], 2
	s_ashr_i32 s25, s24, 31
	s_lshl_b64 s[22:23], s[22:23], 2
	s_lshl_b64 s[28:29], s[28:29], 2
	v_lshlrev_b32_e32 v1, 3, v0
	s_mul_hi_i32 s27, s8, s13
	s_mul_i32 s26, s8, s13
	v_mov_b32_e32 v6, 0
	s_waitcnt lgkmcnt(0)
	s_add_u32 s0, s0, s16
	s_addc_u32 s1, s1, s17
	s_add_u32 s0, s0, s22
	s_addc_u32 s1, s1, s23
	;; [unrolled: 2-line block ×3, first 2 shown]
	v_add_co_u32 v2, s0, s0, v1
	v_add_co_ci_u32_e64 v3, null, s1, 0, s0
	s_lshl_b64 s[0:1], s[24:25], 2
	s_lshl_b64 s[12:13], s[26:27], 2
	s_add_u32 s0, s2, s0
	s_addc_u32 s1, s3, s1
	s_add_u32 s0, s0, s12
	s_addc_u32 s1, s1, s13
	v_add_co_u32 v4, s0, s0, v1
	v_add_co_ci_u32_e64 v7, null, s1, 0, s0
	v_add_co_u32 v1, s0, v2, 4
	v_add_co_ci_u32_e64 v2, null, 0, v3, s0
	;; [unrolled: 2-line block ×3, first 2 shown]
	v_mov_b32_e32 v7, v0
	.p2align	6
.LBB29_10:                              ; =>This Inner Loop Header: Depth=1
	global_load_dwordx2 v[8:9], v[1:2], off offset:-4
	global_load_dwordx2 v[10:11], v[3:4], off offset:-4
	v_add_nc_u32_e32 v7, 0xe0, v7
	v_add_co_u32 v1, s0, 0x700, v1
	v_add_co_ci_u32_e64 v2, null, 0, v2, s0
	v_add_co_u32 v3, s0, 0x700, v3
	v_cmp_le_i32_e64 s1, s20, v7
	v_add_co_ci_u32_e64 v4, null, 0, v4, s0
	s_or_b32 s9, s1, s9
	s_waitcnt vmcnt(0)
	v_fmac_f32_e32 v6, v8, v10
	v_fmac_f32_e32 v6, v9, v11
	s_andn2_b32 exec_lo, exec_lo, s9
	s_cbranch_execnz .LBB29_10
; %bb.11:
	s_or_b32 exec_lo, exec_lo, s9
.LBB29_12:
	s_or_b32 exec_lo, exec_lo, s10
	v_mbcnt_lo_u32_b32 v2, -1, 0
	v_xor_b32_e32 v1, 16, v2
	v_xor_b32_e32 v3, 8, v2
	v_cmp_gt_i32_e64 s0, 32, v1
	v_cndmask_b32_e64 v1, v2, v1, s0
	v_cmp_gt_i32_e64 s0, 32, v3
	v_lshlrev_b32_e32 v1, 2, v1
	v_cndmask_b32_e64 v3, v2, v3, s0
	ds_bpermute_b32 v4, v1, v6
	v_lshlrev_b32_e32 v3, 2, v3
	s_waitcnt lgkmcnt(0)
	v_add_f32_e32 v6, v6, v4
	v_xor_b32_e32 v4, 4, v2
	ds_bpermute_b32 v7, v3, v6
	v_cmp_gt_i32_e64 s0, 32, v4
	v_cndmask_b32_e64 v4, v2, v4, s0
	v_lshlrev_b32_e32 v4, 2, v4
	s_waitcnt lgkmcnt(0)
	v_add_f32_e32 v7, v6, v7
	v_xor_b32_e32 v6, 2, v2
	ds_bpermute_b32 v8, v4, v7
	v_cmp_gt_i32_e64 s0, 32, v6
	v_cndmask_b32_e64 v6, v2, v6, s0
	v_lshlrev_b32_e32 v6, 2, v6
	s_waitcnt lgkmcnt(0)
	v_add_f32_e32 v8, v7, v8
	v_xor_b32_e32 v7, 1, v2
	ds_bpermute_b32 v9, v6, v8
	v_cmp_gt_i32_e64 s0, 32, v7
	v_cndmask_b32_e64 v2, v2, v7, s0
	v_lshlrev_b32_e32 v7, 2, v2
	s_waitcnt lgkmcnt(0)
	v_add_f32_e32 v2, v8, v9
	v_lshrrev_b32_e32 v9, 3, v0
	ds_bpermute_b32 v8, v7, v2
	v_and_b32_e32 v9, 0x7c, v9
	v_add_nc_u32_e32 v9, 0, v9
	s_waitcnt lgkmcnt(0)
	v_add_f32_e32 v2, v2, v8
	ds_write_b32 v9, v2
	s_waitcnt lgkmcnt(0)
	s_barrier
	buffer_gl0_inv
	s_and_saveexec_b32 s0, vcc_lo
	s_cbranch_execz .LBB29_14
; %bb.13:
	ds_read_b32 v2, v5
	s_waitcnt lgkmcnt(0)
	ds_bpermute_b32 v1, v1, v2
	s_waitcnt lgkmcnt(0)
	v_add_f32_e32 v1, v2, v1
	ds_bpermute_b32 v2, v3, v1
	s_waitcnt lgkmcnt(0)
	v_add_f32_e32 v1, v1, v2
	;; [unrolled: 3-line block ×5, first 2 shown]
.LBB29_14:
	s_or_b32 exec_lo, exec_lo, s0
	s_barrier
	buffer_gl0_inv
	s_mov_b32 s0, exec_lo
	v_cmpx_eq_u32_e32 0, v0
	s_cbranch_execz .LBB29_16
; %bb.15:
	s_load_dwordx2 s[0:1], s[4:5], 0x38
	s_mul_hi_i32 s3, s14, s8
	s_mul_i32 s2, s14, s8
	s_mul_i32 s4, s18, s7
	s_lshl_b64 s[2:3], s[2:3], 2
	s_ashr_i32 s5, s4, 31
	v_mov_b32_e32 v0, 0
	s_waitcnt lgkmcnt(0)
	s_add_u32 s2, s0, s2
	s_addc_u32 s3, s1, s3
	s_lshl_b64 s[0:1], s[4:5], 2
	s_add_u32 s2, s2, s0
	s_addc_u32 s3, s3, s1
	s_ashr_i32 s7, s6, 31
	s_lshl_b64 s[0:1], s[6:7], 2
	s_add_u32 s0, s2, s0
	s_addc_u32 s1, s3, s1
	global_store_dword v0, v2, s[0:1]
.LBB29_16:
	s_endpgm
	.section	.rodata,"a",@progbits
	.p2align	6, 0x0
	.amdhsa_kernel _ZL13mul_mat_vec_fIffLi1ELi224ELb0ELb0EEvPKT_PKfPKi31ggml_cuda_mm_fusion_args_devicePfi15HIP_vector_typeIjLj3EEiiiSA_iiiSA_iiii
		.amdhsa_group_segment_fixed_size 0
		.amdhsa_private_segment_fixed_size 0
		.amdhsa_kernarg_size 144
		.amdhsa_user_sgpr_count 6
		.amdhsa_user_sgpr_private_segment_buffer 1
		.amdhsa_user_sgpr_dispatch_ptr 0
		.amdhsa_user_sgpr_queue_ptr 0
		.amdhsa_user_sgpr_kernarg_segment_ptr 1
		.amdhsa_user_sgpr_dispatch_id 0
		.amdhsa_user_sgpr_flat_scratch_init 0
		.amdhsa_user_sgpr_private_segment_size 0
		.amdhsa_wavefront_size32 1
		.amdhsa_uses_dynamic_stack 0
		.amdhsa_system_sgpr_private_segment_wavefront_offset 0
		.amdhsa_system_sgpr_workgroup_id_x 1
		.amdhsa_system_sgpr_workgroup_id_y 1
		.amdhsa_system_sgpr_workgroup_id_z 1
		.amdhsa_system_sgpr_workgroup_info 0
		.amdhsa_system_vgpr_workitem_id 0
		.amdhsa_next_free_vgpr 12
		.amdhsa_next_free_sgpr 30
		.amdhsa_reserve_vcc 1
		.amdhsa_reserve_flat_scratch 0
		.amdhsa_float_round_mode_32 0
		.amdhsa_float_round_mode_16_64 0
		.amdhsa_float_denorm_mode_32 3
		.amdhsa_float_denorm_mode_16_64 3
		.amdhsa_dx10_clamp 1
		.amdhsa_ieee_mode 1
		.amdhsa_fp16_overflow 0
		.amdhsa_workgroup_processor_mode 1
		.amdhsa_memory_ordered 1
		.amdhsa_forward_progress 1
		.amdhsa_shared_vgpr_count 0
		.amdhsa_exception_fp_ieee_invalid_op 0
		.amdhsa_exception_fp_denorm_src 0
		.amdhsa_exception_fp_ieee_div_zero 0
		.amdhsa_exception_fp_ieee_overflow 0
		.amdhsa_exception_fp_ieee_underflow 0
		.amdhsa_exception_fp_ieee_inexact 0
		.amdhsa_exception_int_div_zero 0
	.end_amdhsa_kernel
	.section	.text._ZL13mul_mat_vec_fIffLi1ELi224ELb0ELb0EEvPKT_PKfPKi31ggml_cuda_mm_fusion_args_devicePfi15HIP_vector_typeIjLj3EEiiiSA_iiiSA_iiii,"axG",@progbits,_ZL13mul_mat_vec_fIffLi1ELi224ELb0ELb0EEvPKT_PKfPKi31ggml_cuda_mm_fusion_args_devicePfi15HIP_vector_typeIjLj3EEiiiSA_iiiSA_iiii,comdat
.Lfunc_end29:
	.size	_ZL13mul_mat_vec_fIffLi1ELi224ELb0ELb0EEvPKT_PKfPKi31ggml_cuda_mm_fusion_args_devicePfi15HIP_vector_typeIjLj3EEiiiSA_iiiSA_iiii, .Lfunc_end29-_ZL13mul_mat_vec_fIffLi1ELi224ELb0ELb0EEvPKT_PKfPKi31ggml_cuda_mm_fusion_args_devicePfi15HIP_vector_typeIjLj3EEiiiSA_iiiSA_iiii
                                        ; -- End function
	.set _ZL13mul_mat_vec_fIffLi1ELi224ELb0ELb0EEvPKT_PKfPKi31ggml_cuda_mm_fusion_args_devicePfi15HIP_vector_typeIjLj3EEiiiSA_iiiSA_iiii.num_vgpr, 12
	.set _ZL13mul_mat_vec_fIffLi1ELi224ELb0ELb0EEvPKT_PKfPKi31ggml_cuda_mm_fusion_args_devicePfi15HIP_vector_typeIjLj3EEiiiSA_iiiSA_iiii.num_agpr, 0
	.set _ZL13mul_mat_vec_fIffLi1ELi224ELb0ELb0EEvPKT_PKfPKi31ggml_cuda_mm_fusion_args_devicePfi15HIP_vector_typeIjLj3EEiiiSA_iiiSA_iiii.numbered_sgpr, 30
	.set _ZL13mul_mat_vec_fIffLi1ELi224ELb0ELb0EEvPKT_PKfPKi31ggml_cuda_mm_fusion_args_devicePfi15HIP_vector_typeIjLj3EEiiiSA_iiiSA_iiii.num_named_barrier, 0
	.set _ZL13mul_mat_vec_fIffLi1ELi224ELb0ELb0EEvPKT_PKfPKi31ggml_cuda_mm_fusion_args_devicePfi15HIP_vector_typeIjLj3EEiiiSA_iiiSA_iiii.private_seg_size, 0
	.set _ZL13mul_mat_vec_fIffLi1ELi224ELb0ELb0EEvPKT_PKfPKi31ggml_cuda_mm_fusion_args_devicePfi15HIP_vector_typeIjLj3EEiiiSA_iiiSA_iiii.uses_vcc, 1
	.set _ZL13mul_mat_vec_fIffLi1ELi224ELb0ELb0EEvPKT_PKfPKi31ggml_cuda_mm_fusion_args_devicePfi15HIP_vector_typeIjLj3EEiiiSA_iiiSA_iiii.uses_flat_scratch, 0
	.set _ZL13mul_mat_vec_fIffLi1ELi224ELb0ELb0EEvPKT_PKfPKi31ggml_cuda_mm_fusion_args_devicePfi15HIP_vector_typeIjLj3EEiiiSA_iiiSA_iiii.has_dyn_sized_stack, 0
	.set _ZL13mul_mat_vec_fIffLi1ELi224ELb0ELb0EEvPKT_PKfPKi31ggml_cuda_mm_fusion_args_devicePfi15HIP_vector_typeIjLj3EEiiiSA_iiiSA_iiii.has_recursion, 0
	.set _ZL13mul_mat_vec_fIffLi1ELi224ELb0ELb0EEvPKT_PKfPKi31ggml_cuda_mm_fusion_args_devicePfi15HIP_vector_typeIjLj3EEiiiSA_iiiSA_iiii.has_indirect_call, 0
	.section	.AMDGPU.csdata,"",@progbits
; Kernel info:
; codeLenInByte = 1076
; TotalNumSgprs: 32
; NumVgprs: 12
; ScratchSize: 0
; MemoryBound: 0
; FloatMode: 240
; IeeeMode: 1
; LDSByteSize: 0 bytes/workgroup (compile time only)
; SGPRBlocks: 0
; VGPRBlocks: 1
; NumSGPRsForWavesPerEU: 32
; NumVGPRsForWavesPerEU: 12
; Occupancy: 16
; WaveLimiterHint : 0
; COMPUTE_PGM_RSRC2:SCRATCH_EN: 0
; COMPUTE_PGM_RSRC2:USER_SGPR: 6
; COMPUTE_PGM_RSRC2:TRAP_HANDLER: 0
; COMPUTE_PGM_RSRC2:TGID_X_EN: 1
; COMPUTE_PGM_RSRC2:TGID_Y_EN: 1
; COMPUTE_PGM_RSRC2:TGID_Z_EN: 1
; COMPUTE_PGM_RSRC2:TIDIG_COMP_CNT: 0
	.section	.text._ZL13mul_mat_vec_fIffLi1ELi256ELb1ELb0EEvPKT_PKfPKi31ggml_cuda_mm_fusion_args_devicePfi15HIP_vector_typeIjLj3EEiiiSA_iiiSA_iiii,"axG",@progbits,_ZL13mul_mat_vec_fIffLi1ELi256ELb1ELb0EEvPKT_PKfPKi31ggml_cuda_mm_fusion_args_devicePfi15HIP_vector_typeIjLj3EEiiiSA_iiiSA_iiii,comdat
	.globl	_ZL13mul_mat_vec_fIffLi1ELi256ELb1ELb0EEvPKT_PKfPKi31ggml_cuda_mm_fusion_args_devicePfi15HIP_vector_typeIjLj3EEiiiSA_iiiSA_iiii ; -- Begin function _ZL13mul_mat_vec_fIffLi1ELi256ELb1ELb0EEvPKT_PKfPKi31ggml_cuda_mm_fusion_args_devicePfi15HIP_vector_typeIjLj3EEiiiSA_iiiSA_iiii
	.p2align	8
	.type	_ZL13mul_mat_vec_fIffLi1ELi256ELb1ELb0EEvPKT_PKfPKi31ggml_cuda_mm_fusion_args_devicePfi15HIP_vector_typeIjLj3EEiiiSA_iiiSA_iiii,@function
_ZL13mul_mat_vec_fIffLi1ELi256ELb1ELb0EEvPKT_PKfPKi31ggml_cuda_mm_fusion_args_devicePfi15HIP_vector_typeIjLj3EEiiiSA_iiiSA_iiii: ; @_ZL13mul_mat_vec_fIffLi1ELi256ELb1ELb0EEvPKT_PKfPKi31ggml_cuda_mm_fusion_args_devicePfi15HIP_vector_typeIjLj3EEiiiSA_iiiSA_iiii
; %bb.0:
	s_clause 0x3
	s_load_dwordx8 s[12:19], s[4:5], 0x0
	s_load_dwordx4 s[24:27], s[4:5], 0x20
	s_load_dwordx4 s[36:39], s[4:5], 0x40
	;; [unrolled: 1-line block ×3, first 2 shown]
	s_mov_b32 s0, s7
	s_waitcnt lgkmcnt(0)
	s_cmp_eq_u64 s[16:17], 0
	s_cselect_b32 s11, -1, 0
	s_cmp_lg_u64 s[16:17], 0
	s_cselect_b32 s1, -1, 0
	s_and_b32 vcc_lo, exec_lo, s11
	s_cbranch_vccnz .LBB30_2
; %bb.1:
	s_mul_i32 s2, s31, s8
	s_mov_b32 s3, 0
	s_add_i32 s2, s2, s0
	s_lshl_b64 s[20:21], s[2:3], 2
	s_add_u32 s16, s16, s20
	s_addc_u32 s17, s17, s21
	s_load_dword s7, s[16:17], 0x0
	s_load_dword s16, s[4:5], 0x50
	s_waitcnt lgkmcnt(0)
	s_mov_b32 s3, s7
	s_cbranch_execz .LBB30_3
	s_branch .LBB30_4
.LBB30_2:
                                        ; implicit-def: $sgpr7
	s_load_dword s16, s[4:5], 0x50
	s_mov_b32 s3, s7
.LBB30_3:
	s_load_dwordx2 s[2:3], s[4:5], 0x5c
	s_mov_b32 s7, s0
	s_waitcnt lgkmcnt(0)
	s_mul_hi_u32 s2, s2, s0
	s_add_i32 s2, s0, s2
	s_lshr_b32 s3, s2, s3
.LBB30_4:
	s_load_dwordx4 s[20:23], s[4:5], 0x68
	s_andn2_b32 vcc_lo, exec_lo, s1
	s_mov_b32 s17, s0
	s_cbranch_vccnz .LBB30_6
; %bb.5:
	s_mul_hi_u32 s1, s37, s0
	s_add_i32 s1, s0, s1
	s_lshr_b32 s1, s1, s38
	s_mul_i32 s1, s1, s39
	s_sub_i32 s17, s0, s1
.LBB30_6:
	s_load_dword s31, s[4:5], 0x78
	s_cmp_lg_u64 s[24:25], 0
	v_cmp_gt_u32_e64 s2, 32, v0
	v_lshl_add_u32 v12, v0, 2, 0
	s_cselect_b32 s1, -1, 0
	s_cmp_eq_u64 s[24:25], 0
	s_cselect_b32 s9, -1, 0
	s_and_saveexec_b32 s10, s2
	s_cbranch_execz .LBB30_9
; %bb.7:
	v_mov_b32_e32 v1, 0
	s_andn2_b32 vcc_lo, exec_lo, s1
	ds_write_b32 v12, v1
	s_cbranch_vccnz .LBB30_9
; %bb.8:
	ds_write_b32 v12, v1 offset:128
.LBB30_9:
	s_or_b32 exec_lo, exec_lo, s10
	v_mov_b32_e32 v11, 0
	v_mov_b32_e32 v13, 0
	s_and_b32 s11, exec_lo, s11
	s_mov_b32 s10, 0
	s_cselect_b32 s11, s8, 0
	s_mov_b32 s8, exec_lo
	s_waitcnt lgkmcnt(0)
	s_barrier
	buffer_gl0_inv
	v_cmpx_gt_i32_e64 s36, v0
	s_cbranch_execz .LBB30_15
; %bb.10:
	s_mul_hi_u32 s23, s23, s11
	s_mul_i32 s3, s3, s20
	s_add_i32 s23, s11, s23
	s_mul_i32 s16, s16, s6
	s_lshr_b32 s20, s23, s31
	s_ashr_i32 s31, s16, 31
	s_mul_hi_i32 s23, s20, s28
	s_mul_i32 s20, s20, s28
	s_ashr_i32 s28, s3, 31
	s_add_u32 s16, s20, s16
	s_addc_u32 s23, s23, s31
	s_mul_i32 s20, s17, s21
	s_add_u32 s16, s16, s3
	s_addc_u32 s17, s23, s28
	s_ashr_i32 s21, s20, 31
	s_and_b32 s3, s1, exec_lo
	s_cselect_b32 s3, s25, 0
	s_cselect_b32 s23, s24, 0
	s_cselect_b32 s25, s17, 0
	s_cselect_b32 s24, s16, 0
	v_lshlrev_b32_e32 v3, 3, v0
	s_lshl_b64 s[24:25], s[24:25], 2
	v_mov_b32_e32 v11, 0
	s_add_u32 s23, s23, s24
	s_addc_u32 s3, s3, s25
	s_mul_hi_i32 s25, s11, s29
	s_mul_i32 s24, s11, s29
	v_add_co_u32 v1, s23, s23, v3
	s_lshl_b64 s[20:21], s[20:21], 2
	s_lshl_b64 s[24:25], s[24:25], 2
	v_add_co_ci_u32_e64 v2, null, s3, 0, s23
	s_add_u32 s3, s14, s20
	s_addc_u32 s14, s15, s21
	s_add_u32 s3, s3, s24
	s_addc_u32 s20, s14, s25
	s_lshl_b64 s[14:15], s[16:17], 2
	v_add_co_u32 v4, s3, s3, v3
	v_add_co_ci_u32_e64 v5, null, s20, 0, s3
	s_add_u32 s3, s12, s14
	s_addc_u32 s12, s13, s15
	v_add_co_u32 v6, s3, s3, v3
	v_add_co_u32 v1, vcc_lo, v1, 4
	v_add_co_ci_u32_e64 v7, null, s12, 0, s3
	v_add_co_ci_u32_e64 v2, null, 0, v2, vcc_lo
	v_add_co_u32 v3, vcc_lo, v4, 4
	v_add_co_ci_u32_e64 v4, null, 0, v5, vcc_lo
	v_add_co_u32 v5, vcc_lo, v6, 4
	v_add_co_ci_u32_e64 v6, null, 0, v7, vcc_lo
	v_mov_b32_e32 v14, v0
	v_mov_b32_e32 v13, 0
	s_inst_prefetch 0x1
	s_branch .LBB30_12
	.p2align	6
.LBB30_11:                              ;   in Loop: Header=BB30_12 Depth=1
	global_load_dwordx2 v[15:16], v[3:4], off offset:-4
	v_add_nc_u32_e32 v14, 0x100, v14
	v_add_co_u32 v1, vcc_lo, 0x800, v1
	v_add_co_ci_u32_e64 v2, null, 0, v2, vcc_lo
	v_add_co_u32 v3, vcc_lo, 0x800, v3
	v_add_co_ci_u32_e64 v4, null, 0, v4, vcc_lo
	v_cmp_le_i32_e32 vcc_lo, s36, v14
	v_add_co_u32 v5, s3, 0x800, v5
	v_add_co_ci_u32_e64 v6, null, 0, v6, s3
	s_or_b32 s10, vcc_lo, s10
	s_waitcnt vmcnt(0)
	v_fma_f32 v9, v9, v15, v11
	v_fmac_f32_e32 v13, v7, v15
	v_fmac_f32_e32 v9, v10, v16
	;; [unrolled: 1-line block ×3, first 2 shown]
	v_cndmask_b32_e64 v11, v11, v9, s1
	s_andn2_b32 exec_lo, exec_lo, s10
	s_cbranch_execz .LBB30_14
.LBB30_12:                              ; =>This Inner Loop Header: Depth=1
	global_load_dwordx2 v[7:8], v[5:6], off offset:-4
	v_mov_b32_e32 v10, 0
	v_mov_b32_e32 v9, 0
	s_andn2_b32 vcc_lo, exec_lo, s1
	s_cbranch_vccnz .LBB30_11
; %bb.13:                               ;   in Loop: Header=BB30_12 Depth=1
	global_load_dwordx2 v[9:10], v[1:2], off offset:-4
	s_branch .LBB30_11
.LBB30_14:
	s_inst_prefetch 0x2
	s_or_b32 exec_lo, exec_lo, s10
.LBB30_15:
	s_or_b32 exec_lo, exec_lo, s8
	v_mbcnt_lo_u32_b32 v1, -1, 0
	s_load_dword s10, s[4:5], 0x30
	s_mov_b32 s3, -1
	v_xor_b32_e32 v2, 16, v1
	v_xor_b32_e32 v3, 8, v1
	v_cmp_gt_i32_e32 vcc_lo, 32, v2
	v_cndmask_b32_e32 v2, v1, v2, vcc_lo
	v_cmp_gt_i32_e32 vcc_lo, 32, v3
	v_lshlrev_b32_e32 v2, 2, v2
	v_cndmask_b32_e32 v3, v1, v3, vcc_lo
	ds_bpermute_b32 v4, v2, v13
	v_lshlrev_b32_e32 v3, 2, v3
	s_waitcnt lgkmcnt(0)
	v_add_f32_e32 v5, v13, v4
	v_xor_b32_e32 v4, 4, v1
	ds_bpermute_b32 v6, v3, v5
	v_cmp_gt_i32_e32 vcc_lo, 32, v4
	v_cndmask_b32_e32 v4, v1, v4, vcc_lo
	v_lshlrev_b32_e32 v4, 2, v4
	s_waitcnt lgkmcnt(0)
	v_add_f32_e32 v6, v5, v6
	v_xor_b32_e32 v5, 2, v1
	ds_bpermute_b32 v7, v4, v6
	v_cmp_gt_i32_e32 vcc_lo, 32, v5
	v_cndmask_b32_e32 v5, v1, v5, vcc_lo
	;; [unrolled: 7-line block ×3, first 2 shown]
	s_and_b32 vcc_lo, exec_lo, s9
	v_lshlrev_b32_e32 v6, 2, v1
	s_waitcnt lgkmcnt(0)
	v_add_f32_e32 v1, v7, v8
	v_lshrrev_b32_e32 v8, 5, v0
	ds_bpermute_b32 v7, v6, v1
	s_waitcnt lgkmcnt(0)
	v_add_f32_e32 v1, v1, v7
	v_lshl_add_u32 v7, v8, 2, 0
	s_cbranch_vccz .LBB30_17
; %bb.16:
	s_mov_b32 s3, 0
	ds_write_b32 v7, v1
.LBB30_17:
	s_andn2_b32 vcc_lo, exec_lo, s3
	s_cbranch_vccnz .LBB30_19
; %bb.18:
	ds_bpermute_b32 v8, v2, v11
	s_waitcnt lgkmcnt(0)
	v_add_f32_e32 v8, v11, v8
	ds_bpermute_b32 v9, v3, v8
	s_waitcnt lgkmcnt(0)
	v_add_f32_e32 v8, v8, v9
	ds_bpermute_b32 v9, v4, v8
	s_waitcnt lgkmcnt(0)
	v_add_f32_e32 v8, v8, v9
	ds_bpermute_b32 v9, v5, v8
	s_waitcnt lgkmcnt(0)
	v_add_f32_e32 v8, v8, v9
	ds_bpermute_b32 v9, v6, v8
	s_waitcnt lgkmcnt(0)
	v_add_f32_e32 v11, v8, v9
	ds_write2_b32 v7, v1, v11 offset1:32
.LBB30_19:
	s_waitcnt lgkmcnt(0)
	s_barrier
	buffer_gl0_inv
	s_and_saveexec_b32 s3, s2
	s_cbranch_execz .LBB30_23
; %bb.20:
	ds_read_b32 v1, v12
	s_andn2_b32 vcc_lo, exec_lo, s1
	s_waitcnt lgkmcnt(0)
	ds_bpermute_b32 v7, v2, v1
	s_waitcnt lgkmcnt(0)
	v_add_f32_e32 v1, v1, v7
	ds_bpermute_b32 v7, v3, v1
	s_waitcnt lgkmcnt(0)
	v_add_f32_e32 v1, v1, v7
	;; [unrolled: 3-line block ×4, first 2 shown]
	ds_bpermute_b32 v7, v6, v1
	s_cbranch_vccnz .LBB30_22
; %bb.21:
	ds_read_b32 v8, v12 offset:128
	s_waitcnt lgkmcnt(0)
	ds_bpermute_b32 v2, v2, v8
	s_waitcnt lgkmcnt(0)
	v_add_f32_e32 v2, v8, v2
	ds_bpermute_b32 v3, v3, v2
	s_waitcnt lgkmcnt(0)
	v_add_f32_e32 v2, v2, v3
	;; [unrolled: 3-line block ×5, first 2 shown]
.LBB30_22:
	s_waitcnt lgkmcnt(0)
	v_add_f32_e32 v1, v1, v7
.LBB30_23:
	s_or_b32 exec_lo, exec_lo, s3
	s_barrier
	buffer_gl0_inv
	s_mov_b32 s2, exec_lo
	v_cmpx_eq_u32_e32 0, v0
	s_cbranch_execz .LBB30_47
; %bb.24:
	s_cmp_eq_u64 s[18:19], 0
	s_mul_i32 s8, s7, s22
	s_cselect_b32 s2, -1, 0
	s_ashr_i32 s9, s8, 31
	s_mul_hi_i32 s3, s30, s11
	s_and_b32 vcc_lo, exec_lo, s2
	s_mul_i32 s2, s30, s11
	s_cbranch_vccnz .LBB30_26
; %bb.25:
	s_cselect_b32 s7, 0, s19
	s_cselect_b32 s11, 0, s18
	s_lshl_b64 s[12:13], s[2:3], 2
	s_add_u32 s11, s11, s12
	s_addc_u32 s7, s7, s13
	s_lshl_b64 s[12:13], s[8:9], 2
	s_add_u32 s11, s11, s12
	s_addc_u32 s14, s7, s13
	s_ashr_i32 s7, s6, 31
	s_lshl_b64 s[12:13], s[6:7], 2
	s_add_u32 s12, s11, s12
	s_addc_u32 s13, s14, s13
	s_load_dword s7, s[12:13], 0x0
	s_waitcnt lgkmcnt(0)
	v_add_f32_e32 v1, s7, v1
.LBB30_26:
	s_andn2_b32 vcc_lo, exec_lo, s1
	s_cbranch_vccnz .LBB30_46
; %bb.27:
	s_cmp_lg_u64 s[26:27], 0
	s_cselect_b32 s7, -1, 0
	s_and_b32 s1, s7, s1
	s_andn2_b32 vcc_lo, exec_lo, s1
	s_cbranch_vccnz .LBB30_29
; %bb.28:
	s_and_b32 s1, s7, exec_lo
	s_cselect_b32 s1, s27, 0
	s_cselect_b32 s7, s26, 0
	s_lshl_b64 s[12:13], s[2:3], 2
	s_add_u32 s7, s7, s12
	s_addc_u32 s1, s1, s13
	s_lshl_b64 s[8:9], s[8:9], 2
	s_add_u32 s11, s7, s8
	s_addc_u32 s1, s1, s9
	s_ashr_i32 s7, s6, 31
	s_lshl_b64 s[8:9], s[6:7], 2
	s_add_u32 s8, s11, s8
	s_addc_u32 s9, s1, s9
	s_load_dword s1, s[8:9], 0x0
	s_waitcnt lgkmcnt(0)
	v_add_f32_e32 v11, s1, v11
.LBB30_29:
	s_cmp_lt_i32 s10, 2
	s_cbranch_scc1 .LBB30_34
; %bb.30:
	s_cmp_lt_i32 s10, 3
	s_cbranch_scc1 .LBB30_35
; %bb.31:
	v_mov_b32_e32 v0, v1
	s_cmp_eq_u32 s10, 3
	s_cbranch_scc0 .LBB30_33
; %bb.32:
	v_max_f32_e32 v0, v11, v11
	v_min_f32_e32 v0, 0x40e00000, v0
	v_mul_f32_e32 v2, 0xbfd9db23, v0
	v_mul_f32_e32 v3, 0x3fb8aa3b, v2
	v_cmp_ngt_f32_e32 vcc_lo, 0xc2ce8ed0, v2
	v_fma_f32 v4, 0x3fb8aa3b, v2, -v3
	v_rndne_f32_e32 v5, v3
	v_fmamk_f32 v4, v2, 0x32a5705f, v4
	v_sub_f32_e32 v3, v3, v5
	v_add_f32_e32 v3, v3, v4
	v_cvt_i32_f32_e32 v4, v5
	v_exp_f32_e32 v3, v3
	v_ldexp_f32 v3, v3, v4
	v_cndmask_b32_e32 v3, 0, v3, vcc_lo
	v_cmp_nlt_f32_e32 vcc_lo, 0x42b17218, v2
	v_cndmask_b32_e32 v2, 0x7f800000, v3, vcc_lo
	v_add_f32_e32 v2, 1.0, v2
	v_div_scale_f32 v3, null, v2, v2, v0
	v_div_scale_f32 v6, vcc_lo, v0, v2, v0
	v_rcp_f32_e32 v4, v3
	v_fma_f32 v5, -v3, v4, 1.0
	v_fmac_f32_e32 v4, v5, v4
	v_mul_f32_e32 v5, v6, v4
	v_fma_f32 v7, -v3, v5, v6
	v_fmac_f32_e32 v5, v7, v4
	v_max_f32_e32 v7, v1, v1
	v_fma_f32 v3, -v3, v5, v6
	v_min_f32_e32 v6, 0x40e00000, v7
	v_div_fmas_f32 v3, v3, v4, v5
	v_max_f32_e32 v4, 0xc0e00000, v6
	v_div_fixup_f32 v0, v3, v2, v0
	v_add_f32_e32 v2, 1.0, v4
	v_mul_f32_e32 v0, v2, v0
.LBB30_33:
	s_cbranch_execz .LBB30_36
	s_branch .LBB30_37
.LBB30_34:
                                        ; implicit-def: $vgpr0
	s_branch .LBB30_38
.LBB30_35:
                                        ; implicit-def: $vgpr0
.LBB30_36:
	v_mul_f32_e32 v0, 0xbfb8aa3b, v11
	v_cmp_nlt_f32_e32 vcc_lo, 0x42ce8ed0, v11
	v_rndne_f32_e32 v2, v0
	v_fma_f32 v3, 0xbfb8aa3b, v11, -v0
	v_sub_f32_e32 v0, v0, v2
	v_fmamk_f32 v3, v11, 0xb2a5705f, v3
	v_cvt_i32_f32_e32 v2, v2
	v_add_f32_e32 v0, v0, v3
	v_exp_f32_e32 v0, v0
	v_ldexp_f32 v0, v0, v2
	v_cndmask_b32_e32 v0, 0, v0, vcc_lo
	v_cmp_ngt_f32_e32 vcc_lo, 0xc2b17218, v11
	v_cndmask_b32_e32 v0, 0x7f800000, v0, vcc_lo
	v_add_f32_e32 v0, 1.0, v0
	v_div_scale_f32 v2, null, v0, v0, v11
	v_rcp_f32_e32 v3, v2
	v_fma_f32 v4, -v2, v3, 1.0
	v_fmac_f32_e32 v3, v4, v3
	v_div_scale_f32 v4, vcc_lo, v11, v0, v11
	v_mul_f32_e32 v5, v4, v3
	v_fma_f32 v6, -v2, v5, v4
	v_fmac_f32_e32 v5, v6, v3
	v_fma_f32 v2, -v2, v5, v4
	v_div_fmas_f32 v2, v2, v3, v5
	v_div_fixup_f32 v0, v2, v0, v11
	v_mul_f32_e32 v0, v1, v0
.LBB30_37:
	s_cbranch_execnz .LBB30_45
.LBB30_38:
	s_cmp_eq_u32 s10, 1
	s_cbranch_scc0 .LBB30_44
; %bb.39:
	v_mul_f32_e32 v0, 0x3d372713, v11
	v_mul_f32_e32 v2, 0x3f4c422a, v11
	v_fma_f32 v0, v11, v0, 1.0
	v_mul_f32_e32 v0, v2, v0
                                        ; implicit-def: $vgpr2
	v_cmp_ngt_f32_e64 s1, 0x3f200000, |v0|
	s_and_saveexec_b32 s7, s1
	s_xor_b32 s1, exec_lo, s7
	s_cbranch_execz .LBB30_41
; %bb.40:
	v_add_f32_e64 v2, |v0|, |v0|
	v_mul_f32_e32 v3, 0x3fb8aa3b, v2
	v_cmp_ngt_f32_e32 vcc_lo, 0xc2ce8ed0, v2
	v_rndne_f32_e32 v4, v3
	v_fma_f32 v5, 0x3fb8aa3b, v2, -v3
	v_sub_f32_e32 v3, v3, v4
	v_fmamk_f32 v5, v2, 0x32a5705f, v5
	v_cvt_i32_f32_e32 v4, v4
	v_add_f32_e32 v3, v3, v5
	v_exp_f32_e32 v3, v3
	v_ldexp_f32 v3, v3, v4
	v_cndmask_b32_e32 v3, 0, v3, vcc_lo
	v_cmp_nlt_f32_e32 vcc_lo, 0x42b17218, v2
	v_cndmask_b32_e32 v2, 0x7f800000, v3, vcc_lo
	v_add_f32_e32 v2, 1.0, v2
	v_rcp_f32_e32 v2, v2
	v_fma_f32 v2, v2, -2.0, 1.0
.LBB30_41:
	s_andn2_saveexec_b32 s1, s1
	s_cbranch_execz .LBB30_43
; %bb.42:
	v_mul_f32_e32 v2, v0, v0
	s_mov_b32 s7, 0xbbbac73d
	v_fmaak_f32 v3, s7, v2, 0x3ca908c9
	v_fmaak_f32 v3, v2, v3, 0xbd5c1c4e
	;; [unrolled: 1-line block ×4, first 2 shown]
	v_mul_f32_e64 v3, |v0|, v3
	v_fma_f32 v2, v2, v3, |v0|
.LBB30_43:
	s_or_b32 exec_lo, exec_lo, s1
	v_bfi_b32 v0, 0x7fffffff, v2, v0
	v_mul_f32_e32 v2, 0.5, v11
	v_add_f32_e32 v0, 1.0, v0
	v_mul_f32_e32 v0, v2, v0
	v_mul_f32_e32 v1, v1, v0
.LBB30_44:
	v_mov_b32_e32 v0, v1
.LBB30_45:
	v_mov_b32_e32 v1, v0
.LBB30_46:
	s_load_dwordx2 s[4:5], s[4:5], 0x38
	s_mul_i32 s0, s22, s0
	s_lshl_b64 s[2:3], s[2:3], 2
	s_ashr_i32 s1, s0, 31
	v_mov_b32_e32 v0, 0
	s_waitcnt lgkmcnt(0)
	s_add_u32 s2, s4, s2
	s_addc_u32 s3, s5, s3
	s_lshl_b64 s[0:1], s[0:1], 2
	s_add_u32 s2, s2, s0
	s_addc_u32 s3, s3, s1
	s_ashr_i32 s7, s6, 31
	s_lshl_b64 s[0:1], s[6:7], 2
	s_add_u32 s0, s2, s0
	s_addc_u32 s1, s3, s1
	global_store_dword v0, v1, s[0:1]
.LBB30_47:
	s_endpgm
	.section	.rodata,"a",@progbits
	.p2align	6, 0x0
	.amdhsa_kernel _ZL13mul_mat_vec_fIffLi1ELi256ELb1ELb0EEvPKT_PKfPKi31ggml_cuda_mm_fusion_args_devicePfi15HIP_vector_typeIjLj3EEiiiSA_iiiSA_iiii
		.amdhsa_group_segment_fixed_size 0
		.amdhsa_private_segment_fixed_size 0
		.amdhsa_kernarg_size 144
		.amdhsa_user_sgpr_count 6
		.amdhsa_user_sgpr_private_segment_buffer 1
		.amdhsa_user_sgpr_dispatch_ptr 0
		.amdhsa_user_sgpr_queue_ptr 0
		.amdhsa_user_sgpr_kernarg_segment_ptr 1
		.amdhsa_user_sgpr_dispatch_id 0
		.amdhsa_user_sgpr_flat_scratch_init 0
		.amdhsa_user_sgpr_private_segment_size 0
		.amdhsa_wavefront_size32 1
		.amdhsa_uses_dynamic_stack 0
		.amdhsa_system_sgpr_private_segment_wavefront_offset 0
		.amdhsa_system_sgpr_workgroup_id_x 1
		.amdhsa_system_sgpr_workgroup_id_y 1
		.amdhsa_system_sgpr_workgroup_id_z 1
		.amdhsa_system_sgpr_workgroup_info 0
		.amdhsa_system_vgpr_workitem_id 0
		.amdhsa_next_free_vgpr 17
		.amdhsa_next_free_sgpr 40
		.amdhsa_reserve_vcc 1
		.amdhsa_reserve_flat_scratch 0
		.amdhsa_float_round_mode_32 0
		.amdhsa_float_round_mode_16_64 0
		.amdhsa_float_denorm_mode_32 3
		.amdhsa_float_denorm_mode_16_64 3
		.amdhsa_dx10_clamp 1
		.amdhsa_ieee_mode 1
		.amdhsa_fp16_overflow 0
		.amdhsa_workgroup_processor_mode 1
		.amdhsa_memory_ordered 1
		.amdhsa_forward_progress 1
		.amdhsa_shared_vgpr_count 0
		.amdhsa_exception_fp_ieee_invalid_op 0
		.amdhsa_exception_fp_denorm_src 0
		.amdhsa_exception_fp_ieee_div_zero 0
		.amdhsa_exception_fp_ieee_overflow 0
		.amdhsa_exception_fp_ieee_underflow 0
		.amdhsa_exception_fp_ieee_inexact 0
		.amdhsa_exception_int_div_zero 0
	.end_amdhsa_kernel
	.section	.text._ZL13mul_mat_vec_fIffLi1ELi256ELb1ELb0EEvPKT_PKfPKi31ggml_cuda_mm_fusion_args_devicePfi15HIP_vector_typeIjLj3EEiiiSA_iiiSA_iiii,"axG",@progbits,_ZL13mul_mat_vec_fIffLi1ELi256ELb1ELb0EEvPKT_PKfPKi31ggml_cuda_mm_fusion_args_devicePfi15HIP_vector_typeIjLj3EEiiiSA_iiiSA_iiii,comdat
.Lfunc_end30:
	.size	_ZL13mul_mat_vec_fIffLi1ELi256ELb1ELb0EEvPKT_PKfPKi31ggml_cuda_mm_fusion_args_devicePfi15HIP_vector_typeIjLj3EEiiiSA_iiiSA_iiii, .Lfunc_end30-_ZL13mul_mat_vec_fIffLi1ELi256ELb1ELb0EEvPKT_PKfPKi31ggml_cuda_mm_fusion_args_devicePfi15HIP_vector_typeIjLj3EEiiiSA_iiiSA_iiii
                                        ; -- End function
	.set _ZL13mul_mat_vec_fIffLi1ELi256ELb1ELb0EEvPKT_PKfPKi31ggml_cuda_mm_fusion_args_devicePfi15HIP_vector_typeIjLj3EEiiiSA_iiiSA_iiii.num_vgpr, 17
	.set _ZL13mul_mat_vec_fIffLi1ELi256ELb1ELb0EEvPKT_PKfPKi31ggml_cuda_mm_fusion_args_devicePfi15HIP_vector_typeIjLj3EEiiiSA_iiiSA_iiii.num_agpr, 0
	.set _ZL13mul_mat_vec_fIffLi1ELi256ELb1ELb0EEvPKT_PKfPKi31ggml_cuda_mm_fusion_args_devicePfi15HIP_vector_typeIjLj3EEiiiSA_iiiSA_iiii.numbered_sgpr, 40
	.set _ZL13mul_mat_vec_fIffLi1ELi256ELb1ELb0EEvPKT_PKfPKi31ggml_cuda_mm_fusion_args_devicePfi15HIP_vector_typeIjLj3EEiiiSA_iiiSA_iiii.num_named_barrier, 0
	.set _ZL13mul_mat_vec_fIffLi1ELi256ELb1ELb0EEvPKT_PKfPKi31ggml_cuda_mm_fusion_args_devicePfi15HIP_vector_typeIjLj3EEiiiSA_iiiSA_iiii.private_seg_size, 0
	.set _ZL13mul_mat_vec_fIffLi1ELi256ELb1ELb0EEvPKT_PKfPKi31ggml_cuda_mm_fusion_args_devicePfi15HIP_vector_typeIjLj3EEiiiSA_iiiSA_iiii.uses_vcc, 1
	.set _ZL13mul_mat_vec_fIffLi1ELi256ELb1ELb0EEvPKT_PKfPKi31ggml_cuda_mm_fusion_args_devicePfi15HIP_vector_typeIjLj3EEiiiSA_iiiSA_iiii.uses_flat_scratch, 0
	.set _ZL13mul_mat_vec_fIffLi1ELi256ELb1ELb0EEvPKT_PKfPKi31ggml_cuda_mm_fusion_args_devicePfi15HIP_vector_typeIjLj3EEiiiSA_iiiSA_iiii.has_dyn_sized_stack, 0
	.set _ZL13mul_mat_vec_fIffLi1ELi256ELb1ELb0EEvPKT_PKfPKi31ggml_cuda_mm_fusion_args_devicePfi15HIP_vector_typeIjLj3EEiiiSA_iiiSA_iiii.has_recursion, 0
	.set _ZL13mul_mat_vec_fIffLi1ELi256ELb1ELb0EEvPKT_PKfPKi31ggml_cuda_mm_fusion_args_devicePfi15HIP_vector_typeIjLj3EEiiiSA_iiiSA_iiii.has_indirect_call, 0
	.section	.AMDGPU.csdata,"",@progbits
; Kernel info:
; codeLenInByte = 2324
; TotalNumSgprs: 42
; NumVgprs: 17
; ScratchSize: 0
; MemoryBound: 0
; FloatMode: 240
; IeeeMode: 1
; LDSByteSize: 0 bytes/workgroup (compile time only)
; SGPRBlocks: 0
; VGPRBlocks: 2
; NumSGPRsForWavesPerEU: 42
; NumVGPRsForWavesPerEU: 17
; Occupancy: 16
; WaveLimiterHint : 1
; COMPUTE_PGM_RSRC2:SCRATCH_EN: 0
; COMPUTE_PGM_RSRC2:USER_SGPR: 6
; COMPUTE_PGM_RSRC2:TRAP_HANDLER: 0
; COMPUTE_PGM_RSRC2:TGID_X_EN: 1
; COMPUTE_PGM_RSRC2:TGID_Y_EN: 1
; COMPUTE_PGM_RSRC2:TGID_Z_EN: 1
; COMPUTE_PGM_RSRC2:TIDIG_COMP_CNT: 0
	.section	.text._ZL13mul_mat_vec_fIffLi1ELi256ELb0ELb0EEvPKT_PKfPKi31ggml_cuda_mm_fusion_args_devicePfi15HIP_vector_typeIjLj3EEiiiSA_iiiSA_iiii,"axG",@progbits,_ZL13mul_mat_vec_fIffLi1ELi256ELb0ELb0EEvPKT_PKfPKi31ggml_cuda_mm_fusion_args_devicePfi15HIP_vector_typeIjLj3EEiiiSA_iiiSA_iiii,comdat
	.globl	_ZL13mul_mat_vec_fIffLi1ELi256ELb0ELb0EEvPKT_PKfPKi31ggml_cuda_mm_fusion_args_devicePfi15HIP_vector_typeIjLj3EEiiiSA_iiiSA_iiii ; -- Begin function _ZL13mul_mat_vec_fIffLi1ELi256ELb0ELb0EEvPKT_PKfPKi31ggml_cuda_mm_fusion_args_devicePfi15HIP_vector_typeIjLj3EEiiiSA_iiiSA_iiii
	.p2align	8
	.type	_ZL13mul_mat_vec_fIffLi1ELi256ELb0ELb0EEvPKT_PKfPKi31ggml_cuda_mm_fusion_args_devicePfi15HIP_vector_typeIjLj3EEiiiSA_iiiSA_iiii,@function
_ZL13mul_mat_vec_fIffLi1ELi256ELb0ELb0EEvPKT_PKfPKi31ggml_cuda_mm_fusion_args_devicePfi15HIP_vector_typeIjLj3EEiiiSA_iiiSA_iiii: ; @_ZL13mul_mat_vec_fIffLi1ELi256ELb0ELb0EEvPKT_PKfPKi31ggml_cuda_mm_fusion_args_devicePfi15HIP_vector_typeIjLj3EEiiiSA_iiiSA_iiii
; %bb.0:
	s_clause 0x2
	s_load_dwordx2 s[2:3], s[4:5], 0x10
	s_load_dwordx4 s[20:23], s[4:5], 0x40
	s_load_dwordx4 s[12:15], s[4:5], 0x80
	s_waitcnt lgkmcnt(0)
	s_cmp_eq_u64 s[2:3], 0
	s_cselect_b32 s10, -1, 0
	s_cmp_lg_u64 s[2:3], 0
	s_cselect_b32 s9, -1, 0
	s_and_b32 vcc_lo, exec_lo, s10
	s_cbranch_vccnz .LBB31_2
; %bb.1:
	s_mul_i32 s0, s15, s8
	s_mov_b32 s1, 0
	s_add_i32 s0, s0, s7
	s_lshl_b64 s[16:17], s[0:1], 2
	s_add_u32 s2, s2, s16
	s_addc_u32 s3, s3, s17
	s_load_dword s15, s[2:3], 0x0
	s_load_dword s24, s[4:5], 0x50
	s_cbranch_execz .LBB31_3
	s_branch .LBB31_4
.LBB31_2:
                                        ; implicit-def: $sgpr15
	s_load_dword s24, s[4:5], 0x50
.LBB31_3:
	s_load_dwordx2 s[0:1], s[4:5], 0x5c
	s_waitcnt lgkmcnt(0)
	s_mul_hi_u32 s0, s0, s7
	s_add_i32 s0, s7, s0
	s_lshr_b32 s15, s0, s1
.LBB31_4:
	s_load_dwordx4 s[16:19], s[4:5], 0x68
	s_andn2_b32 vcc_lo, exec_lo, s9
	s_mov_b32 s25, s7
	s_cbranch_vccnz .LBB31_6
; %bb.5:
	s_mul_hi_u32 s0, s21, s7
	s_add_i32 s0, s7, s0
	s_lshr_b32 s0, s0, s22
	s_mul_i32 s0, s0, s23
	s_sub_i32 s25, s7, s0
.LBB31_6:
	s_load_dword s11, s[4:5], 0x78
	v_cmp_gt_u32_e32 vcc_lo, 32, v0
	v_lshl_add_u32 v5, v0, 2, 0
	s_and_saveexec_b32 s0, vcc_lo
; %bb.7:
	v_mov_b32_e32 v1, 0
	ds_write_b32 v5, v1
; %bb.8:
	s_or_b32 exec_lo, exec_lo, s0
	v_mov_b32_e32 v6, 0
	s_and_b32 s0, exec_lo, s10
	s_mov_b32 s9, 0
	s_cselect_b32 s8, s8, 0
	s_mov_b32 s10, exec_lo
	s_waitcnt lgkmcnt(0)
	s_barrier
	buffer_gl0_inv
	v_cmpx_gt_i32_e64 s20, v0
	s_cbranch_execz .LBB31_12
; %bb.9:
	s_load_dwordx4 s[0:3], s[4:5], 0x0
	s_mul_hi_u32 s19, s19, s8
	s_mul_i32 s16, s15, s16
	s_add_i32 s15, s8, s19
	s_mul_i32 s22, s24, s6
	s_lshr_b32 s11, s15, s11
	s_mul_i32 s24, s25, s17
	s_ashr_i32 s17, s16, 31
	s_ashr_i32 s23, s22, 31
	s_mul_hi_i32 s29, s11, s12
	s_mul_i32 s28, s11, s12
	s_lshl_b64 s[16:17], s[16:17], 2
	s_ashr_i32 s25, s24, 31
	s_lshl_b64 s[22:23], s[22:23], 2
	s_lshl_b64 s[28:29], s[28:29], 2
	v_lshlrev_b32_e32 v1, 3, v0
	s_mul_hi_i32 s27, s8, s13
	s_mul_i32 s26, s8, s13
	v_mov_b32_e32 v6, 0
	s_waitcnt lgkmcnt(0)
	s_add_u32 s0, s0, s16
	s_addc_u32 s1, s1, s17
	s_add_u32 s0, s0, s22
	s_addc_u32 s1, s1, s23
	;; [unrolled: 2-line block ×3, first 2 shown]
	v_add_co_u32 v2, s0, s0, v1
	v_add_co_ci_u32_e64 v3, null, s1, 0, s0
	s_lshl_b64 s[0:1], s[24:25], 2
	s_lshl_b64 s[12:13], s[26:27], 2
	s_add_u32 s0, s2, s0
	s_addc_u32 s1, s3, s1
	s_add_u32 s0, s0, s12
	s_addc_u32 s1, s1, s13
	v_add_co_u32 v4, s0, s0, v1
	v_add_co_ci_u32_e64 v7, null, s1, 0, s0
	v_add_co_u32 v1, s0, v2, 4
	v_add_co_ci_u32_e64 v2, null, 0, v3, s0
	;; [unrolled: 2-line block ×3, first 2 shown]
	v_mov_b32_e32 v7, v0
	.p2align	6
.LBB31_10:                              ; =>This Inner Loop Header: Depth=1
	global_load_dwordx2 v[8:9], v[1:2], off offset:-4
	global_load_dwordx2 v[10:11], v[3:4], off offset:-4
	v_add_nc_u32_e32 v7, 0x100, v7
	v_add_co_u32 v1, s0, 0x800, v1
	v_add_co_ci_u32_e64 v2, null, 0, v2, s0
	v_add_co_u32 v3, s0, 0x800, v3
	v_cmp_le_i32_e64 s1, s20, v7
	v_add_co_ci_u32_e64 v4, null, 0, v4, s0
	s_or_b32 s9, s1, s9
	s_waitcnt vmcnt(0)
	v_fmac_f32_e32 v6, v8, v10
	v_fmac_f32_e32 v6, v9, v11
	s_andn2_b32 exec_lo, exec_lo, s9
	s_cbranch_execnz .LBB31_10
; %bb.11:
	s_or_b32 exec_lo, exec_lo, s9
.LBB31_12:
	s_or_b32 exec_lo, exec_lo, s10
	v_mbcnt_lo_u32_b32 v2, -1, 0
	v_xor_b32_e32 v1, 16, v2
	v_xor_b32_e32 v3, 8, v2
	v_cmp_gt_i32_e64 s0, 32, v1
	v_cndmask_b32_e64 v1, v2, v1, s0
	v_cmp_gt_i32_e64 s0, 32, v3
	v_lshlrev_b32_e32 v1, 2, v1
	v_cndmask_b32_e64 v3, v2, v3, s0
	ds_bpermute_b32 v4, v1, v6
	v_lshlrev_b32_e32 v3, 2, v3
	s_waitcnt lgkmcnt(0)
	v_add_f32_e32 v6, v6, v4
	v_xor_b32_e32 v4, 4, v2
	ds_bpermute_b32 v7, v3, v6
	v_cmp_gt_i32_e64 s0, 32, v4
	v_cndmask_b32_e64 v4, v2, v4, s0
	v_lshlrev_b32_e32 v4, 2, v4
	s_waitcnt lgkmcnt(0)
	v_add_f32_e32 v7, v6, v7
	v_xor_b32_e32 v6, 2, v2
	ds_bpermute_b32 v8, v4, v7
	v_cmp_gt_i32_e64 s0, 32, v6
	v_cndmask_b32_e64 v6, v2, v6, s0
	;; [unrolled: 7-line block ×3, first 2 shown]
	v_lshlrev_b32_e32 v7, 2, v2
	s_waitcnt lgkmcnt(0)
	v_add_f32_e32 v2, v8, v9
	v_lshrrev_b32_e32 v9, 3, v0
	ds_bpermute_b32 v8, v7, v2
	v_and_b32_e32 v9, 0x7c, v9
	v_add_nc_u32_e32 v9, 0, v9
	s_waitcnt lgkmcnt(0)
	v_add_f32_e32 v2, v2, v8
	ds_write_b32 v9, v2
	s_waitcnt lgkmcnt(0)
	s_barrier
	buffer_gl0_inv
	s_and_saveexec_b32 s0, vcc_lo
	s_cbranch_execz .LBB31_14
; %bb.13:
	ds_read_b32 v2, v5
	s_waitcnt lgkmcnt(0)
	ds_bpermute_b32 v1, v1, v2
	s_waitcnt lgkmcnt(0)
	v_add_f32_e32 v1, v2, v1
	ds_bpermute_b32 v2, v3, v1
	s_waitcnt lgkmcnt(0)
	v_add_f32_e32 v1, v1, v2
	;; [unrolled: 3-line block ×5, first 2 shown]
.LBB31_14:
	s_or_b32 exec_lo, exec_lo, s0
	s_barrier
	buffer_gl0_inv
	s_mov_b32 s0, exec_lo
	v_cmpx_eq_u32_e32 0, v0
	s_cbranch_execz .LBB31_16
; %bb.15:
	s_load_dwordx2 s[0:1], s[4:5], 0x38
	s_mul_hi_i32 s3, s14, s8
	s_mul_i32 s2, s14, s8
	s_mul_i32 s4, s18, s7
	s_lshl_b64 s[2:3], s[2:3], 2
	s_ashr_i32 s5, s4, 31
	v_mov_b32_e32 v0, 0
	s_waitcnt lgkmcnt(0)
	s_add_u32 s2, s0, s2
	s_addc_u32 s3, s1, s3
	s_lshl_b64 s[0:1], s[4:5], 2
	s_add_u32 s2, s2, s0
	s_addc_u32 s3, s3, s1
	s_ashr_i32 s7, s6, 31
	s_lshl_b64 s[0:1], s[6:7], 2
	s_add_u32 s0, s2, s0
	s_addc_u32 s1, s3, s1
	global_store_dword v0, v2, s[0:1]
.LBB31_16:
	s_endpgm
	.section	.rodata,"a",@progbits
	.p2align	6, 0x0
	.amdhsa_kernel _ZL13mul_mat_vec_fIffLi1ELi256ELb0ELb0EEvPKT_PKfPKi31ggml_cuda_mm_fusion_args_devicePfi15HIP_vector_typeIjLj3EEiiiSA_iiiSA_iiii
		.amdhsa_group_segment_fixed_size 0
		.amdhsa_private_segment_fixed_size 0
		.amdhsa_kernarg_size 144
		.amdhsa_user_sgpr_count 6
		.amdhsa_user_sgpr_private_segment_buffer 1
		.amdhsa_user_sgpr_dispatch_ptr 0
		.amdhsa_user_sgpr_queue_ptr 0
		.amdhsa_user_sgpr_kernarg_segment_ptr 1
		.amdhsa_user_sgpr_dispatch_id 0
		.amdhsa_user_sgpr_flat_scratch_init 0
		.amdhsa_user_sgpr_private_segment_size 0
		.amdhsa_wavefront_size32 1
		.amdhsa_uses_dynamic_stack 0
		.amdhsa_system_sgpr_private_segment_wavefront_offset 0
		.amdhsa_system_sgpr_workgroup_id_x 1
		.amdhsa_system_sgpr_workgroup_id_y 1
		.amdhsa_system_sgpr_workgroup_id_z 1
		.amdhsa_system_sgpr_workgroup_info 0
		.amdhsa_system_vgpr_workitem_id 0
		.amdhsa_next_free_vgpr 12
		.amdhsa_next_free_sgpr 30
		.amdhsa_reserve_vcc 1
		.amdhsa_reserve_flat_scratch 0
		.amdhsa_float_round_mode_32 0
		.amdhsa_float_round_mode_16_64 0
		.amdhsa_float_denorm_mode_32 3
		.amdhsa_float_denorm_mode_16_64 3
		.amdhsa_dx10_clamp 1
		.amdhsa_ieee_mode 1
		.amdhsa_fp16_overflow 0
		.amdhsa_workgroup_processor_mode 1
		.amdhsa_memory_ordered 1
		.amdhsa_forward_progress 1
		.amdhsa_shared_vgpr_count 0
		.amdhsa_exception_fp_ieee_invalid_op 0
		.amdhsa_exception_fp_denorm_src 0
		.amdhsa_exception_fp_ieee_div_zero 0
		.amdhsa_exception_fp_ieee_overflow 0
		.amdhsa_exception_fp_ieee_underflow 0
		.amdhsa_exception_fp_ieee_inexact 0
		.amdhsa_exception_int_div_zero 0
	.end_amdhsa_kernel
	.section	.text._ZL13mul_mat_vec_fIffLi1ELi256ELb0ELb0EEvPKT_PKfPKi31ggml_cuda_mm_fusion_args_devicePfi15HIP_vector_typeIjLj3EEiiiSA_iiiSA_iiii,"axG",@progbits,_ZL13mul_mat_vec_fIffLi1ELi256ELb0ELb0EEvPKT_PKfPKi31ggml_cuda_mm_fusion_args_devicePfi15HIP_vector_typeIjLj3EEiiiSA_iiiSA_iiii,comdat
.Lfunc_end31:
	.size	_ZL13mul_mat_vec_fIffLi1ELi256ELb0ELb0EEvPKT_PKfPKi31ggml_cuda_mm_fusion_args_devicePfi15HIP_vector_typeIjLj3EEiiiSA_iiiSA_iiii, .Lfunc_end31-_ZL13mul_mat_vec_fIffLi1ELi256ELb0ELb0EEvPKT_PKfPKi31ggml_cuda_mm_fusion_args_devicePfi15HIP_vector_typeIjLj3EEiiiSA_iiiSA_iiii
                                        ; -- End function
	.set _ZL13mul_mat_vec_fIffLi1ELi256ELb0ELb0EEvPKT_PKfPKi31ggml_cuda_mm_fusion_args_devicePfi15HIP_vector_typeIjLj3EEiiiSA_iiiSA_iiii.num_vgpr, 12
	.set _ZL13mul_mat_vec_fIffLi1ELi256ELb0ELb0EEvPKT_PKfPKi31ggml_cuda_mm_fusion_args_devicePfi15HIP_vector_typeIjLj3EEiiiSA_iiiSA_iiii.num_agpr, 0
	.set _ZL13mul_mat_vec_fIffLi1ELi256ELb0ELb0EEvPKT_PKfPKi31ggml_cuda_mm_fusion_args_devicePfi15HIP_vector_typeIjLj3EEiiiSA_iiiSA_iiii.numbered_sgpr, 30
	.set _ZL13mul_mat_vec_fIffLi1ELi256ELb0ELb0EEvPKT_PKfPKi31ggml_cuda_mm_fusion_args_devicePfi15HIP_vector_typeIjLj3EEiiiSA_iiiSA_iiii.num_named_barrier, 0
	.set _ZL13mul_mat_vec_fIffLi1ELi256ELb0ELb0EEvPKT_PKfPKi31ggml_cuda_mm_fusion_args_devicePfi15HIP_vector_typeIjLj3EEiiiSA_iiiSA_iiii.private_seg_size, 0
	.set _ZL13mul_mat_vec_fIffLi1ELi256ELb0ELb0EEvPKT_PKfPKi31ggml_cuda_mm_fusion_args_devicePfi15HIP_vector_typeIjLj3EEiiiSA_iiiSA_iiii.uses_vcc, 1
	.set _ZL13mul_mat_vec_fIffLi1ELi256ELb0ELb0EEvPKT_PKfPKi31ggml_cuda_mm_fusion_args_devicePfi15HIP_vector_typeIjLj3EEiiiSA_iiiSA_iiii.uses_flat_scratch, 0
	.set _ZL13mul_mat_vec_fIffLi1ELi256ELb0ELb0EEvPKT_PKfPKi31ggml_cuda_mm_fusion_args_devicePfi15HIP_vector_typeIjLj3EEiiiSA_iiiSA_iiii.has_dyn_sized_stack, 0
	.set _ZL13mul_mat_vec_fIffLi1ELi256ELb0ELb0EEvPKT_PKfPKi31ggml_cuda_mm_fusion_args_devicePfi15HIP_vector_typeIjLj3EEiiiSA_iiiSA_iiii.has_recursion, 0
	.set _ZL13mul_mat_vec_fIffLi1ELi256ELb0ELb0EEvPKT_PKfPKi31ggml_cuda_mm_fusion_args_devicePfi15HIP_vector_typeIjLj3EEiiiSA_iiiSA_iiii.has_indirect_call, 0
	.section	.AMDGPU.csdata,"",@progbits
; Kernel info:
; codeLenInByte = 1076
; TotalNumSgprs: 32
; NumVgprs: 12
; ScratchSize: 0
; MemoryBound: 0
; FloatMode: 240
; IeeeMode: 1
; LDSByteSize: 0 bytes/workgroup (compile time only)
; SGPRBlocks: 0
; VGPRBlocks: 1
; NumSGPRsForWavesPerEU: 32
; NumVGPRsForWavesPerEU: 12
; Occupancy: 16
; WaveLimiterHint : 0
; COMPUTE_PGM_RSRC2:SCRATCH_EN: 0
; COMPUTE_PGM_RSRC2:USER_SGPR: 6
; COMPUTE_PGM_RSRC2:TRAP_HANDLER: 0
; COMPUTE_PGM_RSRC2:TGID_X_EN: 1
; COMPUTE_PGM_RSRC2:TGID_Y_EN: 1
; COMPUTE_PGM_RSRC2:TGID_Z_EN: 1
; COMPUTE_PGM_RSRC2:TIDIG_COMP_CNT: 0
	.section	.text._ZL13mul_mat_vec_fIffLi2ELi32ELb0ELb0EEvPKT_PKfPKi31ggml_cuda_mm_fusion_args_devicePfi15HIP_vector_typeIjLj3EEiiiSA_iiiSA_iiii,"axG",@progbits,_ZL13mul_mat_vec_fIffLi2ELi32ELb0ELb0EEvPKT_PKfPKi31ggml_cuda_mm_fusion_args_devicePfi15HIP_vector_typeIjLj3EEiiiSA_iiiSA_iiii,comdat
	.globl	_ZL13mul_mat_vec_fIffLi2ELi32ELb0ELb0EEvPKT_PKfPKi31ggml_cuda_mm_fusion_args_devicePfi15HIP_vector_typeIjLj3EEiiiSA_iiiSA_iiii ; -- Begin function _ZL13mul_mat_vec_fIffLi2ELi32ELb0ELb0EEvPKT_PKfPKi31ggml_cuda_mm_fusion_args_devicePfi15HIP_vector_typeIjLj3EEiiiSA_iiiSA_iiii
	.p2align	8
	.type	_ZL13mul_mat_vec_fIffLi2ELi32ELb0ELb0EEvPKT_PKfPKi31ggml_cuda_mm_fusion_args_devicePfi15HIP_vector_typeIjLj3EEiiiSA_iiiSA_iiii,@function
_ZL13mul_mat_vec_fIffLi2ELi32ELb0ELb0EEvPKT_PKfPKi31ggml_cuda_mm_fusion_args_devicePfi15HIP_vector_typeIjLj3EEiiiSA_iiiSA_iiii: ; @_ZL13mul_mat_vec_fIffLi2ELi32ELb0ELb0EEvPKT_PKfPKi31ggml_cuda_mm_fusion_args_devicePfi15HIP_vector_typeIjLj3EEiiiSA_iiiSA_iiii
; %bb.0:
	s_clause 0x2
	s_load_dwordx2 s[20:21], s[4:5], 0x10
	s_load_dwordx8 s[12:19], s[4:5], 0x40
	s_load_dwordx4 s[0:3], s[4:5], 0x80
	s_waitcnt lgkmcnt(0)
	s_cmp_eq_u64 s[20:21], 0
	s_cselect_b32 s9, -1, 0
	s_cmp_lg_u64 s[20:21], 0
	s_cselect_b32 s25, -1, 0
	s_and_b32 vcc_lo, exec_lo, s9
	s_cbranch_vccnz .LBB32_2
; %bb.1:
	s_mul_i32 s3, s3, s8
	s_mov_b32 s11, 0
	s_add_i32 s10, s3, s7
	s_lshl_b64 s[22:23], s[10:11], 2
	s_add_u32 s20, s20, s22
	s_addc_u32 s21, s21, s23
	s_load_dword s24, s[20:21], 0x0
	s_load_dwordx4 s[20:23], s[4:5], 0x68
	s_cbranch_execz .LBB32_3
	s_branch .LBB32_4
.LBB32_2:
                                        ; implicit-def: $sgpr24
	s_load_dwordx4 s[20:23], s[4:5], 0x68
.LBB32_3:
	s_load_dwordx2 s[10:11], s[4:5], 0x5c
	s_waitcnt lgkmcnt(0)
	s_mul_hi_u32 s3, s10, s7
	s_add_i32 s3, s7, s3
	s_lshr_b32 s24, s3, s11
.LBB32_4:
	s_load_dword s19, s[4:5], 0x78
	s_andn2_b32 vcc_lo, exec_lo, s25
	s_mov_b32 s25, s7
	s_cbranch_vccnz .LBB32_6
; %bb.5:
	s_mul_hi_u32 s3, s13, s7
	s_add_i32 s3, s7, s3
	s_lshr_b32 s3, s3, s14
	s_mul_i32 s3, s3, s15
	s_sub_i32 s25, s7, s3
.LBB32_6:
	v_mov_b32_e32 v6, 0
	v_mov_b32_e32 v5, 0
	s_and_b32 s3, exec_lo, s9
	s_mov_b32 s14, 0
	s_cselect_b32 s3, s8, 0
	s_mov_b32 s13, exec_lo
	v_cmpx_gt_i32_e64 s12, v0
	s_cbranch_execz .LBB32_10
; %bb.7:
	s_load_dwordx4 s[8:11], s[4:5], 0x0
	s_waitcnt lgkmcnt(0)
	s_mul_hi_u32 s15, s23, s3
	s_mul_i32 s20, s24, s20
	s_add_i32 s15, s3, s15
	s_mul_i32 s16, s16, s6
	s_lshr_b32 s15, s15, s19
	s_mul_i32 s24, s25, s21
	s_ashr_i32 s21, s20, 31
	s_ashr_i32 s27, s17, 31
	s_mov_b32 s26, s17
	s_ashr_i32 s17, s16, 31
	s_mul_hi_i32 s29, s15, s0
	s_mul_i32 s28, s15, s0
	s_lshl_b64 s[20:21], s[20:21], 2
	s_ashr_i32 s25, s24, 31
	s_lshl_b64 s[16:17], s[16:17], 2
	s_lshl_b64 s[28:29], s[28:29], 2
	v_lshlrev_b32_e32 v1, 3, v0
	v_mov_b32_e32 v5, 0
	v_mov_b32_e32 v7, v0
	s_add_u32 s0, s8, s20
	s_addc_u32 s8, s9, s21
	s_add_u32 s0, s0, s16
	s_addc_u32 s8, s8, s17
	;; [unrolled: 2-line block ×3, first 2 shown]
	v_add_co_u32 v2, s0, s0, v1
	s_mul_hi_i32 s17, s3, s1
	s_mul_i32 s16, s3, s1
	v_add_co_ci_u32_e64 v3, null, s8, 0, s0
	s_lshl_b64 s[0:1], s[24:25], 2
	s_lshl_b64 s[8:9], s[26:27], 3
	;; [unrolled: 1-line block ×3, first 2 shown]
	s_add_u32 s0, s10, s0
	s_addc_u32 s1, s11, s1
	s_add_u32 s0, s0, s16
	s_addc_u32 s1, s1, s17
	v_add_co_u32 v4, s0, s0, v1
	v_add_co_ci_u32_e64 v6, null, s1, 0, s0
	v_add_co_u32 v1, vcc_lo, v2, 4
	v_add_co_ci_u32_e64 v2, null, 0, v3, vcc_lo
	v_add_co_u32 v3, vcc_lo, v4, 4
	v_add_co_ci_u32_e64 v4, null, 0, v6, vcc_lo
	v_mov_b32_e32 v6, 0
	.p2align	6
.LBB32_8:                               ; =>This Inner Loop Header: Depth=1
	v_add_co_u32 v8, vcc_lo, v3, s8
	v_add_co_ci_u32_e64 v9, null, s9, v4, vcc_lo
	v_add_nc_u32_e32 v7, 32, v7
	global_load_dwordx2 v[10:11], v[1:2], off offset:-4
	s_clause 0x1
	global_load_dwordx2 v[12:13], v[3:4], off offset:-4
	global_load_dwordx2 v[8:9], v[8:9], off offset:-4
	v_add_co_u32 v1, vcc_lo, 0x100, v1
	v_add_co_ci_u32_e64 v2, null, 0, v2, vcc_lo
	v_cmp_le_i32_e32 vcc_lo, s12, v7
	v_add_co_u32 v3, s0, 0x100, v3
	v_add_co_ci_u32_e64 v4, null, 0, v4, s0
	s_or_b32 s14, vcc_lo, s14
	s_waitcnt vmcnt(1)
	v_fmac_f32_e32 v5, v10, v12
	s_waitcnt vmcnt(0)
	v_fmac_f32_e32 v6, v10, v8
	v_fmac_f32_e32 v5, v11, v13
	;; [unrolled: 1-line block ×3, first 2 shown]
	s_andn2_b32 exec_lo, exec_lo, s14
	s_cbranch_execnz .LBB32_8
; %bb.9:
	s_or_b32 exec_lo, exec_lo, s14
.LBB32_10:
	s_or_b32 exec_lo, exec_lo, s13
	v_mbcnt_lo_u32_b32 v1, -1, 0
	s_mov_b32 s0, exec_lo
	v_xor_b32_e32 v2, 16, v1
	v_xor_b32_e32 v4, 8, v1
	v_cmp_gt_i32_e32 vcc_lo, 32, v2
	v_cndmask_b32_e32 v2, v1, v2, vcc_lo
	v_cmp_gt_i32_e32 vcc_lo, 32, v4
	v_lshlrev_b32_e32 v2, 2, v2
	v_cndmask_b32_e32 v4, v1, v4, vcc_lo
	ds_bpermute_b32 v3, v2, v5
	ds_bpermute_b32 v2, v2, v6
	v_lshlrev_b32_e32 v4, 2, v4
	s_waitcnt lgkmcnt(0)
	v_add_f32_e32 v3, v5, v3
	v_add_f32_e32 v2, v6, v2
	v_xor_b32_e32 v6, 4, v1
	ds_bpermute_b32 v5, v4, v3
	ds_bpermute_b32 v4, v4, v2
	v_cmp_gt_i32_e32 vcc_lo, 32, v6
	v_cndmask_b32_e32 v6, v1, v6, vcc_lo
	v_lshlrev_b32_e32 v6, 2, v6
	s_waitcnt lgkmcnt(1)
	v_add_f32_e32 v3, v3, v5
	s_waitcnt lgkmcnt(0)
	v_add_f32_e32 v2, v2, v4
	ds_bpermute_b32 v4, v6, v3
	ds_bpermute_b32 v5, v6, v2
	v_xor_b32_e32 v6, 2, v1
	v_cmp_gt_i32_e32 vcc_lo, 32, v6
	v_cndmask_b32_e32 v6, v1, v6, vcc_lo
	v_lshlrev_b32_e32 v6, 2, v6
	s_waitcnt lgkmcnt(1)
	v_add_f32_e32 v3, v3, v4
	s_waitcnt lgkmcnt(0)
	v_add_f32_e32 v2, v2, v5
	ds_bpermute_b32 v4, v6, v3
	ds_bpermute_b32 v5, v6, v2
	v_xor_b32_e32 v6, 1, v1
	v_cmp_gt_i32_e32 vcc_lo, 32, v6
	v_cndmask_b32_e32 v1, v1, v6, vcc_lo
	v_lshlrev_b32_e32 v6, 2, v1
	s_waitcnt lgkmcnt(1)
	v_add_f32_e32 v1, v3, v4
	s_waitcnt lgkmcnt(0)
	v_add_f32_e32 v2, v2, v5
	ds_bpermute_b32 v3, v6, v1
	ds_bpermute_b32 v4, v6, v2
	v_cmpx_gt_u32_e32 2, v0
	s_cbranch_execz .LBB32_12
; %bb.11:
	s_load_dwordx2 s[0:1], s[4:5], 0x38
	v_mad_u64_u32 v[5:6], null, s18, v0, s[6:7]
	s_mul_hi_i32 s5, s2, s3
	s_mul_i32 s4, s2, s3
	s_mul_i32 s2, s22, s7
	s_lshl_b64 s[4:5], s[4:5], 2
	s_waitcnt lgkmcnt(0)
	v_add_f32_e32 v3, v1, v3
	v_add_f32_e32 v4, v2, v4
	v_ashrrev_i32_e32 v6, 31, v5
	s_ashr_i32 s3, s2, 31
	v_cmp_eq_u32_e32 vcc_lo, 1, v0
	v_lshlrev_b64 v[1:2], 2, v[5:6]
	v_cndmask_b32_e32 v3, v3, v4, vcc_lo
	s_add_u32 s4, s0, s4
	s_addc_u32 s5, s1, s5
	s_lshl_b64 s[0:1], s[2:3], 2
	s_add_u32 s0, s4, s0
	s_addc_u32 s1, s5, s1
	v_add_co_u32 v0, vcc_lo, s0, v1
	v_add_co_ci_u32_e64 v1, null, s1, v2, vcc_lo
	global_store_dword v[0:1], v3, off
.LBB32_12:
	s_endpgm
	.section	.rodata,"a",@progbits
	.p2align	6, 0x0
	.amdhsa_kernel _ZL13mul_mat_vec_fIffLi2ELi32ELb0ELb0EEvPKT_PKfPKi31ggml_cuda_mm_fusion_args_devicePfi15HIP_vector_typeIjLj3EEiiiSA_iiiSA_iiii
		.amdhsa_group_segment_fixed_size 0
		.amdhsa_private_segment_fixed_size 0
		.amdhsa_kernarg_size 144
		.amdhsa_user_sgpr_count 6
		.amdhsa_user_sgpr_private_segment_buffer 1
		.amdhsa_user_sgpr_dispatch_ptr 0
		.amdhsa_user_sgpr_queue_ptr 0
		.amdhsa_user_sgpr_kernarg_segment_ptr 1
		.amdhsa_user_sgpr_dispatch_id 0
		.amdhsa_user_sgpr_flat_scratch_init 0
		.amdhsa_user_sgpr_private_segment_size 0
		.amdhsa_wavefront_size32 1
		.amdhsa_uses_dynamic_stack 0
		.amdhsa_system_sgpr_private_segment_wavefront_offset 0
		.amdhsa_system_sgpr_workgroup_id_x 1
		.amdhsa_system_sgpr_workgroup_id_y 1
		.amdhsa_system_sgpr_workgroup_id_z 1
		.amdhsa_system_sgpr_workgroup_info 0
		.amdhsa_system_vgpr_workitem_id 0
		.amdhsa_next_free_vgpr 14
		.amdhsa_next_free_sgpr 30
		.amdhsa_reserve_vcc 1
		.amdhsa_reserve_flat_scratch 0
		.amdhsa_float_round_mode_32 0
		.amdhsa_float_round_mode_16_64 0
		.amdhsa_float_denorm_mode_32 3
		.amdhsa_float_denorm_mode_16_64 3
		.amdhsa_dx10_clamp 1
		.amdhsa_ieee_mode 1
		.amdhsa_fp16_overflow 0
		.amdhsa_workgroup_processor_mode 1
		.amdhsa_memory_ordered 1
		.amdhsa_forward_progress 1
		.amdhsa_shared_vgpr_count 0
		.amdhsa_exception_fp_ieee_invalid_op 0
		.amdhsa_exception_fp_denorm_src 0
		.amdhsa_exception_fp_ieee_div_zero 0
		.amdhsa_exception_fp_ieee_overflow 0
		.amdhsa_exception_fp_ieee_underflow 0
		.amdhsa_exception_fp_ieee_inexact 0
		.amdhsa_exception_int_div_zero 0
	.end_amdhsa_kernel
	.section	.text._ZL13mul_mat_vec_fIffLi2ELi32ELb0ELb0EEvPKT_PKfPKi31ggml_cuda_mm_fusion_args_devicePfi15HIP_vector_typeIjLj3EEiiiSA_iiiSA_iiii,"axG",@progbits,_ZL13mul_mat_vec_fIffLi2ELi32ELb0ELb0EEvPKT_PKfPKi31ggml_cuda_mm_fusion_args_devicePfi15HIP_vector_typeIjLj3EEiiiSA_iiiSA_iiii,comdat
.Lfunc_end32:
	.size	_ZL13mul_mat_vec_fIffLi2ELi32ELb0ELb0EEvPKT_PKfPKi31ggml_cuda_mm_fusion_args_devicePfi15HIP_vector_typeIjLj3EEiiiSA_iiiSA_iiii, .Lfunc_end32-_ZL13mul_mat_vec_fIffLi2ELi32ELb0ELb0EEvPKT_PKfPKi31ggml_cuda_mm_fusion_args_devicePfi15HIP_vector_typeIjLj3EEiiiSA_iiiSA_iiii
                                        ; -- End function
	.set _ZL13mul_mat_vec_fIffLi2ELi32ELb0ELb0EEvPKT_PKfPKi31ggml_cuda_mm_fusion_args_devicePfi15HIP_vector_typeIjLj3EEiiiSA_iiiSA_iiii.num_vgpr, 14
	.set _ZL13mul_mat_vec_fIffLi2ELi32ELb0ELb0EEvPKT_PKfPKi31ggml_cuda_mm_fusion_args_devicePfi15HIP_vector_typeIjLj3EEiiiSA_iiiSA_iiii.num_agpr, 0
	.set _ZL13mul_mat_vec_fIffLi2ELi32ELb0ELb0EEvPKT_PKfPKi31ggml_cuda_mm_fusion_args_devicePfi15HIP_vector_typeIjLj3EEiiiSA_iiiSA_iiii.numbered_sgpr, 30
	.set _ZL13mul_mat_vec_fIffLi2ELi32ELb0ELb0EEvPKT_PKfPKi31ggml_cuda_mm_fusion_args_devicePfi15HIP_vector_typeIjLj3EEiiiSA_iiiSA_iiii.num_named_barrier, 0
	.set _ZL13mul_mat_vec_fIffLi2ELi32ELb0ELb0EEvPKT_PKfPKi31ggml_cuda_mm_fusion_args_devicePfi15HIP_vector_typeIjLj3EEiiiSA_iiiSA_iiii.private_seg_size, 0
	.set _ZL13mul_mat_vec_fIffLi2ELi32ELb0ELb0EEvPKT_PKfPKi31ggml_cuda_mm_fusion_args_devicePfi15HIP_vector_typeIjLj3EEiiiSA_iiiSA_iiii.uses_vcc, 1
	.set _ZL13mul_mat_vec_fIffLi2ELi32ELb0ELb0EEvPKT_PKfPKi31ggml_cuda_mm_fusion_args_devicePfi15HIP_vector_typeIjLj3EEiiiSA_iiiSA_iiii.uses_flat_scratch, 0
	.set _ZL13mul_mat_vec_fIffLi2ELi32ELb0ELb0EEvPKT_PKfPKi31ggml_cuda_mm_fusion_args_devicePfi15HIP_vector_typeIjLj3EEiiiSA_iiiSA_iiii.has_dyn_sized_stack, 0
	.set _ZL13mul_mat_vec_fIffLi2ELi32ELb0ELb0EEvPKT_PKfPKi31ggml_cuda_mm_fusion_args_devicePfi15HIP_vector_typeIjLj3EEiiiSA_iiiSA_iiii.has_recursion, 0
	.set _ZL13mul_mat_vec_fIffLi2ELi32ELb0ELb0EEvPKT_PKfPKi31ggml_cuda_mm_fusion_args_devicePfi15HIP_vector_typeIjLj3EEiiiSA_iiiSA_iiii.has_indirect_call, 0
	.section	.AMDGPU.csdata,"",@progbits
; Kernel info:
; codeLenInByte = 940
; TotalNumSgprs: 32
; NumVgprs: 14
; ScratchSize: 0
; MemoryBound: 0
; FloatMode: 240
; IeeeMode: 1
; LDSByteSize: 0 bytes/workgroup (compile time only)
; SGPRBlocks: 0
; VGPRBlocks: 1
; NumSGPRsForWavesPerEU: 32
; NumVGPRsForWavesPerEU: 14
; Occupancy: 16
; WaveLimiterHint : 0
; COMPUTE_PGM_RSRC2:SCRATCH_EN: 0
; COMPUTE_PGM_RSRC2:USER_SGPR: 6
; COMPUTE_PGM_RSRC2:TRAP_HANDLER: 0
; COMPUTE_PGM_RSRC2:TGID_X_EN: 1
; COMPUTE_PGM_RSRC2:TGID_Y_EN: 1
; COMPUTE_PGM_RSRC2:TGID_Z_EN: 1
; COMPUTE_PGM_RSRC2:TIDIG_COMP_CNT: 0
	.section	.text._ZL13mul_mat_vec_fIffLi2ELi64ELb0ELb0EEvPKT_PKfPKi31ggml_cuda_mm_fusion_args_devicePfi15HIP_vector_typeIjLj3EEiiiSA_iiiSA_iiii,"axG",@progbits,_ZL13mul_mat_vec_fIffLi2ELi64ELb0ELb0EEvPKT_PKfPKi31ggml_cuda_mm_fusion_args_devicePfi15HIP_vector_typeIjLj3EEiiiSA_iiiSA_iiii,comdat
	.globl	_ZL13mul_mat_vec_fIffLi2ELi64ELb0ELb0EEvPKT_PKfPKi31ggml_cuda_mm_fusion_args_devicePfi15HIP_vector_typeIjLj3EEiiiSA_iiiSA_iiii ; -- Begin function _ZL13mul_mat_vec_fIffLi2ELi64ELb0ELb0EEvPKT_PKfPKi31ggml_cuda_mm_fusion_args_devicePfi15HIP_vector_typeIjLj3EEiiiSA_iiiSA_iiii
	.p2align	8
	.type	_ZL13mul_mat_vec_fIffLi2ELi64ELb0ELb0EEvPKT_PKfPKi31ggml_cuda_mm_fusion_args_devicePfi15HIP_vector_typeIjLj3EEiiiSA_iiiSA_iiii,@function
_ZL13mul_mat_vec_fIffLi2ELi64ELb0ELb0EEvPKT_PKfPKi31ggml_cuda_mm_fusion_args_devicePfi15HIP_vector_typeIjLj3EEiiiSA_iiiSA_iiii: ; @_ZL13mul_mat_vec_fIffLi2ELi64ELb0ELb0EEvPKT_PKfPKi31ggml_cuda_mm_fusion_args_devicePfi15HIP_vector_typeIjLj3EEiiiSA_iiiSA_iiii
; %bb.0:
	s_clause 0x2
	s_load_dwordx2 s[0:1], s[4:5], 0x10
	s_load_dwordx8 s[12:19], s[4:5], 0x40
	s_load_dwordx4 s[20:23], s[4:5], 0x80
	s_waitcnt lgkmcnt(0)
	s_cmp_eq_u64 s[0:1], 0
	s_cselect_b32 s10, -1, 0
	s_cmp_lg_u64 s[0:1], 0
	s_cselect_b32 s11, -1, 0
	s_and_b32 vcc_lo, exec_lo, s10
	s_cbranch_vccnz .LBB33_2
; %bb.1:
	s_mul_i32 s2, s23, s8
	s_mov_b32 s3, 0
	s_add_i32 s2, s2, s7
	s_lshl_b64 s[24:25], s[2:3], 2
	s_add_u32 s0, s0, s24
	s_addc_u32 s1, s1, s25
	s_load_dword s9, s[0:1], 0x0
	s_cbranch_execz .LBB33_3
	s_branch .LBB33_4
.LBB33_2:
                                        ; implicit-def: $sgpr9
.LBB33_3:
	s_load_dwordx2 s[0:1], s[4:5], 0x5c
	s_waitcnt lgkmcnt(0)
	s_mul_hi_u32 s0, s0, s7
	s_add_i32 s0, s7, s0
	s_lshr_b32 s9, s0, s1
.LBB33_4:
	s_load_dwordx4 s[24:27], s[4:5], 0x68
	s_andn2_b32 vcc_lo, exec_lo, s11
	s_mov_b32 s19, s7
	s_cbranch_vccnz .LBB33_6
; %bb.5:
	s_mul_hi_u32 s0, s13, s7
	s_add_i32 s0, s7, s0
	s_lshr_b32 s0, s0, s14
	s_mul_i32 s0, s0, s15
	s_sub_i32 s19, s7, s0
.LBB33_6:
	s_load_dword s14, s[4:5], 0x78
	v_cmp_gt_u32_e32 vcc_lo, 32, v0
	v_lshl_add_u32 v5, v0, 2, 0
	s_and_saveexec_b32 s0, vcc_lo
; %bb.7:
	v_mov_b32_e32 v1, 0
	ds_write_b32 v5, v1
; %bb.8:
	s_or_b32 exec_lo, exec_lo, s0
	v_mov_b32_e32 v6, 0
	v_mov_b32_e32 v7, 0
	s_and_b32 s0, exec_lo, s10
	s_mov_b32 s11, 0
	s_cselect_b32 s10, s8, 0
	s_mov_b32 s13, exec_lo
	s_waitcnt lgkmcnt(0)
	s_barrier
	buffer_gl0_inv
	v_cmpx_gt_i32_e64 s12, v0
	s_cbranch_execz .LBB33_12
; %bb.9:
	s_load_dwordx4 s[0:3], s[4:5], 0x0
	s_mul_hi_u32 s15, s27, s10
	s_mul_i32 s16, s16, s6
	s_add_i32 s15, s10, s15
	s_mul_i32 s8, s9, s24
	s_mul_i32 s24, s19, s25
	s_ashr_i32 s29, s17, 31
	s_mov_b32 s28, s17
	s_ashr_i32 s17, s16, 31
	s_lshr_b32 s19, s15, s14
	s_ashr_i32 s9, s8, 31
	s_lshl_b64 s[14:15], s[16:17], 2
	s_mul_hi_i32 s17, s19, s20
	s_mul_i32 s16, s19, s20
	s_lshl_b64 s[8:9], s[8:9], 2
	s_ashr_i32 s25, s24, 31
	s_lshl_b64 s[16:17], s[16:17], 2
	v_lshlrev_b32_e32 v1, 3, v0
	v_mov_b32_e32 v7, 0
	v_mov_b32_e32 v8, v0
	s_waitcnt lgkmcnt(0)
	s_add_u32 s0, s0, s8
	s_addc_u32 s1, s1, s9
	s_add_u32 s0, s0, s14
	s_addc_u32 s1, s1, s15
	;; [unrolled: 2-line block ×3, first 2 shown]
	v_add_co_u32 v2, s0, s0, v1
	v_add_co_ci_u32_e64 v3, null, s1, 0, s0
	s_mul_hi_i32 s1, s10, s21
	s_mul_i32 s0, s10, s21
	s_lshl_b64 s[14:15], s[24:25], 2
	s_lshl_b64 s[8:9], s[28:29], 3
	;; [unrolled: 1-line block ×3, first 2 shown]
	s_add_u32 s2, s2, s14
	s_addc_u32 s3, s3, s15
	s_add_u32 s0, s2, s0
	s_addc_u32 s1, s3, s1
	v_add_co_u32 v4, s0, s0, v1
	v_add_co_ci_u32_e64 v6, null, s1, 0, s0
	v_add_co_u32 v1, s0, v2, 4
	v_add_co_ci_u32_e64 v2, null, 0, v3, s0
	;; [unrolled: 2-line block ×3, first 2 shown]
	v_mov_b32_e32 v6, 0
	.p2align	6
.LBB33_10:                              ; =>This Inner Loop Header: Depth=1
	v_add_co_u32 v9, s0, v3, s8
	v_add_co_ci_u32_e64 v10, null, s9, v4, s0
	v_add_nc_u32_e32 v8, 64, v8
	global_load_dwordx2 v[11:12], v[1:2], off offset:-4
	s_clause 0x1
	global_load_dwordx2 v[13:14], v[3:4], off offset:-4
	global_load_dwordx2 v[9:10], v[9:10], off offset:-4
	v_add_co_u32 v1, s0, 0x200, v1
	v_add_co_ci_u32_e64 v2, null, 0, v2, s0
	v_cmp_le_i32_e64 s0, s12, v8
	v_add_co_u32 v3, s1, 0x200, v3
	v_add_co_ci_u32_e64 v4, null, 0, v4, s1
	s_or_b32 s11, s0, s11
	s_waitcnt vmcnt(1)
	v_fmac_f32_e32 v7, v11, v13
	s_waitcnt vmcnt(0)
	v_fmac_f32_e32 v6, v11, v9
	v_fmac_f32_e32 v7, v12, v14
	;; [unrolled: 1-line block ×3, first 2 shown]
	s_andn2_b32 exec_lo, exec_lo, s11
	s_cbranch_execnz .LBB33_10
; %bb.11:
	s_or_b32 exec_lo, exec_lo, s11
.LBB33_12:
	s_or_b32 exec_lo, exec_lo, s13
	v_mbcnt_lo_u32_b32 v2, -1, 0
	v_xor_b32_e32 v1, 16, v2
	v_xor_b32_e32 v3, 8, v2
	v_cmp_gt_i32_e64 s0, 32, v1
	v_cndmask_b32_e64 v1, v2, v1, s0
	v_cmp_gt_i32_e64 s0, 32, v3
	v_lshlrev_b32_e32 v1, 2, v1
	v_cndmask_b32_e64 v3, v2, v3, s0
	ds_bpermute_b32 v4, v1, v7
	v_lshlrev_b32_e32 v3, 2, v3
	s_waitcnt lgkmcnt(0)
	v_add_f32_e32 v7, v7, v4
	v_xor_b32_e32 v4, 4, v2
	ds_bpermute_b32 v8, v3, v7
	v_cmp_gt_i32_e64 s0, 32, v4
	v_cndmask_b32_e64 v4, v2, v4, s0
	v_lshlrev_b32_e32 v4, 2, v4
	s_waitcnt lgkmcnt(0)
	v_add_f32_e32 v8, v7, v8
	v_xor_b32_e32 v7, 2, v2
	ds_bpermute_b32 v9, v4, v8
	v_cmp_gt_i32_e64 s0, 32, v7
	v_cndmask_b32_e64 v7, v2, v7, s0
	;; [unrolled: 7-line block ×3, first 2 shown]
	v_lshlrev_b32_e32 v8, 2, v2
	s_waitcnt lgkmcnt(0)
	v_add_f32_e32 v2, v9, v10
	v_lshrrev_b32_e32 v9, 3, v0
	ds_bpermute_b32 v10, v8, v2
	v_and_b32_e32 v9, 0x7c, v9
	v_add_nc_u32_e32 v9, 0, v9
	s_waitcnt lgkmcnt(0)
	v_add_f32_e32 v2, v2, v10
	ds_write_b32 v9, v2
	s_waitcnt lgkmcnt(0)
	s_barrier
	buffer_gl0_inv
	s_and_saveexec_b32 s0, vcc_lo
	s_cbranch_execz .LBB33_14
; %bb.13:
	ds_read_b32 v2, v5
	s_waitcnt lgkmcnt(0)
	ds_bpermute_b32 v10, v1, v2
	s_waitcnt lgkmcnt(0)
	v_add_f32_e32 v2, v2, v10
	ds_bpermute_b32 v10, v3, v2
	s_waitcnt lgkmcnt(0)
	v_add_f32_e32 v2, v2, v10
	;; [unrolled: 3-line block ×5, first 2 shown]
.LBB33_14:
	s_or_b32 exec_lo, exec_lo, s0
	ds_bpermute_b32 v10, v1, v6
	s_waitcnt lgkmcnt(0)
	s_barrier
	buffer_gl0_inv
	v_add_f32_e32 v6, v6, v10
	ds_bpermute_b32 v10, v3, v6
	s_waitcnt lgkmcnt(0)
	v_add_f32_e32 v6, v6, v10
	ds_bpermute_b32 v10, v4, v6
	s_waitcnt lgkmcnt(0)
	;; [unrolled: 3-line block ×4, first 2 shown]
	v_add_f32_e32 v6, v6, v10
	ds_write_b32 v9, v6
	s_waitcnt lgkmcnt(0)
	s_barrier
	buffer_gl0_inv
	s_and_saveexec_b32 s0, vcc_lo
	s_cbranch_execz .LBB33_16
; %bb.15:
	ds_read_b32 v5, v5
	s_waitcnt lgkmcnt(0)
	ds_bpermute_b32 v1, v1, v5
	s_waitcnt lgkmcnt(0)
	v_add_f32_e32 v1, v5, v1
	ds_bpermute_b32 v3, v3, v1
	s_waitcnt lgkmcnt(0)
	v_add_f32_e32 v1, v1, v3
	;; [unrolled: 3-line block ×5, first 2 shown]
.LBB33_16:
	s_or_b32 exec_lo, exec_lo, s0
	s_barrier
	buffer_gl0_inv
	s_mov_b32 s0, exec_lo
	v_cmpx_gt_u32_e32 2, v0
	s_cbranch_execz .LBB33_18
; %bb.17:
	s_load_dwordx2 s[0:1], s[4:5], 0x38
	v_mad_u64_u32 v[3:4], null, s18, v0, s[6:7]
	s_mul_hi_i32 s3, s22, s10
	s_mul_i32 s2, s22, s10
	s_mul_i32 s4, s26, s7
	s_lshl_b64 s[2:3], s[2:3], 2
	s_ashr_i32 s5, s4, 31
	v_cmp_eq_u32_e32 vcc_lo, 1, v0
	v_ashrrev_i32_e32 v4, 31, v3
	v_cndmask_b32_e32 v2, v2, v6, vcc_lo
	v_lshlrev_b64 v[3:4], 2, v[3:4]
	s_waitcnt lgkmcnt(0)
	s_add_u32 s2, s0, s2
	s_addc_u32 s3, s1, s3
	s_lshl_b64 s[0:1], s[4:5], 2
	s_add_u32 s0, s2, s0
	s_addc_u32 s1, s3, s1
	v_add_co_u32 v0, vcc_lo, s0, v3
	v_add_co_ci_u32_e64 v1, null, s1, v4, vcc_lo
	global_store_dword v[0:1], v2, off
.LBB33_18:
	s_endpgm
	.section	.rodata,"a",@progbits
	.p2align	6, 0x0
	.amdhsa_kernel _ZL13mul_mat_vec_fIffLi2ELi64ELb0ELb0EEvPKT_PKfPKi31ggml_cuda_mm_fusion_args_devicePfi15HIP_vector_typeIjLj3EEiiiSA_iiiSA_iiii
		.amdhsa_group_segment_fixed_size 0
		.amdhsa_private_segment_fixed_size 0
		.amdhsa_kernarg_size 144
		.amdhsa_user_sgpr_count 6
		.amdhsa_user_sgpr_private_segment_buffer 1
		.amdhsa_user_sgpr_dispatch_ptr 0
		.amdhsa_user_sgpr_queue_ptr 0
		.amdhsa_user_sgpr_kernarg_segment_ptr 1
		.amdhsa_user_sgpr_dispatch_id 0
		.amdhsa_user_sgpr_flat_scratch_init 0
		.amdhsa_user_sgpr_private_segment_size 0
		.amdhsa_wavefront_size32 1
		.amdhsa_uses_dynamic_stack 0
		.amdhsa_system_sgpr_private_segment_wavefront_offset 0
		.amdhsa_system_sgpr_workgroup_id_x 1
		.amdhsa_system_sgpr_workgroup_id_y 1
		.amdhsa_system_sgpr_workgroup_id_z 1
		.amdhsa_system_sgpr_workgroup_info 0
		.amdhsa_system_vgpr_workitem_id 0
		.amdhsa_next_free_vgpr 15
		.amdhsa_next_free_sgpr 30
		.amdhsa_reserve_vcc 1
		.amdhsa_reserve_flat_scratch 0
		.amdhsa_float_round_mode_32 0
		.amdhsa_float_round_mode_16_64 0
		.amdhsa_float_denorm_mode_32 3
		.amdhsa_float_denorm_mode_16_64 3
		.amdhsa_dx10_clamp 1
		.amdhsa_ieee_mode 1
		.amdhsa_fp16_overflow 0
		.amdhsa_workgroup_processor_mode 1
		.amdhsa_memory_ordered 1
		.amdhsa_forward_progress 1
		.amdhsa_shared_vgpr_count 0
		.amdhsa_exception_fp_ieee_invalid_op 0
		.amdhsa_exception_fp_denorm_src 0
		.amdhsa_exception_fp_ieee_div_zero 0
		.amdhsa_exception_fp_ieee_overflow 0
		.amdhsa_exception_fp_ieee_underflow 0
		.amdhsa_exception_fp_ieee_inexact 0
		.amdhsa_exception_int_div_zero 0
	.end_amdhsa_kernel
	.section	.text._ZL13mul_mat_vec_fIffLi2ELi64ELb0ELb0EEvPKT_PKfPKi31ggml_cuda_mm_fusion_args_devicePfi15HIP_vector_typeIjLj3EEiiiSA_iiiSA_iiii,"axG",@progbits,_ZL13mul_mat_vec_fIffLi2ELi64ELb0ELb0EEvPKT_PKfPKi31ggml_cuda_mm_fusion_args_devicePfi15HIP_vector_typeIjLj3EEiiiSA_iiiSA_iiii,comdat
.Lfunc_end33:
	.size	_ZL13mul_mat_vec_fIffLi2ELi64ELb0ELb0EEvPKT_PKfPKi31ggml_cuda_mm_fusion_args_devicePfi15HIP_vector_typeIjLj3EEiiiSA_iiiSA_iiii, .Lfunc_end33-_ZL13mul_mat_vec_fIffLi2ELi64ELb0ELb0EEvPKT_PKfPKi31ggml_cuda_mm_fusion_args_devicePfi15HIP_vector_typeIjLj3EEiiiSA_iiiSA_iiii
                                        ; -- End function
	.set _ZL13mul_mat_vec_fIffLi2ELi64ELb0ELb0EEvPKT_PKfPKi31ggml_cuda_mm_fusion_args_devicePfi15HIP_vector_typeIjLj3EEiiiSA_iiiSA_iiii.num_vgpr, 15
	.set _ZL13mul_mat_vec_fIffLi2ELi64ELb0ELb0EEvPKT_PKfPKi31ggml_cuda_mm_fusion_args_devicePfi15HIP_vector_typeIjLj3EEiiiSA_iiiSA_iiii.num_agpr, 0
	.set _ZL13mul_mat_vec_fIffLi2ELi64ELb0ELb0EEvPKT_PKfPKi31ggml_cuda_mm_fusion_args_devicePfi15HIP_vector_typeIjLj3EEiiiSA_iiiSA_iiii.numbered_sgpr, 30
	.set _ZL13mul_mat_vec_fIffLi2ELi64ELb0ELb0EEvPKT_PKfPKi31ggml_cuda_mm_fusion_args_devicePfi15HIP_vector_typeIjLj3EEiiiSA_iiiSA_iiii.num_named_barrier, 0
	.set _ZL13mul_mat_vec_fIffLi2ELi64ELb0ELb0EEvPKT_PKfPKi31ggml_cuda_mm_fusion_args_devicePfi15HIP_vector_typeIjLj3EEiiiSA_iiiSA_iiii.private_seg_size, 0
	.set _ZL13mul_mat_vec_fIffLi2ELi64ELb0ELb0EEvPKT_PKfPKi31ggml_cuda_mm_fusion_args_devicePfi15HIP_vector_typeIjLj3EEiiiSA_iiiSA_iiii.uses_vcc, 1
	.set _ZL13mul_mat_vec_fIffLi2ELi64ELb0ELb0EEvPKT_PKfPKi31ggml_cuda_mm_fusion_args_devicePfi15HIP_vector_typeIjLj3EEiiiSA_iiiSA_iiii.uses_flat_scratch, 0
	.set _ZL13mul_mat_vec_fIffLi2ELi64ELb0ELb0EEvPKT_PKfPKi31ggml_cuda_mm_fusion_args_devicePfi15HIP_vector_typeIjLj3EEiiiSA_iiiSA_iiii.has_dyn_sized_stack, 0
	.set _ZL13mul_mat_vec_fIffLi2ELi64ELb0ELb0EEvPKT_PKfPKi31ggml_cuda_mm_fusion_args_devicePfi15HIP_vector_typeIjLj3EEiiiSA_iiiSA_iiii.has_recursion, 0
	.set _ZL13mul_mat_vec_fIffLi2ELi64ELb0ELb0EEvPKT_PKfPKi31ggml_cuda_mm_fusion_args_devicePfi15HIP_vector_typeIjLj3EEiiiSA_iiiSA_iiii.has_indirect_call, 0
	.section	.AMDGPU.csdata,"",@progbits
; Kernel info:
; codeLenInByte = 1356
; TotalNumSgprs: 32
; NumVgprs: 15
; ScratchSize: 0
; MemoryBound: 0
; FloatMode: 240
; IeeeMode: 1
; LDSByteSize: 0 bytes/workgroup (compile time only)
; SGPRBlocks: 0
; VGPRBlocks: 1
; NumSGPRsForWavesPerEU: 32
; NumVGPRsForWavesPerEU: 15
; Occupancy: 16
; WaveLimiterHint : 0
; COMPUTE_PGM_RSRC2:SCRATCH_EN: 0
; COMPUTE_PGM_RSRC2:USER_SGPR: 6
; COMPUTE_PGM_RSRC2:TRAP_HANDLER: 0
; COMPUTE_PGM_RSRC2:TGID_X_EN: 1
; COMPUTE_PGM_RSRC2:TGID_Y_EN: 1
; COMPUTE_PGM_RSRC2:TGID_Z_EN: 1
; COMPUTE_PGM_RSRC2:TIDIG_COMP_CNT: 0
	.section	.text._ZL13mul_mat_vec_fIffLi2ELi96ELb0ELb0EEvPKT_PKfPKi31ggml_cuda_mm_fusion_args_devicePfi15HIP_vector_typeIjLj3EEiiiSA_iiiSA_iiii,"axG",@progbits,_ZL13mul_mat_vec_fIffLi2ELi96ELb0ELb0EEvPKT_PKfPKi31ggml_cuda_mm_fusion_args_devicePfi15HIP_vector_typeIjLj3EEiiiSA_iiiSA_iiii,comdat
	.globl	_ZL13mul_mat_vec_fIffLi2ELi96ELb0ELb0EEvPKT_PKfPKi31ggml_cuda_mm_fusion_args_devicePfi15HIP_vector_typeIjLj3EEiiiSA_iiiSA_iiii ; -- Begin function _ZL13mul_mat_vec_fIffLi2ELi96ELb0ELb0EEvPKT_PKfPKi31ggml_cuda_mm_fusion_args_devicePfi15HIP_vector_typeIjLj3EEiiiSA_iiiSA_iiii
	.p2align	8
	.type	_ZL13mul_mat_vec_fIffLi2ELi96ELb0ELb0EEvPKT_PKfPKi31ggml_cuda_mm_fusion_args_devicePfi15HIP_vector_typeIjLj3EEiiiSA_iiiSA_iiii,@function
_ZL13mul_mat_vec_fIffLi2ELi96ELb0ELb0EEvPKT_PKfPKi31ggml_cuda_mm_fusion_args_devicePfi15HIP_vector_typeIjLj3EEiiiSA_iiiSA_iiii: ; @_ZL13mul_mat_vec_fIffLi2ELi96ELb0ELb0EEvPKT_PKfPKi31ggml_cuda_mm_fusion_args_devicePfi15HIP_vector_typeIjLj3EEiiiSA_iiiSA_iiii
; %bb.0:
	s_clause 0x2
	s_load_dwordx2 s[0:1], s[4:5], 0x10
	s_load_dwordx8 s[12:19], s[4:5], 0x40
	s_load_dwordx4 s[20:23], s[4:5], 0x80
	s_waitcnt lgkmcnt(0)
	s_cmp_eq_u64 s[0:1], 0
	s_cselect_b32 s10, -1, 0
	s_cmp_lg_u64 s[0:1], 0
	s_cselect_b32 s11, -1, 0
	s_and_b32 vcc_lo, exec_lo, s10
	s_cbranch_vccnz .LBB34_2
; %bb.1:
	s_mul_i32 s2, s23, s8
	s_mov_b32 s3, 0
	s_add_i32 s2, s2, s7
	s_lshl_b64 s[24:25], s[2:3], 2
	s_add_u32 s0, s0, s24
	s_addc_u32 s1, s1, s25
	s_load_dword s9, s[0:1], 0x0
	s_cbranch_execz .LBB34_3
	s_branch .LBB34_4
.LBB34_2:
                                        ; implicit-def: $sgpr9
.LBB34_3:
	s_load_dwordx2 s[0:1], s[4:5], 0x5c
	s_waitcnt lgkmcnt(0)
	s_mul_hi_u32 s0, s0, s7
	s_add_i32 s0, s7, s0
	s_lshr_b32 s9, s0, s1
.LBB34_4:
	s_load_dwordx4 s[24:27], s[4:5], 0x68
	s_andn2_b32 vcc_lo, exec_lo, s11
	s_mov_b32 s19, s7
	s_cbranch_vccnz .LBB34_6
; %bb.5:
	s_mul_hi_u32 s0, s13, s7
	s_add_i32 s0, s7, s0
	s_lshr_b32 s0, s0, s14
	s_mul_i32 s0, s0, s15
	s_sub_i32 s19, s7, s0
.LBB34_6:
	s_load_dword s14, s[4:5], 0x78
	v_cmp_gt_u32_e32 vcc_lo, 32, v0
	v_lshl_add_u32 v5, v0, 2, 0
	s_and_saveexec_b32 s0, vcc_lo
; %bb.7:
	v_mov_b32_e32 v1, 0
	ds_write_b32 v5, v1
; %bb.8:
	s_or_b32 exec_lo, exec_lo, s0
	v_mov_b32_e32 v6, 0
	v_mov_b32_e32 v7, 0
	s_and_b32 s0, exec_lo, s10
	s_mov_b32 s11, 0
	s_cselect_b32 s10, s8, 0
	s_mov_b32 s13, exec_lo
	s_waitcnt lgkmcnt(0)
	s_barrier
	buffer_gl0_inv
	v_cmpx_gt_i32_e64 s12, v0
	s_cbranch_execz .LBB34_12
; %bb.9:
	s_load_dwordx4 s[0:3], s[4:5], 0x0
	s_mul_hi_u32 s15, s27, s10
	s_mul_i32 s16, s16, s6
	s_add_i32 s15, s10, s15
	s_mul_i32 s8, s9, s24
	s_mul_i32 s24, s19, s25
	s_ashr_i32 s29, s17, 31
	s_mov_b32 s28, s17
	s_ashr_i32 s17, s16, 31
	s_lshr_b32 s19, s15, s14
	s_ashr_i32 s9, s8, 31
	s_lshl_b64 s[14:15], s[16:17], 2
	s_mul_hi_i32 s17, s19, s20
	s_mul_i32 s16, s19, s20
	s_lshl_b64 s[8:9], s[8:9], 2
	s_ashr_i32 s25, s24, 31
	s_lshl_b64 s[16:17], s[16:17], 2
	v_lshlrev_b32_e32 v1, 3, v0
	v_mov_b32_e32 v7, 0
	v_mov_b32_e32 v8, v0
	s_waitcnt lgkmcnt(0)
	s_add_u32 s0, s0, s8
	s_addc_u32 s1, s1, s9
	s_add_u32 s0, s0, s14
	s_addc_u32 s1, s1, s15
	;; [unrolled: 2-line block ×3, first 2 shown]
	v_add_co_u32 v2, s0, s0, v1
	v_add_co_ci_u32_e64 v3, null, s1, 0, s0
	s_mul_hi_i32 s1, s10, s21
	s_mul_i32 s0, s10, s21
	s_lshl_b64 s[14:15], s[24:25], 2
	s_lshl_b64 s[8:9], s[28:29], 3
	;; [unrolled: 1-line block ×3, first 2 shown]
	s_add_u32 s2, s2, s14
	s_addc_u32 s3, s3, s15
	s_add_u32 s0, s2, s0
	s_addc_u32 s1, s3, s1
	v_add_co_u32 v4, s0, s0, v1
	v_add_co_ci_u32_e64 v6, null, s1, 0, s0
	v_add_co_u32 v1, s0, v2, 4
	v_add_co_ci_u32_e64 v2, null, 0, v3, s0
	;; [unrolled: 2-line block ×3, first 2 shown]
	v_mov_b32_e32 v6, 0
	.p2align	6
.LBB34_10:                              ; =>This Inner Loop Header: Depth=1
	v_add_co_u32 v9, s0, v3, s8
	v_add_co_ci_u32_e64 v10, null, s9, v4, s0
	v_add_nc_u32_e32 v8, 0x60, v8
	global_load_dwordx2 v[11:12], v[1:2], off offset:-4
	s_clause 0x1
	global_load_dwordx2 v[13:14], v[3:4], off offset:-4
	global_load_dwordx2 v[9:10], v[9:10], off offset:-4
	v_add_co_u32 v1, s0, 0x300, v1
	v_add_co_ci_u32_e64 v2, null, 0, v2, s0
	v_cmp_le_i32_e64 s0, s12, v8
	v_add_co_u32 v3, s1, 0x300, v3
	v_add_co_ci_u32_e64 v4, null, 0, v4, s1
	s_or_b32 s11, s0, s11
	s_waitcnt vmcnt(1)
	v_fmac_f32_e32 v7, v11, v13
	s_waitcnt vmcnt(0)
	v_fmac_f32_e32 v6, v11, v9
	v_fmac_f32_e32 v7, v12, v14
	;; [unrolled: 1-line block ×3, first 2 shown]
	s_andn2_b32 exec_lo, exec_lo, s11
	s_cbranch_execnz .LBB34_10
; %bb.11:
	s_or_b32 exec_lo, exec_lo, s11
.LBB34_12:
	s_or_b32 exec_lo, exec_lo, s13
	v_mbcnt_lo_u32_b32 v2, -1, 0
	v_xor_b32_e32 v1, 16, v2
	v_xor_b32_e32 v3, 8, v2
	v_cmp_gt_i32_e64 s0, 32, v1
	v_cndmask_b32_e64 v1, v2, v1, s0
	v_cmp_gt_i32_e64 s0, 32, v3
	v_lshlrev_b32_e32 v1, 2, v1
	v_cndmask_b32_e64 v3, v2, v3, s0
	ds_bpermute_b32 v4, v1, v7
	v_lshlrev_b32_e32 v3, 2, v3
	s_waitcnt lgkmcnt(0)
	v_add_f32_e32 v7, v7, v4
	v_xor_b32_e32 v4, 4, v2
	ds_bpermute_b32 v8, v3, v7
	v_cmp_gt_i32_e64 s0, 32, v4
	v_cndmask_b32_e64 v4, v2, v4, s0
	v_lshlrev_b32_e32 v4, 2, v4
	s_waitcnt lgkmcnt(0)
	v_add_f32_e32 v8, v7, v8
	v_xor_b32_e32 v7, 2, v2
	ds_bpermute_b32 v9, v4, v8
	v_cmp_gt_i32_e64 s0, 32, v7
	v_cndmask_b32_e64 v7, v2, v7, s0
	;; [unrolled: 7-line block ×3, first 2 shown]
	v_lshlrev_b32_e32 v8, 2, v2
	s_waitcnt lgkmcnt(0)
	v_add_f32_e32 v2, v9, v10
	v_lshrrev_b32_e32 v9, 3, v0
	ds_bpermute_b32 v10, v8, v2
	v_and_b32_e32 v9, 0x7c, v9
	v_add_nc_u32_e32 v9, 0, v9
	s_waitcnt lgkmcnt(0)
	v_add_f32_e32 v2, v2, v10
	ds_write_b32 v9, v2
	s_waitcnt lgkmcnt(0)
	s_barrier
	buffer_gl0_inv
	s_and_saveexec_b32 s0, vcc_lo
	s_cbranch_execz .LBB34_14
; %bb.13:
	ds_read_b32 v2, v5
	s_waitcnt lgkmcnt(0)
	ds_bpermute_b32 v10, v1, v2
	s_waitcnt lgkmcnt(0)
	v_add_f32_e32 v2, v2, v10
	ds_bpermute_b32 v10, v3, v2
	s_waitcnt lgkmcnt(0)
	v_add_f32_e32 v2, v2, v10
	;; [unrolled: 3-line block ×5, first 2 shown]
.LBB34_14:
	s_or_b32 exec_lo, exec_lo, s0
	ds_bpermute_b32 v10, v1, v6
	s_waitcnt lgkmcnt(0)
	s_barrier
	buffer_gl0_inv
	v_add_f32_e32 v6, v6, v10
	ds_bpermute_b32 v10, v3, v6
	s_waitcnt lgkmcnt(0)
	v_add_f32_e32 v6, v6, v10
	ds_bpermute_b32 v10, v4, v6
	s_waitcnt lgkmcnt(0)
	;; [unrolled: 3-line block ×4, first 2 shown]
	v_add_f32_e32 v6, v6, v10
	ds_write_b32 v9, v6
	s_waitcnt lgkmcnt(0)
	s_barrier
	buffer_gl0_inv
	s_and_saveexec_b32 s0, vcc_lo
	s_cbranch_execz .LBB34_16
; %bb.15:
	ds_read_b32 v5, v5
	s_waitcnt lgkmcnt(0)
	ds_bpermute_b32 v1, v1, v5
	s_waitcnt lgkmcnt(0)
	v_add_f32_e32 v1, v5, v1
	ds_bpermute_b32 v3, v3, v1
	s_waitcnt lgkmcnt(0)
	v_add_f32_e32 v1, v1, v3
	;; [unrolled: 3-line block ×5, first 2 shown]
.LBB34_16:
	s_or_b32 exec_lo, exec_lo, s0
	s_barrier
	buffer_gl0_inv
	s_mov_b32 s0, exec_lo
	v_cmpx_gt_u32_e32 2, v0
	s_cbranch_execz .LBB34_18
; %bb.17:
	s_load_dwordx2 s[0:1], s[4:5], 0x38
	v_mad_u64_u32 v[3:4], null, s18, v0, s[6:7]
	s_mul_hi_i32 s3, s22, s10
	s_mul_i32 s2, s22, s10
	s_mul_i32 s4, s26, s7
	s_lshl_b64 s[2:3], s[2:3], 2
	s_ashr_i32 s5, s4, 31
	v_cmp_eq_u32_e32 vcc_lo, 1, v0
	v_ashrrev_i32_e32 v4, 31, v3
	v_cndmask_b32_e32 v2, v2, v6, vcc_lo
	v_lshlrev_b64 v[3:4], 2, v[3:4]
	s_waitcnt lgkmcnt(0)
	s_add_u32 s2, s0, s2
	s_addc_u32 s3, s1, s3
	s_lshl_b64 s[0:1], s[4:5], 2
	s_add_u32 s0, s2, s0
	s_addc_u32 s1, s3, s1
	v_add_co_u32 v0, vcc_lo, s0, v3
	v_add_co_ci_u32_e64 v1, null, s1, v4, vcc_lo
	global_store_dword v[0:1], v2, off
.LBB34_18:
	s_endpgm
	.section	.rodata,"a",@progbits
	.p2align	6, 0x0
	.amdhsa_kernel _ZL13mul_mat_vec_fIffLi2ELi96ELb0ELb0EEvPKT_PKfPKi31ggml_cuda_mm_fusion_args_devicePfi15HIP_vector_typeIjLj3EEiiiSA_iiiSA_iiii
		.amdhsa_group_segment_fixed_size 0
		.amdhsa_private_segment_fixed_size 0
		.amdhsa_kernarg_size 144
		.amdhsa_user_sgpr_count 6
		.amdhsa_user_sgpr_private_segment_buffer 1
		.amdhsa_user_sgpr_dispatch_ptr 0
		.amdhsa_user_sgpr_queue_ptr 0
		.amdhsa_user_sgpr_kernarg_segment_ptr 1
		.amdhsa_user_sgpr_dispatch_id 0
		.amdhsa_user_sgpr_flat_scratch_init 0
		.amdhsa_user_sgpr_private_segment_size 0
		.amdhsa_wavefront_size32 1
		.amdhsa_uses_dynamic_stack 0
		.amdhsa_system_sgpr_private_segment_wavefront_offset 0
		.amdhsa_system_sgpr_workgroup_id_x 1
		.amdhsa_system_sgpr_workgroup_id_y 1
		.amdhsa_system_sgpr_workgroup_id_z 1
		.amdhsa_system_sgpr_workgroup_info 0
		.amdhsa_system_vgpr_workitem_id 0
		.amdhsa_next_free_vgpr 15
		.amdhsa_next_free_sgpr 30
		.amdhsa_reserve_vcc 1
		.amdhsa_reserve_flat_scratch 0
		.amdhsa_float_round_mode_32 0
		.amdhsa_float_round_mode_16_64 0
		.amdhsa_float_denorm_mode_32 3
		.amdhsa_float_denorm_mode_16_64 3
		.amdhsa_dx10_clamp 1
		.amdhsa_ieee_mode 1
		.amdhsa_fp16_overflow 0
		.amdhsa_workgroup_processor_mode 1
		.amdhsa_memory_ordered 1
		.amdhsa_forward_progress 1
		.amdhsa_shared_vgpr_count 0
		.amdhsa_exception_fp_ieee_invalid_op 0
		.amdhsa_exception_fp_denorm_src 0
		.amdhsa_exception_fp_ieee_div_zero 0
		.amdhsa_exception_fp_ieee_overflow 0
		.amdhsa_exception_fp_ieee_underflow 0
		.amdhsa_exception_fp_ieee_inexact 0
		.amdhsa_exception_int_div_zero 0
	.end_amdhsa_kernel
	.section	.text._ZL13mul_mat_vec_fIffLi2ELi96ELb0ELb0EEvPKT_PKfPKi31ggml_cuda_mm_fusion_args_devicePfi15HIP_vector_typeIjLj3EEiiiSA_iiiSA_iiii,"axG",@progbits,_ZL13mul_mat_vec_fIffLi2ELi96ELb0ELb0EEvPKT_PKfPKi31ggml_cuda_mm_fusion_args_devicePfi15HIP_vector_typeIjLj3EEiiiSA_iiiSA_iiii,comdat
.Lfunc_end34:
	.size	_ZL13mul_mat_vec_fIffLi2ELi96ELb0ELb0EEvPKT_PKfPKi31ggml_cuda_mm_fusion_args_devicePfi15HIP_vector_typeIjLj3EEiiiSA_iiiSA_iiii, .Lfunc_end34-_ZL13mul_mat_vec_fIffLi2ELi96ELb0ELb0EEvPKT_PKfPKi31ggml_cuda_mm_fusion_args_devicePfi15HIP_vector_typeIjLj3EEiiiSA_iiiSA_iiii
                                        ; -- End function
	.set _ZL13mul_mat_vec_fIffLi2ELi96ELb0ELb0EEvPKT_PKfPKi31ggml_cuda_mm_fusion_args_devicePfi15HIP_vector_typeIjLj3EEiiiSA_iiiSA_iiii.num_vgpr, 15
	.set _ZL13mul_mat_vec_fIffLi2ELi96ELb0ELb0EEvPKT_PKfPKi31ggml_cuda_mm_fusion_args_devicePfi15HIP_vector_typeIjLj3EEiiiSA_iiiSA_iiii.num_agpr, 0
	.set _ZL13mul_mat_vec_fIffLi2ELi96ELb0ELb0EEvPKT_PKfPKi31ggml_cuda_mm_fusion_args_devicePfi15HIP_vector_typeIjLj3EEiiiSA_iiiSA_iiii.numbered_sgpr, 30
	.set _ZL13mul_mat_vec_fIffLi2ELi96ELb0ELb0EEvPKT_PKfPKi31ggml_cuda_mm_fusion_args_devicePfi15HIP_vector_typeIjLj3EEiiiSA_iiiSA_iiii.num_named_barrier, 0
	.set _ZL13mul_mat_vec_fIffLi2ELi96ELb0ELb0EEvPKT_PKfPKi31ggml_cuda_mm_fusion_args_devicePfi15HIP_vector_typeIjLj3EEiiiSA_iiiSA_iiii.private_seg_size, 0
	.set _ZL13mul_mat_vec_fIffLi2ELi96ELb0ELb0EEvPKT_PKfPKi31ggml_cuda_mm_fusion_args_devicePfi15HIP_vector_typeIjLj3EEiiiSA_iiiSA_iiii.uses_vcc, 1
	.set _ZL13mul_mat_vec_fIffLi2ELi96ELb0ELb0EEvPKT_PKfPKi31ggml_cuda_mm_fusion_args_devicePfi15HIP_vector_typeIjLj3EEiiiSA_iiiSA_iiii.uses_flat_scratch, 0
	.set _ZL13mul_mat_vec_fIffLi2ELi96ELb0ELb0EEvPKT_PKfPKi31ggml_cuda_mm_fusion_args_devicePfi15HIP_vector_typeIjLj3EEiiiSA_iiiSA_iiii.has_dyn_sized_stack, 0
	.set _ZL13mul_mat_vec_fIffLi2ELi96ELb0ELb0EEvPKT_PKfPKi31ggml_cuda_mm_fusion_args_devicePfi15HIP_vector_typeIjLj3EEiiiSA_iiiSA_iiii.has_recursion, 0
	.set _ZL13mul_mat_vec_fIffLi2ELi96ELb0ELb0EEvPKT_PKfPKi31ggml_cuda_mm_fusion_args_devicePfi15HIP_vector_typeIjLj3EEiiiSA_iiiSA_iiii.has_indirect_call, 0
	.section	.AMDGPU.csdata,"",@progbits
; Kernel info:
; codeLenInByte = 1360
; TotalNumSgprs: 32
; NumVgprs: 15
; ScratchSize: 0
; MemoryBound: 0
; FloatMode: 240
; IeeeMode: 1
; LDSByteSize: 0 bytes/workgroup (compile time only)
; SGPRBlocks: 0
; VGPRBlocks: 1
; NumSGPRsForWavesPerEU: 32
; NumVGPRsForWavesPerEU: 15
; Occupancy: 16
; WaveLimiterHint : 0
; COMPUTE_PGM_RSRC2:SCRATCH_EN: 0
; COMPUTE_PGM_RSRC2:USER_SGPR: 6
; COMPUTE_PGM_RSRC2:TRAP_HANDLER: 0
; COMPUTE_PGM_RSRC2:TGID_X_EN: 1
; COMPUTE_PGM_RSRC2:TGID_Y_EN: 1
; COMPUTE_PGM_RSRC2:TGID_Z_EN: 1
; COMPUTE_PGM_RSRC2:TIDIG_COMP_CNT: 0
	.section	.text._ZL13mul_mat_vec_fIffLi2ELi128ELb0ELb0EEvPKT_PKfPKi31ggml_cuda_mm_fusion_args_devicePfi15HIP_vector_typeIjLj3EEiiiSA_iiiSA_iiii,"axG",@progbits,_ZL13mul_mat_vec_fIffLi2ELi128ELb0ELb0EEvPKT_PKfPKi31ggml_cuda_mm_fusion_args_devicePfi15HIP_vector_typeIjLj3EEiiiSA_iiiSA_iiii,comdat
	.globl	_ZL13mul_mat_vec_fIffLi2ELi128ELb0ELb0EEvPKT_PKfPKi31ggml_cuda_mm_fusion_args_devicePfi15HIP_vector_typeIjLj3EEiiiSA_iiiSA_iiii ; -- Begin function _ZL13mul_mat_vec_fIffLi2ELi128ELb0ELb0EEvPKT_PKfPKi31ggml_cuda_mm_fusion_args_devicePfi15HIP_vector_typeIjLj3EEiiiSA_iiiSA_iiii
	.p2align	8
	.type	_ZL13mul_mat_vec_fIffLi2ELi128ELb0ELb0EEvPKT_PKfPKi31ggml_cuda_mm_fusion_args_devicePfi15HIP_vector_typeIjLj3EEiiiSA_iiiSA_iiii,@function
_ZL13mul_mat_vec_fIffLi2ELi128ELb0ELb0EEvPKT_PKfPKi31ggml_cuda_mm_fusion_args_devicePfi15HIP_vector_typeIjLj3EEiiiSA_iiiSA_iiii: ; @_ZL13mul_mat_vec_fIffLi2ELi128ELb0ELb0EEvPKT_PKfPKi31ggml_cuda_mm_fusion_args_devicePfi15HIP_vector_typeIjLj3EEiiiSA_iiiSA_iiii
; %bb.0:
	s_clause 0x2
	s_load_dwordx2 s[0:1], s[4:5], 0x10
	s_load_dwordx8 s[12:19], s[4:5], 0x40
	s_load_dwordx4 s[20:23], s[4:5], 0x80
	s_waitcnt lgkmcnt(0)
	s_cmp_eq_u64 s[0:1], 0
	s_cselect_b32 s10, -1, 0
	s_cmp_lg_u64 s[0:1], 0
	s_cselect_b32 s11, -1, 0
	s_and_b32 vcc_lo, exec_lo, s10
	s_cbranch_vccnz .LBB35_2
; %bb.1:
	s_mul_i32 s2, s23, s8
	s_mov_b32 s3, 0
	s_add_i32 s2, s2, s7
	s_lshl_b64 s[24:25], s[2:3], 2
	s_add_u32 s0, s0, s24
	s_addc_u32 s1, s1, s25
	s_load_dword s9, s[0:1], 0x0
	s_cbranch_execz .LBB35_3
	s_branch .LBB35_4
.LBB35_2:
                                        ; implicit-def: $sgpr9
.LBB35_3:
	s_load_dwordx2 s[0:1], s[4:5], 0x5c
	s_waitcnt lgkmcnt(0)
	s_mul_hi_u32 s0, s0, s7
	s_add_i32 s0, s7, s0
	s_lshr_b32 s9, s0, s1
.LBB35_4:
	s_load_dwordx4 s[24:27], s[4:5], 0x68
	s_andn2_b32 vcc_lo, exec_lo, s11
	s_mov_b32 s19, s7
	s_cbranch_vccnz .LBB35_6
; %bb.5:
	s_mul_hi_u32 s0, s13, s7
	s_add_i32 s0, s7, s0
	s_lshr_b32 s0, s0, s14
	s_mul_i32 s0, s0, s15
	s_sub_i32 s19, s7, s0
.LBB35_6:
	s_load_dword s14, s[4:5], 0x78
	v_cmp_gt_u32_e32 vcc_lo, 32, v0
	v_lshl_add_u32 v5, v0, 2, 0
	s_and_saveexec_b32 s0, vcc_lo
; %bb.7:
	v_mov_b32_e32 v1, 0
	ds_write_b32 v5, v1
; %bb.8:
	s_or_b32 exec_lo, exec_lo, s0
	v_mov_b32_e32 v6, 0
	v_mov_b32_e32 v7, 0
	s_and_b32 s0, exec_lo, s10
	s_mov_b32 s11, 0
	s_cselect_b32 s10, s8, 0
	s_mov_b32 s13, exec_lo
	s_waitcnt lgkmcnt(0)
	s_barrier
	buffer_gl0_inv
	v_cmpx_gt_i32_e64 s12, v0
	s_cbranch_execz .LBB35_12
; %bb.9:
	s_load_dwordx4 s[0:3], s[4:5], 0x0
	s_mul_hi_u32 s15, s27, s10
	s_mul_i32 s16, s16, s6
	s_add_i32 s15, s10, s15
	s_mul_i32 s8, s9, s24
	s_mul_i32 s24, s19, s25
	s_ashr_i32 s29, s17, 31
	s_mov_b32 s28, s17
	s_ashr_i32 s17, s16, 31
	s_lshr_b32 s19, s15, s14
	s_ashr_i32 s9, s8, 31
	s_lshl_b64 s[14:15], s[16:17], 2
	s_mul_hi_i32 s17, s19, s20
	s_mul_i32 s16, s19, s20
	s_lshl_b64 s[8:9], s[8:9], 2
	s_ashr_i32 s25, s24, 31
	s_lshl_b64 s[16:17], s[16:17], 2
	v_lshlrev_b32_e32 v1, 3, v0
	v_mov_b32_e32 v7, 0
	v_mov_b32_e32 v8, v0
	s_waitcnt lgkmcnt(0)
	s_add_u32 s0, s0, s8
	s_addc_u32 s1, s1, s9
	s_add_u32 s0, s0, s14
	s_addc_u32 s1, s1, s15
	;; [unrolled: 2-line block ×3, first 2 shown]
	v_add_co_u32 v2, s0, s0, v1
	v_add_co_ci_u32_e64 v3, null, s1, 0, s0
	s_mul_hi_i32 s1, s10, s21
	s_mul_i32 s0, s10, s21
	s_lshl_b64 s[14:15], s[24:25], 2
	s_lshl_b64 s[8:9], s[28:29], 3
	;; [unrolled: 1-line block ×3, first 2 shown]
	s_add_u32 s2, s2, s14
	s_addc_u32 s3, s3, s15
	s_add_u32 s0, s2, s0
	s_addc_u32 s1, s3, s1
	v_add_co_u32 v4, s0, s0, v1
	v_add_co_ci_u32_e64 v6, null, s1, 0, s0
	v_add_co_u32 v1, s0, v2, 4
	v_add_co_ci_u32_e64 v2, null, 0, v3, s0
	;; [unrolled: 2-line block ×3, first 2 shown]
	v_mov_b32_e32 v6, 0
	.p2align	6
.LBB35_10:                              ; =>This Inner Loop Header: Depth=1
	v_add_co_u32 v9, s0, v3, s8
	v_add_co_ci_u32_e64 v10, null, s9, v4, s0
	v_add_nc_u32_e32 v8, 0x80, v8
	global_load_dwordx2 v[11:12], v[1:2], off offset:-4
	s_clause 0x1
	global_load_dwordx2 v[13:14], v[3:4], off offset:-4
	global_load_dwordx2 v[9:10], v[9:10], off offset:-4
	v_add_co_u32 v1, s0, 0x400, v1
	v_add_co_ci_u32_e64 v2, null, 0, v2, s0
	v_cmp_le_i32_e64 s0, s12, v8
	v_add_co_u32 v3, s1, 0x400, v3
	v_add_co_ci_u32_e64 v4, null, 0, v4, s1
	s_or_b32 s11, s0, s11
	s_waitcnt vmcnt(1)
	v_fmac_f32_e32 v7, v11, v13
	s_waitcnt vmcnt(0)
	v_fmac_f32_e32 v6, v11, v9
	v_fmac_f32_e32 v7, v12, v14
	;; [unrolled: 1-line block ×3, first 2 shown]
	s_andn2_b32 exec_lo, exec_lo, s11
	s_cbranch_execnz .LBB35_10
; %bb.11:
	s_or_b32 exec_lo, exec_lo, s11
.LBB35_12:
	s_or_b32 exec_lo, exec_lo, s13
	v_mbcnt_lo_u32_b32 v2, -1, 0
	v_xor_b32_e32 v1, 16, v2
	v_xor_b32_e32 v3, 8, v2
	v_cmp_gt_i32_e64 s0, 32, v1
	v_cndmask_b32_e64 v1, v2, v1, s0
	v_cmp_gt_i32_e64 s0, 32, v3
	v_lshlrev_b32_e32 v1, 2, v1
	v_cndmask_b32_e64 v3, v2, v3, s0
	ds_bpermute_b32 v4, v1, v7
	v_lshlrev_b32_e32 v3, 2, v3
	s_waitcnt lgkmcnt(0)
	v_add_f32_e32 v7, v7, v4
	v_xor_b32_e32 v4, 4, v2
	ds_bpermute_b32 v8, v3, v7
	v_cmp_gt_i32_e64 s0, 32, v4
	v_cndmask_b32_e64 v4, v2, v4, s0
	v_lshlrev_b32_e32 v4, 2, v4
	s_waitcnt lgkmcnt(0)
	v_add_f32_e32 v8, v7, v8
	v_xor_b32_e32 v7, 2, v2
	ds_bpermute_b32 v9, v4, v8
	v_cmp_gt_i32_e64 s0, 32, v7
	v_cndmask_b32_e64 v7, v2, v7, s0
	;; [unrolled: 7-line block ×3, first 2 shown]
	v_lshlrev_b32_e32 v8, 2, v2
	s_waitcnt lgkmcnt(0)
	v_add_f32_e32 v2, v9, v10
	v_lshrrev_b32_e32 v9, 3, v0
	ds_bpermute_b32 v10, v8, v2
	v_and_b32_e32 v9, 0x7c, v9
	v_add_nc_u32_e32 v9, 0, v9
	s_waitcnt lgkmcnt(0)
	v_add_f32_e32 v2, v2, v10
	ds_write_b32 v9, v2
	s_waitcnt lgkmcnt(0)
	s_barrier
	buffer_gl0_inv
	s_and_saveexec_b32 s0, vcc_lo
	s_cbranch_execz .LBB35_14
; %bb.13:
	ds_read_b32 v2, v5
	s_waitcnt lgkmcnt(0)
	ds_bpermute_b32 v10, v1, v2
	s_waitcnt lgkmcnt(0)
	v_add_f32_e32 v2, v2, v10
	ds_bpermute_b32 v10, v3, v2
	s_waitcnt lgkmcnt(0)
	v_add_f32_e32 v2, v2, v10
	;; [unrolled: 3-line block ×5, first 2 shown]
.LBB35_14:
	s_or_b32 exec_lo, exec_lo, s0
	ds_bpermute_b32 v10, v1, v6
	s_waitcnt lgkmcnt(0)
	s_barrier
	buffer_gl0_inv
	v_add_f32_e32 v6, v6, v10
	ds_bpermute_b32 v10, v3, v6
	s_waitcnt lgkmcnt(0)
	v_add_f32_e32 v6, v6, v10
	ds_bpermute_b32 v10, v4, v6
	s_waitcnt lgkmcnt(0)
	;; [unrolled: 3-line block ×4, first 2 shown]
	v_add_f32_e32 v6, v6, v10
	ds_write_b32 v9, v6
	s_waitcnt lgkmcnt(0)
	s_barrier
	buffer_gl0_inv
	s_and_saveexec_b32 s0, vcc_lo
	s_cbranch_execz .LBB35_16
; %bb.15:
	ds_read_b32 v5, v5
	s_waitcnt lgkmcnt(0)
	ds_bpermute_b32 v1, v1, v5
	s_waitcnt lgkmcnt(0)
	v_add_f32_e32 v1, v5, v1
	ds_bpermute_b32 v3, v3, v1
	s_waitcnt lgkmcnt(0)
	v_add_f32_e32 v1, v1, v3
	;; [unrolled: 3-line block ×5, first 2 shown]
.LBB35_16:
	s_or_b32 exec_lo, exec_lo, s0
	s_barrier
	buffer_gl0_inv
	s_mov_b32 s0, exec_lo
	v_cmpx_gt_u32_e32 2, v0
	s_cbranch_execz .LBB35_18
; %bb.17:
	s_load_dwordx2 s[0:1], s[4:5], 0x38
	v_mad_u64_u32 v[3:4], null, s18, v0, s[6:7]
	s_mul_hi_i32 s3, s22, s10
	s_mul_i32 s2, s22, s10
	s_mul_i32 s4, s26, s7
	s_lshl_b64 s[2:3], s[2:3], 2
	s_ashr_i32 s5, s4, 31
	v_cmp_eq_u32_e32 vcc_lo, 1, v0
	v_ashrrev_i32_e32 v4, 31, v3
	v_cndmask_b32_e32 v2, v2, v6, vcc_lo
	v_lshlrev_b64 v[3:4], 2, v[3:4]
	s_waitcnt lgkmcnt(0)
	s_add_u32 s2, s0, s2
	s_addc_u32 s3, s1, s3
	s_lshl_b64 s[0:1], s[4:5], 2
	s_add_u32 s0, s2, s0
	s_addc_u32 s1, s3, s1
	v_add_co_u32 v0, vcc_lo, s0, v3
	v_add_co_ci_u32_e64 v1, null, s1, v4, vcc_lo
	global_store_dword v[0:1], v2, off
.LBB35_18:
	s_endpgm
	.section	.rodata,"a",@progbits
	.p2align	6, 0x0
	.amdhsa_kernel _ZL13mul_mat_vec_fIffLi2ELi128ELb0ELb0EEvPKT_PKfPKi31ggml_cuda_mm_fusion_args_devicePfi15HIP_vector_typeIjLj3EEiiiSA_iiiSA_iiii
		.amdhsa_group_segment_fixed_size 0
		.amdhsa_private_segment_fixed_size 0
		.amdhsa_kernarg_size 144
		.amdhsa_user_sgpr_count 6
		.amdhsa_user_sgpr_private_segment_buffer 1
		.amdhsa_user_sgpr_dispatch_ptr 0
		.amdhsa_user_sgpr_queue_ptr 0
		.amdhsa_user_sgpr_kernarg_segment_ptr 1
		.amdhsa_user_sgpr_dispatch_id 0
		.amdhsa_user_sgpr_flat_scratch_init 0
		.amdhsa_user_sgpr_private_segment_size 0
		.amdhsa_wavefront_size32 1
		.amdhsa_uses_dynamic_stack 0
		.amdhsa_system_sgpr_private_segment_wavefront_offset 0
		.amdhsa_system_sgpr_workgroup_id_x 1
		.amdhsa_system_sgpr_workgroup_id_y 1
		.amdhsa_system_sgpr_workgroup_id_z 1
		.amdhsa_system_sgpr_workgroup_info 0
		.amdhsa_system_vgpr_workitem_id 0
		.amdhsa_next_free_vgpr 15
		.amdhsa_next_free_sgpr 30
		.amdhsa_reserve_vcc 1
		.amdhsa_reserve_flat_scratch 0
		.amdhsa_float_round_mode_32 0
		.amdhsa_float_round_mode_16_64 0
		.amdhsa_float_denorm_mode_32 3
		.amdhsa_float_denorm_mode_16_64 3
		.amdhsa_dx10_clamp 1
		.amdhsa_ieee_mode 1
		.amdhsa_fp16_overflow 0
		.amdhsa_workgroup_processor_mode 1
		.amdhsa_memory_ordered 1
		.amdhsa_forward_progress 1
		.amdhsa_shared_vgpr_count 0
		.amdhsa_exception_fp_ieee_invalid_op 0
		.amdhsa_exception_fp_denorm_src 0
		.amdhsa_exception_fp_ieee_div_zero 0
		.amdhsa_exception_fp_ieee_overflow 0
		.amdhsa_exception_fp_ieee_underflow 0
		.amdhsa_exception_fp_ieee_inexact 0
		.amdhsa_exception_int_div_zero 0
	.end_amdhsa_kernel
	.section	.text._ZL13mul_mat_vec_fIffLi2ELi128ELb0ELb0EEvPKT_PKfPKi31ggml_cuda_mm_fusion_args_devicePfi15HIP_vector_typeIjLj3EEiiiSA_iiiSA_iiii,"axG",@progbits,_ZL13mul_mat_vec_fIffLi2ELi128ELb0ELb0EEvPKT_PKfPKi31ggml_cuda_mm_fusion_args_devicePfi15HIP_vector_typeIjLj3EEiiiSA_iiiSA_iiii,comdat
.Lfunc_end35:
	.size	_ZL13mul_mat_vec_fIffLi2ELi128ELb0ELb0EEvPKT_PKfPKi31ggml_cuda_mm_fusion_args_devicePfi15HIP_vector_typeIjLj3EEiiiSA_iiiSA_iiii, .Lfunc_end35-_ZL13mul_mat_vec_fIffLi2ELi128ELb0ELb0EEvPKT_PKfPKi31ggml_cuda_mm_fusion_args_devicePfi15HIP_vector_typeIjLj3EEiiiSA_iiiSA_iiii
                                        ; -- End function
	.set _ZL13mul_mat_vec_fIffLi2ELi128ELb0ELb0EEvPKT_PKfPKi31ggml_cuda_mm_fusion_args_devicePfi15HIP_vector_typeIjLj3EEiiiSA_iiiSA_iiii.num_vgpr, 15
	.set _ZL13mul_mat_vec_fIffLi2ELi128ELb0ELb0EEvPKT_PKfPKi31ggml_cuda_mm_fusion_args_devicePfi15HIP_vector_typeIjLj3EEiiiSA_iiiSA_iiii.num_agpr, 0
	.set _ZL13mul_mat_vec_fIffLi2ELi128ELb0ELb0EEvPKT_PKfPKi31ggml_cuda_mm_fusion_args_devicePfi15HIP_vector_typeIjLj3EEiiiSA_iiiSA_iiii.numbered_sgpr, 30
	.set _ZL13mul_mat_vec_fIffLi2ELi128ELb0ELb0EEvPKT_PKfPKi31ggml_cuda_mm_fusion_args_devicePfi15HIP_vector_typeIjLj3EEiiiSA_iiiSA_iiii.num_named_barrier, 0
	.set _ZL13mul_mat_vec_fIffLi2ELi128ELb0ELb0EEvPKT_PKfPKi31ggml_cuda_mm_fusion_args_devicePfi15HIP_vector_typeIjLj3EEiiiSA_iiiSA_iiii.private_seg_size, 0
	.set _ZL13mul_mat_vec_fIffLi2ELi128ELb0ELb0EEvPKT_PKfPKi31ggml_cuda_mm_fusion_args_devicePfi15HIP_vector_typeIjLj3EEiiiSA_iiiSA_iiii.uses_vcc, 1
	.set _ZL13mul_mat_vec_fIffLi2ELi128ELb0ELb0EEvPKT_PKfPKi31ggml_cuda_mm_fusion_args_devicePfi15HIP_vector_typeIjLj3EEiiiSA_iiiSA_iiii.uses_flat_scratch, 0
	.set _ZL13mul_mat_vec_fIffLi2ELi128ELb0ELb0EEvPKT_PKfPKi31ggml_cuda_mm_fusion_args_devicePfi15HIP_vector_typeIjLj3EEiiiSA_iiiSA_iiii.has_dyn_sized_stack, 0
	.set _ZL13mul_mat_vec_fIffLi2ELi128ELb0ELb0EEvPKT_PKfPKi31ggml_cuda_mm_fusion_args_devicePfi15HIP_vector_typeIjLj3EEiiiSA_iiiSA_iiii.has_recursion, 0
	.set _ZL13mul_mat_vec_fIffLi2ELi128ELb0ELb0EEvPKT_PKfPKi31ggml_cuda_mm_fusion_args_devicePfi15HIP_vector_typeIjLj3EEiiiSA_iiiSA_iiii.has_indirect_call, 0
	.section	.AMDGPU.csdata,"",@progbits
; Kernel info:
; codeLenInByte = 1360
; TotalNumSgprs: 32
; NumVgprs: 15
; ScratchSize: 0
; MemoryBound: 0
; FloatMode: 240
; IeeeMode: 1
; LDSByteSize: 0 bytes/workgroup (compile time only)
; SGPRBlocks: 0
; VGPRBlocks: 1
; NumSGPRsForWavesPerEU: 32
; NumVGPRsForWavesPerEU: 15
; Occupancy: 16
; WaveLimiterHint : 0
; COMPUTE_PGM_RSRC2:SCRATCH_EN: 0
; COMPUTE_PGM_RSRC2:USER_SGPR: 6
; COMPUTE_PGM_RSRC2:TRAP_HANDLER: 0
; COMPUTE_PGM_RSRC2:TGID_X_EN: 1
; COMPUTE_PGM_RSRC2:TGID_Y_EN: 1
; COMPUTE_PGM_RSRC2:TGID_Z_EN: 1
; COMPUTE_PGM_RSRC2:TIDIG_COMP_CNT: 0
	.section	.text._ZL13mul_mat_vec_fIffLi2ELi160ELb0ELb0EEvPKT_PKfPKi31ggml_cuda_mm_fusion_args_devicePfi15HIP_vector_typeIjLj3EEiiiSA_iiiSA_iiii,"axG",@progbits,_ZL13mul_mat_vec_fIffLi2ELi160ELb0ELb0EEvPKT_PKfPKi31ggml_cuda_mm_fusion_args_devicePfi15HIP_vector_typeIjLj3EEiiiSA_iiiSA_iiii,comdat
	.globl	_ZL13mul_mat_vec_fIffLi2ELi160ELb0ELb0EEvPKT_PKfPKi31ggml_cuda_mm_fusion_args_devicePfi15HIP_vector_typeIjLj3EEiiiSA_iiiSA_iiii ; -- Begin function _ZL13mul_mat_vec_fIffLi2ELi160ELb0ELb0EEvPKT_PKfPKi31ggml_cuda_mm_fusion_args_devicePfi15HIP_vector_typeIjLj3EEiiiSA_iiiSA_iiii
	.p2align	8
	.type	_ZL13mul_mat_vec_fIffLi2ELi160ELb0ELb0EEvPKT_PKfPKi31ggml_cuda_mm_fusion_args_devicePfi15HIP_vector_typeIjLj3EEiiiSA_iiiSA_iiii,@function
_ZL13mul_mat_vec_fIffLi2ELi160ELb0ELb0EEvPKT_PKfPKi31ggml_cuda_mm_fusion_args_devicePfi15HIP_vector_typeIjLj3EEiiiSA_iiiSA_iiii: ; @_ZL13mul_mat_vec_fIffLi2ELi160ELb0ELb0EEvPKT_PKfPKi31ggml_cuda_mm_fusion_args_devicePfi15HIP_vector_typeIjLj3EEiiiSA_iiiSA_iiii
; %bb.0:
	s_clause 0x2
	s_load_dwordx2 s[0:1], s[4:5], 0x10
	s_load_dwordx8 s[12:19], s[4:5], 0x40
	s_load_dwordx4 s[20:23], s[4:5], 0x80
	s_waitcnt lgkmcnt(0)
	s_cmp_eq_u64 s[0:1], 0
	s_cselect_b32 s10, -1, 0
	s_cmp_lg_u64 s[0:1], 0
	s_cselect_b32 s11, -1, 0
	s_and_b32 vcc_lo, exec_lo, s10
	s_cbranch_vccnz .LBB36_2
; %bb.1:
	s_mul_i32 s2, s23, s8
	s_mov_b32 s3, 0
	s_add_i32 s2, s2, s7
	s_lshl_b64 s[24:25], s[2:3], 2
	s_add_u32 s0, s0, s24
	s_addc_u32 s1, s1, s25
	s_load_dword s9, s[0:1], 0x0
	s_cbranch_execz .LBB36_3
	s_branch .LBB36_4
.LBB36_2:
                                        ; implicit-def: $sgpr9
.LBB36_3:
	s_load_dwordx2 s[0:1], s[4:5], 0x5c
	s_waitcnt lgkmcnt(0)
	s_mul_hi_u32 s0, s0, s7
	s_add_i32 s0, s7, s0
	s_lshr_b32 s9, s0, s1
.LBB36_4:
	s_load_dwordx4 s[24:27], s[4:5], 0x68
	s_andn2_b32 vcc_lo, exec_lo, s11
	s_mov_b32 s19, s7
	s_cbranch_vccnz .LBB36_6
; %bb.5:
	s_mul_hi_u32 s0, s13, s7
	s_add_i32 s0, s7, s0
	s_lshr_b32 s0, s0, s14
	s_mul_i32 s0, s0, s15
	s_sub_i32 s19, s7, s0
.LBB36_6:
	s_load_dword s14, s[4:5], 0x78
	v_cmp_gt_u32_e32 vcc_lo, 32, v0
	v_lshl_add_u32 v5, v0, 2, 0
	s_and_saveexec_b32 s0, vcc_lo
; %bb.7:
	v_mov_b32_e32 v1, 0
	ds_write_b32 v5, v1
; %bb.8:
	s_or_b32 exec_lo, exec_lo, s0
	v_mov_b32_e32 v6, 0
	v_mov_b32_e32 v7, 0
	s_and_b32 s0, exec_lo, s10
	s_mov_b32 s11, 0
	s_cselect_b32 s10, s8, 0
	s_mov_b32 s13, exec_lo
	s_waitcnt lgkmcnt(0)
	s_barrier
	buffer_gl0_inv
	v_cmpx_gt_i32_e64 s12, v0
	s_cbranch_execz .LBB36_12
; %bb.9:
	s_load_dwordx4 s[0:3], s[4:5], 0x0
	s_mul_hi_u32 s15, s27, s10
	s_mul_i32 s16, s16, s6
	s_add_i32 s15, s10, s15
	s_mul_i32 s8, s9, s24
	s_mul_i32 s24, s19, s25
	s_ashr_i32 s29, s17, 31
	s_mov_b32 s28, s17
	s_ashr_i32 s17, s16, 31
	s_lshr_b32 s19, s15, s14
	s_ashr_i32 s9, s8, 31
	s_lshl_b64 s[14:15], s[16:17], 2
	s_mul_hi_i32 s17, s19, s20
	s_mul_i32 s16, s19, s20
	s_lshl_b64 s[8:9], s[8:9], 2
	s_ashr_i32 s25, s24, 31
	s_lshl_b64 s[16:17], s[16:17], 2
	v_lshlrev_b32_e32 v1, 3, v0
	v_mov_b32_e32 v7, 0
	v_mov_b32_e32 v8, v0
	s_waitcnt lgkmcnt(0)
	s_add_u32 s0, s0, s8
	s_addc_u32 s1, s1, s9
	s_add_u32 s0, s0, s14
	s_addc_u32 s1, s1, s15
	;; [unrolled: 2-line block ×3, first 2 shown]
	v_add_co_u32 v2, s0, s0, v1
	v_add_co_ci_u32_e64 v3, null, s1, 0, s0
	s_mul_hi_i32 s1, s10, s21
	s_mul_i32 s0, s10, s21
	s_lshl_b64 s[14:15], s[24:25], 2
	s_lshl_b64 s[8:9], s[28:29], 3
	;; [unrolled: 1-line block ×3, first 2 shown]
	s_add_u32 s2, s2, s14
	s_addc_u32 s3, s3, s15
	s_add_u32 s0, s2, s0
	s_addc_u32 s1, s3, s1
	v_add_co_u32 v4, s0, s0, v1
	v_add_co_ci_u32_e64 v6, null, s1, 0, s0
	v_add_co_u32 v1, s0, v2, 4
	v_add_co_ci_u32_e64 v2, null, 0, v3, s0
	;; [unrolled: 2-line block ×3, first 2 shown]
	v_mov_b32_e32 v6, 0
	.p2align	6
.LBB36_10:                              ; =>This Inner Loop Header: Depth=1
	v_add_co_u32 v9, s0, v3, s8
	v_add_co_ci_u32_e64 v10, null, s9, v4, s0
	v_add_nc_u32_e32 v8, 0xa0, v8
	global_load_dwordx2 v[11:12], v[1:2], off offset:-4
	s_clause 0x1
	global_load_dwordx2 v[13:14], v[3:4], off offset:-4
	global_load_dwordx2 v[9:10], v[9:10], off offset:-4
	v_add_co_u32 v1, s0, 0x500, v1
	v_add_co_ci_u32_e64 v2, null, 0, v2, s0
	v_cmp_le_i32_e64 s0, s12, v8
	v_add_co_u32 v3, s1, 0x500, v3
	v_add_co_ci_u32_e64 v4, null, 0, v4, s1
	s_or_b32 s11, s0, s11
	s_waitcnt vmcnt(1)
	v_fmac_f32_e32 v7, v11, v13
	s_waitcnt vmcnt(0)
	v_fmac_f32_e32 v6, v11, v9
	v_fmac_f32_e32 v7, v12, v14
	;; [unrolled: 1-line block ×3, first 2 shown]
	s_andn2_b32 exec_lo, exec_lo, s11
	s_cbranch_execnz .LBB36_10
; %bb.11:
	s_or_b32 exec_lo, exec_lo, s11
.LBB36_12:
	s_or_b32 exec_lo, exec_lo, s13
	v_mbcnt_lo_u32_b32 v2, -1, 0
	v_xor_b32_e32 v1, 16, v2
	v_xor_b32_e32 v3, 8, v2
	v_cmp_gt_i32_e64 s0, 32, v1
	v_cndmask_b32_e64 v1, v2, v1, s0
	v_cmp_gt_i32_e64 s0, 32, v3
	v_lshlrev_b32_e32 v1, 2, v1
	v_cndmask_b32_e64 v3, v2, v3, s0
	ds_bpermute_b32 v4, v1, v7
	v_lshlrev_b32_e32 v3, 2, v3
	s_waitcnt lgkmcnt(0)
	v_add_f32_e32 v7, v7, v4
	v_xor_b32_e32 v4, 4, v2
	ds_bpermute_b32 v8, v3, v7
	v_cmp_gt_i32_e64 s0, 32, v4
	v_cndmask_b32_e64 v4, v2, v4, s0
	v_lshlrev_b32_e32 v4, 2, v4
	s_waitcnt lgkmcnt(0)
	v_add_f32_e32 v8, v7, v8
	v_xor_b32_e32 v7, 2, v2
	ds_bpermute_b32 v9, v4, v8
	v_cmp_gt_i32_e64 s0, 32, v7
	v_cndmask_b32_e64 v7, v2, v7, s0
	;; [unrolled: 7-line block ×3, first 2 shown]
	v_lshlrev_b32_e32 v8, 2, v2
	s_waitcnt lgkmcnt(0)
	v_add_f32_e32 v2, v9, v10
	v_lshrrev_b32_e32 v9, 3, v0
	ds_bpermute_b32 v10, v8, v2
	v_and_b32_e32 v9, 0x7c, v9
	v_add_nc_u32_e32 v9, 0, v9
	s_waitcnt lgkmcnt(0)
	v_add_f32_e32 v2, v2, v10
	ds_write_b32 v9, v2
	s_waitcnt lgkmcnt(0)
	s_barrier
	buffer_gl0_inv
	s_and_saveexec_b32 s0, vcc_lo
	s_cbranch_execz .LBB36_14
; %bb.13:
	ds_read_b32 v2, v5
	s_waitcnt lgkmcnt(0)
	ds_bpermute_b32 v10, v1, v2
	s_waitcnt lgkmcnt(0)
	v_add_f32_e32 v2, v2, v10
	ds_bpermute_b32 v10, v3, v2
	s_waitcnt lgkmcnt(0)
	v_add_f32_e32 v2, v2, v10
	;; [unrolled: 3-line block ×5, first 2 shown]
.LBB36_14:
	s_or_b32 exec_lo, exec_lo, s0
	ds_bpermute_b32 v10, v1, v6
	s_waitcnt lgkmcnt(0)
	s_barrier
	buffer_gl0_inv
	v_add_f32_e32 v6, v6, v10
	ds_bpermute_b32 v10, v3, v6
	s_waitcnt lgkmcnt(0)
	v_add_f32_e32 v6, v6, v10
	ds_bpermute_b32 v10, v4, v6
	s_waitcnt lgkmcnt(0)
	;; [unrolled: 3-line block ×4, first 2 shown]
	v_add_f32_e32 v6, v6, v10
	ds_write_b32 v9, v6
	s_waitcnt lgkmcnt(0)
	s_barrier
	buffer_gl0_inv
	s_and_saveexec_b32 s0, vcc_lo
	s_cbranch_execz .LBB36_16
; %bb.15:
	ds_read_b32 v5, v5
	s_waitcnt lgkmcnt(0)
	ds_bpermute_b32 v1, v1, v5
	s_waitcnt lgkmcnt(0)
	v_add_f32_e32 v1, v5, v1
	ds_bpermute_b32 v3, v3, v1
	s_waitcnt lgkmcnt(0)
	v_add_f32_e32 v1, v1, v3
	;; [unrolled: 3-line block ×5, first 2 shown]
.LBB36_16:
	s_or_b32 exec_lo, exec_lo, s0
	s_barrier
	buffer_gl0_inv
	s_mov_b32 s0, exec_lo
	v_cmpx_gt_u32_e32 2, v0
	s_cbranch_execz .LBB36_18
; %bb.17:
	s_load_dwordx2 s[0:1], s[4:5], 0x38
	v_mad_u64_u32 v[3:4], null, s18, v0, s[6:7]
	s_mul_hi_i32 s3, s22, s10
	s_mul_i32 s2, s22, s10
	s_mul_i32 s4, s26, s7
	s_lshl_b64 s[2:3], s[2:3], 2
	s_ashr_i32 s5, s4, 31
	v_cmp_eq_u32_e32 vcc_lo, 1, v0
	v_ashrrev_i32_e32 v4, 31, v3
	v_cndmask_b32_e32 v2, v2, v6, vcc_lo
	v_lshlrev_b64 v[3:4], 2, v[3:4]
	s_waitcnt lgkmcnt(0)
	s_add_u32 s2, s0, s2
	s_addc_u32 s3, s1, s3
	s_lshl_b64 s[0:1], s[4:5], 2
	s_add_u32 s0, s2, s0
	s_addc_u32 s1, s3, s1
	v_add_co_u32 v0, vcc_lo, s0, v3
	v_add_co_ci_u32_e64 v1, null, s1, v4, vcc_lo
	global_store_dword v[0:1], v2, off
.LBB36_18:
	s_endpgm
	.section	.rodata,"a",@progbits
	.p2align	6, 0x0
	.amdhsa_kernel _ZL13mul_mat_vec_fIffLi2ELi160ELb0ELb0EEvPKT_PKfPKi31ggml_cuda_mm_fusion_args_devicePfi15HIP_vector_typeIjLj3EEiiiSA_iiiSA_iiii
		.amdhsa_group_segment_fixed_size 0
		.amdhsa_private_segment_fixed_size 0
		.amdhsa_kernarg_size 144
		.amdhsa_user_sgpr_count 6
		.amdhsa_user_sgpr_private_segment_buffer 1
		.amdhsa_user_sgpr_dispatch_ptr 0
		.amdhsa_user_sgpr_queue_ptr 0
		.amdhsa_user_sgpr_kernarg_segment_ptr 1
		.amdhsa_user_sgpr_dispatch_id 0
		.amdhsa_user_sgpr_flat_scratch_init 0
		.amdhsa_user_sgpr_private_segment_size 0
		.amdhsa_wavefront_size32 1
		.amdhsa_uses_dynamic_stack 0
		.amdhsa_system_sgpr_private_segment_wavefront_offset 0
		.amdhsa_system_sgpr_workgroup_id_x 1
		.amdhsa_system_sgpr_workgroup_id_y 1
		.amdhsa_system_sgpr_workgroup_id_z 1
		.amdhsa_system_sgpr_workgroup_info 0
		.amdhsa_system_vgpr_workitem_id 0
		.amdhsa_next_free_vgpr 15
		.amdhsa_next_free_sgpr 30
		.amdhsa_reserve_vcc 1
		.amdhsa_reserve_flat_scratch 0
		.amdhsa_float_round_mode_32 0
		.amdhsa_float_round_mode_16_64 0
		.amdhsa_float_denorm_mode_32 3
		.amdhsa_float_denorm_mode_16_64 3
		.amdhsa_dx10_clamp 1
		.amdhsa_ieee_mode 1
		.amdhsa_fp16_overflow 0
		.amdhsa_workgroup_processor_mode 1
		.amdhsa_memory_ordered 1
		.amdhsa_forward_progress 1
		.amdhsa_shared_vgpr_count 0
		.amdhsa_exception_fp_ieee_invalid_op 0
		.amdhsa_exception_fp_denorm_src 0
		.amdhsa_exception_fp_ieee_div_zero 0
		.amdhsa_exception_fp_ieee_overflow 0
		.amdhsa_exception_fp_ieee_underflow 0
		.amdhsa_exception_fp_ieee_inexact 0
		.amdhsa_exception_int_div_zero 0
	.end_amdhsa_kernel
	.section	.text._ZL13mul_mat_vec_fIffLi2ELi160ELb0ELb0EEvPKT_PKfPKi31ggml_cuda_mm_fusion_args_devicePfi15HIP_vector_typeIjLj3EEiiiSA_iiiSA_iiii,"axG",@progbits,_ZL13mul_mat_vec_fIffLi2ELi160ELb0ELb0EEvPKT_PKfPKi31ggml_cuda_mm_fusion_args_devicePfi15HIP_vector_typeIjLj3EEiiiSA_iiiSA_iiii,comdat
.Lfunc_end36:
	.size	_ZL13mul_mat_vec_fIffLi2ELi160ELb0ELb0EEvPKT_PKfPKi31ggml_cuda_mm_fusion_args_devicePfi15HIP_vector_typeIjLj3EEiiiSA_iiiSA_iiii, .Lfunc_end36-_ZL13mul_mat_vec_fIffLi2ELi160ELb0ELb0EEvPKT_PKfPKi31ggml_cuda_mm_fusion_args_devicePfi15HIP_vector_typeIjLj3EEiiiSA_iiiSA_iiii
                                        ; -- End function
	.set _ZL13mul_mat_vec_fIffLi2ELi160ELb0ELb0EEvPKT_PKfPKi31ggml_cuda_mm_fusion_args_devicePfi15HIP_vector_typeIjLj3EEiiiSA_iiiSA_iiii.num_vgpr, 15
	.set _ZL13mul_mat_vec_fIffLi2ELi160ELb0ELb0EEvPKT_PKfPKi31ggml_cuda_mm_fusion_args_devicePfi15HIP_vector_typeIjLj3EEiiiSA_iiiSA_iiii.num_agpr, 0
	.set _ZL13mul_mat_vec_fIffLi2ELi160ELb0ELb0EEvPKT_PKfPKi31ggml_cuda_mm_fusion_args_devicePfi15HIP_vector_typeIjLj3EEiiiSA_iiiSA_iiii.numbered_sgpr, 30
	.set _ZL13mul_mat_vec_fIffLi2ELi160ELb0ELb0EEvPKT_PKfPKi31ggml_cuda_mm_fusion_args_devicePfi15HIP_vector_typeIjLj3EEiiiSA_iiiSA_iiii.num_named_barrier, 0
	.set _ZL13mul_mat_vec_fIffLi2ELi160ELb0ELb0EEvPKT_PKfPKi31ggml_cuda_mm_fusion_args_devicePfi15HIP_vector_typeIjLj3EEiiiSA_iiiSA_iiii.private_seg_size, 0
	.set _ZL13mul_mat_vec_fIffLi2ELi160ELb0ELb0EEvPKT_PKfPKi31ggml_cuda_mm_fusion_args_devicePfi15HIP_vector_typeIjLj3EEiiiSA_iiiSA_iiii.uses_vcc, 1
	.set _ZL13mul_mat_vec_fIffLi2ELi160ELb0ELb0EEvPKT_PKfPKi31ggml_cuda_mm_fusion_args_devicePfi15HIP_vector_typeIjLj3EEiiiSA_iiiSA_iiii.uses_flat_scratch, 0
	.set _ZL13mul_mat_vec_fIffLi2ELi160ELb0ELb0EEvPKT_PKfPKi31ggml_cuda_mm_fusion_args_devicePfi15HIP_vector_typeIjLj3EEiiiSA_iiiSA_iiii.has_dyn_sized_stack, 0
	.set _ZL13mul_mat_vec_fIffLi2ELi160ELb0ELb0EEvPKT_PKfPKi31ggml_cuda_mm_fusion_args_devicePfi15HIP_vector_typeIjLj3EEiiiSA_iiiSA_iiii.has_recursion, 0
	.set _ZL13mul_mat_vec_fIffLi2ELi160ELb0ELb0EEvPKT_PKfPKi31ggml_cuda_mm_fusion_args_devicePfi15HIP_vector_typeIjLj3EEiiiSA_iiiSA_iiii.has_indirect_call, 0
	.section	.AMDGPU.csdata,"",@progbits
; Kernel info:
; codeLenInByte = 1360
; TotalNumSgprs: 32
; NumVgprs: 15
; ScratchSize: 0
; MemoryBound: 0
; FloatMode: 240
; IeeeMode: 1
; LDSByteSize: 0 bytes/workgroup (compile time only)
; SGPRBlocks: 0
; VGPRBlocks: 1
; NumSGPRsForWavesPerEU: 32
; NumVGPRsForWavesPerEU: 15
; Occupancy: 16
; WaveLimiterHint : 0
; COMPUTE_PGM_RSRC2:SCRATCH_EN: 0
; COMPUTE_PGM_RSRC2:USER_SGPR: 6
; COMPUTE_PGM_RSRC2:TRAP_HANDLER: 0
; COMPUTE_PGM_RSRC2:TGID_X_EN: 1
; COMPUTE_PGM_RSRC2:TGID_Y_EN: 1
; COMPUTE_PGM_RSRC2:TGID_Z_EN: 1
; COMPUTE_PGM_RSRC2:TIDIG_COMP_CNT: 0
	.section	.text._ZL13mul_mat_vec_fIffLi2ELi192ELb0ELb0EEvPKT_PKfPKi31ggml_cuda_mm_fusion_args_devicePfi15HIP_vector_typeIjLj3EEiiiSA_iiiSA_iiii,"axG",@progbits,_ZL13mul_mat_vec_fIffLi2ELi192ELb0ELb0EEvPKT_PKfPKi31ggml_cuda_mm_fusion_args_devicePfi15HIP_vector_typeIjLj3EEiiiSA_iiiSA_iiii,comdat
	.globl	_ZL13mul_mat_vec_fIffLi2ELi192ELb0ELb0EEvPKT_PKfPKi31ggml_cuda_mm_fusion_args_devicePfi15HIP_vector_typeIjLj3EEiiiSA_iiiSA_iiii ; -- Begin function _ZL13mul_mat_vec_fIffLi2ELi192ELb0ELb0EEvPKT_PKfPKi31ggml_cuda_mm_fusion_args_devicePfi15HIP_vector_typeIjLj3EEiiiSA_iiiSA_iiii
	.p2align	8
	.type	_ZL13mul_mat_vec_fIffLi2ELi192ELb0ELb0EEvPKT_PKfPKi31ggml_cuda_mm_fusion_args_devicePfi15HIP_vector_typeIjLj3EEiiiSA_iiiSA_iiii,@function
_ZL13mul_mat_vec_fIffLi2ELi192ELb0ELb0EEvPKT_PKfPKi31ggml_cuda_mm_fusion_args_devicePfi15HIP_vector_typeIjLj3EEiiiSA_iiiSA_iiii: ; @_ZL13mul_mat_vec_fIffLi2ELi192ELb0ELb0EEvPKT_PKfPKi31ggml_cuda_mm_fusion_args_devicePfi15HIP_vector_typeIjLj3EEiiiSA_iiiSA_iiii
; %bb.0:
	s_clause 0x2
	s_load_dwordx2 s[0:1], s[4:5], 0x10
	s_load_dwordx8 s[12:19], s[4:5], 0x40
	s_load_dwordx4 s[20:23], s[4:5], 0x80
	s_waitcnt lgkmcnt(0)
	s_cmp_eq_u64 s[0:1], 0
	s_cselect_b32 s10, -1, 0
	s_cmp_lg_u64 s[0:1], 0
	s_cselect_b32 s11, -1, 0
	s_and_b32 vcc_lo, exec_lo, s10
	s_cbranch_vccnz .LBB37_2
; %bb.1:
	s_mul_i32 s2, s23, s8
	s_mov_b32 s3, 0
	s_add_i32 s2, s2, s7
	s_lshl_b64 s[24:25], s[2:3], 2
	s_add_u32 s0, s0, s24
	s_addc_u32 s1, s1, s25
	s_load_dword s9, s[0:1], 0x0
	s_cbranch_execz .LBB37_3
	s_branch .LBB37_4
.LBB37_2:
                                        ; implicit-def: $sgpr9
.LBB37_3:
	s_load_dwordx2 s[0:1], s[4:5], 0x5c
	s_waitcnt lgkmcnt(0)
	s_mul_hi_u32 s0, s0, s7
	s_add_i32 s0, s7, s0
	s_lshr_b32 s9, s0, s1
.LBB37_4:
	s_load_dwordx4 s[24:27], s[4:5], 0x68
	s_andn2_b32 vcc_lo, exec_lo, s11
	s_mov_b32 s19, s7
	s_cbranch_vccnz .LBB37_6
; %bb.5:
	s_mul_hi_u32 s0, s13, s7
	s_add_i32 s0, s7, s0
	s_lshr_b32 s0, s0, s14
	s_mul_i32 s0, s0, s15
	s_sub_i32 s19, s7, s0
.LBB37_6:
	s_load_dword s14, s[4:5], 0x78
	v_cmp_gt_u32_e32 vcc_lo, 32, v0
	v_lshl_add_u32 v5, v0, 2, 0
	s_and_saveexec_b32 s0, vcc_lo
; %bb.7:
	v_mov_b32_e32 v1, 0
	ds_write_b32 v5, v1
; %bb.8:
	s_or_b32 exec_lo, exec_lo, s0
	v_mov_b32_e32 v6, 0
	v_mov_b32_e32 v7, 0
	s_and_b32 s0, exec_lo, s10
	s_mov_b32 s11, 0
	s_cselect_b32 s10, s8, 0
	s_mov_b32 s13, exec_lo
	s_waitcnt lgkmcnt(0)
	s_barrier
	buffer_gl0_inv
	v_cmpx_gt_i32_e64 s12, v0
	s_cbranch_execz .LBB37_12
; %bb.9:
	s_load_dwordx4 s[0:3], s[4:5], 0x0
	s_mul_hi_u32 s15, s27, s10
	s_mul_i32 s16, s16, s6
	s_add_i32 s15, s10, s15
	s_mul_i32 s8, s9, s24
	s_mul_i32 s24, s19, s25
	s_ashr_i32 s29, s17, 31
	s_mov_b32 s28, s17
	s_ashr_i32 s17, s16, 31
	s_lshr_b32 s19, s15, s14
	s_ashr_i32 s9, s8, 31
	s_lshl_b64 s[14:15], s[16:17], 2
	s_mul_hi_i32 s17, s19, s20
	s_mul_i32 s16, s19, s20
	s_lshl_b64 s[8:9], s[8:9], 2
	s_ashr_i32 s25, s24, 31
	s_lshl_b64 s[16:17], s[16:17], 2
	v_lshlrev_b32_e32 v1, 3, v0
	v_mov_b32_e32 v7, 0
	v_mov_b32_e32 v8, v0
	s_waitcnt lgkmcnt(0)
	s_add_u32 s0, s0, s8
	s_addc_u32 s1, s1, s9
	s_add_u32 s0, s0, s14
	s_addc_u32 s1, s1, s15
	s_add_u32 s0, s0, s16
	s_addc_u32 s1, s1, s17
	v_add_co_u32 v2, s0, s0, v1
	v_add_co_ci_u32_e64 v3, null, s1, 0, s0
	s_mul_hi_i32 s1, s10, s21
	s_mul_i32 s0, s10, s21
	s_lshl_b64 s[14:15], s[24:25], 2
	s_lshl_b64 s[8:9], s[28:29], 3
	s_lshl_b64 s[0:1], s[0:1], 2
	s_add_u32 s2, s2, s14
	s_addc_u32 s3, s3, s15
	s_add_u32 s0, s2, s0
	s_addc_u32 s1, s3, s1
	v_add_co_u32 v4, s0, s0, v1
	v_add_co_ci_u32_e64 v6, null, s1, 0, s0
	v_add_co_u32 v1, s0, v2, 4
	v_add_co_ci_u32_e64 v2, null, 0, v3, s0
	;; [unrolled: 2-line block ×3, first 2 shown]
	v_mov_b32_e32 v6, 0
	.p2align	6
.LBB37_10:                              ; =>This Inner Loop Header: Depth=1
	v_add_co_u32 v9, s0, v3, s8
	v_add_co_ci_u32_e64 v10, null, s9, v4, s0
	v_add_nc_u32_e32 v8, 0xc0, v8
	global_load_dwordx2 v[11:12], v[1:2], off offset:-4
	s_clause 0x1
	global_load_dwordx2 v[13:14], v[3:4], off offset:-4
	global_load_dwordx2 v[9:10], v[9:10], off offset:-4
	v_add_co_u32 v1, s0, 0x600, v1
	v_add_co_ci_u32_e64 v2, null, 0, v2, s0
	v_cmp_le_i32_e64 s0, s12, v8
	v_add_co_u32 v3, s1, 0x600, v3
	v_add_co_ci_u32_e64 v4, null, 0, v4, s1
	s_or_b32 s11, s0, s11
	s_waitcnt vmcnt(1)
	v_fmac_f32_e32 v7, v11, v13
	s_waitcnt vmcnt(0)
	v_fmac_f32_e32 v6, v11, v9
	v_fmac_f32_e32 v7, v12, v14
	;; [unrolled: 1-line block ×3, first 2 shown]
	s_andn2_b32 exec_lo, exec_lo, s11
	s_cbranch_execnz .LBB37_10
; %bb.11:
	s_or_b32 exec_lo, exec_lo, s11
.LBB37_12:
	s_or_b32 exec_lo, exec_lo, s13
	v_mbcnt_lo_u32_b32 v2, -1, 0
	v_xor_b32_e32 v1, 16, v2
	v_xor_b32_e32 v3, 8, v2
	v_cmp_gt_i32_e64 s0, 32, v1
	v_cndmask_b32_e64 v1, v2, v1, s0
	v_cmp_gt_i32_e64 s0, 32, v3
	v_lshlrev_b32_e32 v1, 2, v1
	v_cndmask_b32_e64 v3, v2, v3, s0
	ds_bpermute_b32 v4, v1, v7
	v_lshlrev_b32_e32 v3, 2, v3
	s_waitcnt lgkmcnt(0)
	v_add_f32_e32 v7, v7, v4
	v_xor_b32_e32 v4, 4, v2
	ds_bpermute_b32 v8, v3, v7
	v_cmp_gt_i32_e64 s0, 32, v4
	v_cndmask_b32_e64 v4, v2, v4, s0
	v_lshlrev_b32_e32 v4, 2, v4
	s_waitcnt lgkmcnt(0)
	v_add_f32_e32 v8, v7, v8
	v_xor_b32_e32 v7, 2, v2
	ds_bpermute_b32 v9, v4, v8
	v_cmp_gt_i32_e64 s0, 32, v7
	v_cndmask_b32_e64 v7, v2, v7, s0
	;; [unrolled: 7-line block ×3, first 2 shown]
	v_lshlrev_b32_e32 v8, 2, v2
	s_waitcnt lgkmcnt(0)
	v_add_f32_e32 v2, v9, v10
	v_lshrrev_b32_e32 v9, 3, v0
	ds_bpermute_b32 v10, v8, v2
	v_and_b32_e32 v9, 0x7c, v9
	v_add_nc_u32_e32 v9, 0, v9
	s_waitcnt lgkmcnt(0)
	v_add_f32_e32 v2, v2, v10
	ds_write_b32 v9, v2
	s_waitcnt lgkmcnt(0)
	s_barrier
	buffer_gl0_inv
	s_and_saveexec_b32 s0, vcc_lo
	s_cbranch_execz .LBB37_14
; %bb.13:
	ds_read_b32 v2, v5
	s_waitcnt lgkmcnt(0)
	ds_bpermute_b32 v10, v1, v2
	s_waitcnt lgkmcnt(0)
	v_add_f32_e32 v2, v2, v10
	ds_bpermute_b32 v10, v3, v2
	s_waitcnt lgkmcnt(0)
	v_add_f32_e32 v2, v2, v10
	;; [unrolled: 3-line block ×5, first 2 shown]
.LBB37_14:
	s_or_b32 exec_lo, exec_lo, s0
	ds_bpermute_b32 v10, v1, v6
	s_waitcnt lgkmcnt(0)
	s_barrier
	buffer_gl0_inv
	v_add_f32_e32 v6, v6, v10
	ds_bpermute_b32 v10, v3, v6
	s_waitcnt lgkmcnt(0)
	v_add_f32_e32 v6, v6, v10
	ds_bpermute_b32 v10, v4, v6
	s_waitcnt lgkmcnt(0)
	;; [unrolled: 3-line block ×4, first 2 shown]
	v_add_f32_e32 v6, v6, v10
	ds_write_b32 v9, v6
	s_waitcnt lgkmcnt(0)
	s_barrier
	buffer_gl0_inv
	s_and_saveexec_b32 s0, vcc_lo
	s_cbranch_execz .LBB37_16
; %bb.15:
	ds_read_b32 v5, v5
	s_waitcnt lgkmcnt(0)
	ds_bpermute_b32 v1, v1, v5
	s_waitcnt lgkmcnt(0)
	v_add_f32_e32 v1, v5, v1
	ds_bpermute_b32 v3, v3, v1
	s_waitcnt lgkmcnt(0)
	v_add_f32_e32 v1, v1, v3
	;; [unrolled: 3-line block ×5, first 2 shown]
.LBB37_16:
	s_or_b32 exec_lo, exec_lo, s0
	s_barrier
	buffer_gl0_inv
	s_mov_b32 s0, exec_lo
	v_cmpx_gt_u32_e32 2, v0
	s_cbranch_execz .LBB37_18
; %bb.17:
	s_load_dwordx2 s[0:1], s[4:5], 0x38
	v_mad_u64_u32 v[3:4], null, s18, v0, s[6:7]
	s_mul_hi_i32 s3, s22, s10
	s_mul_i32 s2, s22, s10
	s_mul_i32 s4, s26, s7
	s_lshl_b64 s[2:3], s[2:3], 2
	s_ashr_i32 s5, s4, 31
	v_cmp_eq_u32_e32 vcc_lo, 1, v0
	v_ashrrev_i32_e32 v4, 31, v3
	v_cndmask_b32_e32 v2, v2, v6, vcc_lo
	v_lshlrev_b64 v[3:4], 2, v[3:4]
	s_waitcnt lgkmcnt(0)
	s_add_u32 s2, s0, s2
	s_addc_u32 s3, s1, s3
	s_lshl_b64 s[0:1], s[4:5], 2
	s_add_u32 s0, s2, s0
	s_addc_u32 s1, s3, s1
	v_add_co_u32 v0, vcc_lo, s0, v3
	v_add_co_ci_u32_e64 v1, null, s1, v4, vcc_lo
	global_store_dword v[0:1], v2, off
.LBB37_18:
	s_endpgm
	.section	.rodata,"a",@progbits
	.p2align	6, 0x0
	.amdhsa_kernel _ZL13mul_mat_vec_fIffLi2ELi192ELb0ELb0EEvPKT_PKfPKi31ggml_cuda_mm_fusion_args_devicePfi15HIP_vector_typeIjLj3EEiiiSA_iiiSA_iiii
		.amdhsa_group_segment_fixed_size 0
		.amdhsa_private_segment_fixed_size 0
		.amdhsa_kernarg_size 144
		.amdhsa_user_sgpr_count 6
		.amdhsa_user_sgpr_private_segment_buffer 1
		.amdhsa_user_sgpr_dispatch_ptr 0
		.amdhsa_user_sgpr_queue_ptr 0
		.amdhsa_user_sgpr_kernarg_segment_ptr 1
		.amdhsa_user_sgpr_dispatch_id 0
		.amdhsa_user_sgpr_flat_scratch_init 0
		.amdhsa_user_sgpr_private_segment_size 0
		.amdhsa_wavefront_size32 1
		.amdhsa_uses_dynamic_stack 0
		.amdhsa_system_sgpr_private_segment_wavefront_offset 0
		.amdhsa_system_sgpr_workgroup_id_x 1
		.amdhsa_system_sgpr_workgroup_id_y 1
		.amdhsa_system_sgpr_workgroup_id_z 1
		.amdhsa_system_sgpr_workgroup_info 0
		.amdhsa_system_vgpr_workitem_id 0
		.amdhsa_next_free_vgpr 15
		.amdhsa_next_free_sgpr 30
		.amdhsa_reserve_vcc 1
		.amdhsa_reserve_flat_scratch 0
		.amdhsa_float_round_mode_32 0
		.amdhsa_float_round_mode_16_64 0
		.amdhsa_float_denorm_mode_32 3
		.amdhsa_float_denorm_mode_16_64 3
		.amdhsa_dx10_clamp 1
		.amdhsa_ieee_mode 1
		.amdhsa_fp16_overflow 0
		.amdhsa_workgroup_processor_mode 1
		.amdhsa_memory_ordered 1
		.amdhsa_forward_progress 1
		.amdhsa_shared_vgpr_count 0
		.amdhsa_exception_fp_ieee_invalid_op 0
		.amdhsa_exception_fp_denorm_src 0
		.amdhsa_exception_fp_ieee_div_zero 0
		.amdhsa_exception_fp_ieee_overflow 0
		.amdhsa_exception_fp_ieee_underflow 0
		.amdhsa_exception_fp_ieee_inexact 0
		.amdhsa_exception_int_div_zero 0
	.end_amdhsa_kernel
	.section	.text._ZL13mul_mat_vec_fIffLi2ELi192ELb0ELb0EEvPKT_PKfPKi31ggml_cuda_mm_fusion_args_devicePfi15HIP_vector_typeIjLj3EEiiiSA_iiiSA_iiii,"axG",@progbits,_ZL13mul_mat_vec_fIffLi2ELi192ELb0ELb0EEvPKT_PKfPKi31ggml_cuda_mm_fusion_args_devicePfi15HIP_vector_typeIjLj3EEiiiSA_iiiSA_iiii,comdat
.Lfunc_end37:
	.size	_ZL13mul_mat_vec_fIffLi2ELi192ELb0ELb0EEvPKT_PKfPKi31ggml_cuda_mm_fusion_args_devicePfi15HIP_vector_typeIjLj3EEiiiSA_iiiSA_iiii, .Lfunc_end37-_ZL13mul_mat_vec_fIffLi2ELi192ELb0ELb0EEvPKT_PKfPKi31ggml_cuda_mm_fusion_args_devicePfi15HIP_vector_typeIjLj3EEiiiSA_iiiSA_iiii
                                        ; -- End function
	.set _ZL13mul_mat_vec_fIffLi2ELi192ELb0ELb0EEvPKT_PKfPKi31ggml_cuda_mm_fusion_args_devicePfi15HIP_vector_typeIjLj3EEiiiSA_iiiSA_iiii.num_vgpr, 15
	.set _ZL13mul_mat_vec_fIffLi2ELi192ELb0ELb0EEvPKT_PKfPKi31ggml_cuda_mm_fusion_args_devicePfi15HIP_vector_typeIjLj3EEiiiSA_iiiSA_iiii.num_agpr, 0
	.set _ZL13mul_mat_vec_fIffLi2ELi192ELb0ELb0EEvPKT_PKfPKi31ggml_cuda_mm_fusion_args_devicePfi15HIP_vector_typeIjLj3EEiiiSA_iiiSA_iiii.numbered_sgpr, 30
	.set _ZL13mul_mat_vec_fIffLi2ELi192ELb0ELb0EEvPKT_PKfPKi31ggml_cuda_mm_fusion_args_devicePfi15HIP_vector_typeIjLj3EEiiiSA_iiiSA_iiii.num_named_barrier, 0
	.set _ZL13mul_mat_vec_fIffLi2ELi192ELb0ELb0EEvPKT_PKfPKi31ggml_cuda_mm_fusion_args_devicePfi15HIP_vector_typeIjLj3EEiiiSA_iiiSA_iiii.private_seg_size, 0
	.set _ZL13mul_mat_vec_fIffLi2ELi192ELb0ELb0EEvPKT_PKfPKi31ggml_cuda_mm_fusion_args_devicePfi15HIP_vector_typeIjLj3EEiiiSA_iiiSA_iiii.uses_vcc, 1
	.set _ZL13mul_mat_vec_fIffLi2ELi192ELb0ELb0EEvPKT_PKfPKi31ggml_cuda_mm_fusion_args_devicePfi15HIP_vector_typeIjLj3EEiiiSA_iiiSA_iiii.uses_flat_scratch, 0
	.set _ZL13mul_mat_vec_fIffLi2ELi192ELb0ELb0EEvPKT_PKfPKi31ggml_cuda_mm_fusion_args_devicePfi15HIP_vector_typeIjLj3EEiiiSA_iiiSA_iiii.has_dyn_sized_stack, 0
	.set _ZL13mul_mat_vec_fIffLi2ELi192ELb0ELb0EEvPKT_PKfPKi31ggml_cuda_mm_fusion_args_devicePfi15HIP_vector_typeIjLj3EEiiiSA_iiiSA_iiii.has_recursion, 0
	.set _ZL13mul_mat_vec_fIffLi2ELi192ELb0ELb0EEvPKT_PKfPKi31ggml_cuda_mm_fusion_args_devicePfi15HIP_vector_typeIjLj3EEiiiSA_iiiSA_iiii.has_indirect_call, 0
	.section	.AMDGPU.csdata,"",@progbits
; Kernel info:
; codeLenInByte = 1360
; TotalNumSgprs: 32
; NumVgprs: 15
; ScratchSize: 0
; MemoryBound: 0
; FloatMode: 240
; IeeeMode: 1
; LDSByteSize: 0 bytes/workgroup (compile time only)
; SGPRBlocks: 0
; VGPRBlocks: 1
; NumSGPRsForWavesPerEU: 32
; NumVGPRsForWavesPerEU: 15
; Occupancy: 16
; WaveLimiterHint : 0
; COMPUTE_PGM_RSRC2:SCRATCH_EN: 0
; COMPUTE_PGM_RSRC2:USER_SGPR: 6
; COMPUTE_PGM_RSRC2:TRAP_HANDLER: 0
; COMPUTE_PGM_RSRC2:TGID_X_EN: 1
; COMPUTE_PGM_RSRC2:TGID_Y_EN: 1
; COMPUTE_PGM_RSRC2:TGID_Z_EN: 1
; COMPUTE_PGM_RSRC2:TIDIG_COMP_CNT: 0
	.section	.text._ZL13mul_mat_vec_fIffLi2ELi224ELb0ELb0EEvPKT_PKfPKi31ggml_cuda_mm_fusion_args_devicePfi15HIP_vector_typeIjLj3EEiiiSA_iiiSA_iiii,"axG",@progbits,_ZL13mul_mat_vec_fIffLi2ELi224ELb0ELb0EEvPKT_PKfPKi31ggml_cuda_mm_fusion_args_devicePfi15HIP_vector_typeIjLj3EEiiiSA_iiiSA_iiii,comdat
	.globl	_ZL13mul_mat_vec_fIffLi2ELi224ELb0ELb0EEvPKT_PKfPKi31ggml_cuda_mm_fusion_args_devicePfi15HIP_vector_typeIjLj3EEiiiSA_iiiSA_iiii ; -- Begin function _ZL13mul_mat_vec_fIffLi2ELi224ELb0ELb0EEvPKT_PKfPKi31ggml_cuda_mm_fusion_args_devicePfi15HIP_vector_typeIjLj3EEiiiSA_iiiSA_iiii
	.p2align	8
	.type	_ZL13mul_mat_vec_fIffLi2ELi224ELb0ELb0EEvPKT_PKfPKi31ggml_cuda_mm_fusion_args_devicePfi15HIP_vector_typeIjLj3EEiiiSA_iiiSA_iiii,@function
_ZL13mul_mat_vec_fIffLi2ELi224ELb0ELb0EEvPKT_PKfPKi31ggml_cuda_mm_fusion_args_devicePfi15HIP_vector_typeIjLj3EEiiiSA_iiiSA_iiii: ; @_ZL13mul_mat_vec_fIffLi2ELi224ELb0ELb0EEvPKT_PKfPKi31ggml_cuda_mm_fusion_args_devicePfi15HIP_vector_typeIjLj3EEiiiSA_iiiSA_iiii
; %bb.0:
	s_clause 0x2
	s_load_dwordx2 s[0:1], s[4:5], 0x10
	s_load_dwordx8 s[12:19], s[4:5], 0x40
	s_load_dwordx4 s[20:23], s[4:5], 0x80
	s_waitcnt lgkmcnt(0)
	s_cmp_eq_u64 s[0:1], 0
	s_cselect_b32 s10, -1, 0
	s_cmp_lg_u64 s[0:1], 0
	s_cselect_b32 s11, -1, 0
	s_and_b32 vcc_lo, exec_lo, s10
	s_cbranch_vccnz .LBB38_2
; %bb.1:
	s_mul_i32 s2, s23, s8
	s_mov_b32 s3, 0
	s_add_i32 s2, s2, s7
	s_lshl_b64 s[24:25], s[2:3], 2
	s_add_u32 s0, s0, s24
	s_addc_u32 s1, s1, s25
	s_load_dword s9, s[0:1], 0x0
	s_cbranch_execz .LBB38_3
	s_branch .LBB38_4
.LBB38_2:
                                        ; implicit-def: $sgpr9
.LBB38_3:
	s_load_dwordx2 s[0:1], s[4:5], 0x5c
	s_waitcnt lgkmcnt(0)
	s_mul_hi_u32 s0, s0, s7
	s_add_i32 s0, s7, s0
	s_lshr_b32 s9, s0, s1
.LBB38_4:
	s_load_dwordx4 s[24:27], s[4:5], 0x68
	s_andn2_b32 vcc_lo, exec_lo, s11
	s_mov_b32 s19, s7
	s_cbranch_vccnz .LBB38_6
; %bb.5:
	s_mul_hi_u32 s0, s13, s7
	s_add_i32 s0, s7, s0
	s_lshr_b32 s0, s0, s14
	s_mul_i32 s0, s0, s15
	s_sub_i32 s19, s7, s0
.LBB38_6:
	s_load_dword s14, s[4:5], 0x78
	v_cmp_gt_u32_e32 vcc_lo, 32, v0
	v_lshl_add_u32 v5, v0, 2, 0
	s_and_saveexec_b32 s0, vcc_lo
; %bb.7:
	v_mov_b32_e32 v1, 0
	ds_write_b32 v5, v1
; %bb.8:
	s_or_b32 exec_lo, exec_lo, s0
	v_mov_b32_e32 v6, 0
	v_mov_b32_e32 v7, 0
	s_and_b32 s0, exec_lo, s10
	s_mov_b32 s11, 0
	s_cselect_b32 s10, s8, 0
	s_mov_b32 s13, exec_lo
	s_waitcnt lgkmcnt(0)
	s_barrier
	buffer_gl0_inv
	v_cmpx_gt_i32_e64 s12, v0
	s_cbranch_execz .LBB38_12
; %bb.9:
	s_load_dwordx4 s[0:3], s[4:5], 0x0
	s_mul_hi_u32 s15, s27, s10
	s_mul_i32 s16, s16, s6
	s_add_i32 s15, s10, s15
	s_mul_i32 s8, s9, s24
	s_mul_i32 s24, s19, s25
	s_ashr_i32 s29, s17, 31
	s_mov_b32 s28, s17
	s_ashr_i32 s17, s16, 31
	s_lshr_b32 s19, s15, s14
	s_ashr_i32 s9, s8, 31
	s_lshl_b64 s[14:15], s[16:17], 2
	s_mul_hi_i32 s17, s19, s20
	s_mul_i32 s16, s19, s20
	s_lshl_b64 s[8:9], s[8:9], 2
	s_ashr_i32 s25, s24, 31
	s_lshl_b64 s[16:17], s[16:17], 2
	v_lshlrev_b32_e32 v1, 3, v0
	v_mov_b32_e32 v7, 0
	v_mov_b32_e32 v8, v0
	s_waitcnt lgkmcnt(0)
	s_add_u32 s0, s0, s8
	s_addc_u32 s1, s1, s9
	s_add_u32 s0, s0, s14
	s_addc_u32 s1, s1, s15
	;; [unrolled: 2-line block ×3, first 2 shown]
	v_add_co_u32 v2, s0, s0, v1
	v_add_co_ci_u32_e64 v3, null, s1, 0, s0
	s_mul_hi_i32 s1, s10, s21
	s_mul_i32 s0, s10, s21
	s_lshl_b64 s[14:15], s[24:25], 2
	s_lshl_b64 s[8:9], s[28:29], 3
	;; [unrolled: 1-line block ×3, first 2 shown]
	s_add_u32 s2, s2, s14
	s_addc_u32 s3, s3, s15
	s_add_u32 s0, s2, s0
	s_addc_u32 s1, s3, s1
	v_add_co_u32 v4, s0, s0, v1
	v_add_co_ci_u32_e64 v6, null, s1, 0, s0
	v_add_co_u32 v1, s0, v2, 4
	v_add_co_ci_u32_e64 v2, null, 0, v3, s0
	v_add_co_u32 v3, s0, v4, 4
	v_add_co_ci_u32_e64 v4, null, 0, v6, s0
	v_mov_b32_e32 v6, 0
	.p2align	6
.LBB38_10:                              ; =>This Inner Loop Header: Depth=1
	v_add_co_u32 v9, s0, v3, s8
	v_add_co_ci_u32_e64 v10, null, s9, v4, s0
	v_add_nc_u32_e32 v8, 0xe0, v8
	global_load_dwordx2 v[11:12], v[1:2], off offset:-4
	s_clause 0x1
	global_load_dwordx2 v[13:14], v[3:4], off offset:-4
	global_load_dwordx2 v[9:10], v[9:10], off offset:-4
	v_add_co_u32 v1, s0, 0x700, v1
	v_add_co_ci_u32_e64 v2, null, 0, v2, s0
	v_cmp_le_i32_e64 s0, s12, v8
	v_add_co_u32 v3, s1, 0x700, v3
	v_add_co_ci_u32_e64 v4, null, 0, v4, s1
	s_or_b32 s11, s0, s11
	s_waitcnt vmcnt(1)
	v_fmac_f32_e32 v7, v11, v13
	s_waitcnt vmcnt(0)
	v_fmac_f32_e32 v6, v11, v9
	v_fmac_f32_e32 v7, v12, v14
	;; [unrolled: 1-line block ×3, first 2 shown]
	s_andn2_b32 exec_lo, exec_lo, s11
	s_cbranch_execnz .LBB38_10
; %bb.11:
	s_or_b32 exec_lo, exec_lo, s11
.LBB38_12:
	s_or_b32 exec_lo, exec_lo, s13
	v_mbcnt_lo_u32_b32 v2, -1, 0
	v_xor_b32_e32 v1, 16, v2
	v_xor_b32_e32 v3, 8, v2
	v_cmp_gt_i32_e64 s0, 32, v1
	v_cndmask_b32_e64 v1, v2, v1, s0
	v_cmp_gt_i32_e64 s0, 32, v3
	v_lshlrev_b32_e32 v1, 2, v1
	v_cndmask_b32_e64 v3, v2, v3, s0
	ds_bpermute_b32 v4, v1, v7
	v_lshlrev_b32_e32 v3, 2, v3
	s_waitcnt lgkmcnt(0)
	v_add_f32_e32 v7, v7, v4
	v_xor_b32_e32 v4, 4, v2
	ds_bpermute_b32 v8, v3, v7
	v_cmp_gt_i32_e64 s0, 32, v4
	v_cndmask_b32_e64 v4, v2, v4, s0
	v_lshlrev_b32_e32 v4, 2, v4
	s_waitcnt lgkmcnt(0)
	v_add_f32_e32 v8, v7, v8
	v_xor_b32_e32 v7, 2, v2
	ds_bpermute_b32 v9, v4, v8
	v_cmp_gt_i32_e64 s0, 32, v7
	v_cndmask_b32_e64 v7, v2, v7, s0
	;; [unrolled: 7-line block ×3, first 2 shown]
	v_lshlrev_b32_e32 v8, 2, v2
	s_waitcnt lgkmcnt(0)
	v_add_f32_e32 v2, v9, v10
	v_lshrrev_b32_e32 v9, 3, v0
	ds_bpermute_b32 v10, v8, v2
	v_and_b32_e32 v9, 0x7c, v9
	v_add_nc_u32_e32 v9, 0, v9
	s_waitcnt lgkmcnt(0)
	v_add_f32_e32 v2, v2, v10
	ds_write_b32 v9, v2
	s_waitcnt lgkmcnt(0)
	s_barrier
	buffer_gl0_inv
	s_and_saveexec_b32 s0, vcc_lo
	s_cbranch_execz .LBB38_14
; %bb.13:
	ds_read_b32 v2, v5
	s_waitcnt lgkmcnt(0)
	ds_bpermute_b32 v10, v1, v2
	s_waitcnt lgkmcnt(0)
	v_add_f32_e32 v2, v2, v10
	ds_bpermute_b32 v10, v3, v2
	s_waitcnt lgkmcnt(0)
	v_add_f32_e32 v2, v2, v10
	;; [unrolled: 3-line block ×5, first 2 shown]
.LBB38_14:
	s_or_b32 exec_lo, exec_lo, s0
	ds_bpermute_b32 v10, v1, v6
	s_waitcnt lgkmcnt(0)
	s_barrier
	buffer_gl0_inv
	v_add_f32_e32 v6, v6, v10
	ds_bpermute_b32 v10, v3, v6
	s_waitcnt lgkmcnt(0)
	v_add_f32_e32 v6, v6, v10
	ds_bpermute_b32 v10, v4, v6
	s_waitcnt lgkmcnt(0)
	;; [unrolled: 3-line block ×4, first 2 shown]
	v_add_f32_e32 v6, v6, v10
	ds_write_b32 v9, v6
	s_waitcnt lgkmcnt(0)
	s_barrier
	buffer_gl0_inv
	s_and_saveexec_b32 s0, vcc_lo
	s_cbranch_execz .LBB38_16
; %bb.15:
	ds_read_b32 v5, v5
	s_waitcnt lgkmcnt(0)
	ds_bpermute_b32 v1, v1, v5
	s_waitcnt lgkmcnt(0)
	v_add_f32_e32 v1, v5, v1
	ds_bpermute_b32 v3, v3, v1
	s_waitcnt lgkmcnt(0)
	v_add_f32_e32 v1, v1, v3
	;; [unrolled: 3-line block ×5, first 2 shown]
.LBB38_16:
	s_or_b32 exec_lo, exec_lo, s0
	s_barrier
	buffer_gl0_inv
	s_mov_b32 s0, exec_lo
	v_cmpx_gt_u32_e32 2, v0
	s_cbranch_execz .LBB38_18
; %bb.17:
	s_load_dwordx2 s[0:1], s[4:5], 0x38
	v_mad_u64_u32 v[3:4], null, s18, v0, s[6:7]
	s_mul_hi_i32 s3, s22, s10
	s_mul_i32 s2, s22, s10
	s_mul_i32 s4, s26, s7
	s_lshl_b64 s[2:3], s[2:3], 2
	s_ashr_i32 s5, s4, 31
	v_cmp_eq_u32_e32 vcc_lo, 1, v0
	v_ashrrev_i32_e32 v4, 31, v3
	v_cndmask_b32_e32 v2, v2, v6, vcc_lo
	v_lshlrev_b64 v[3:4], 2, v[3:4]
	s_waitcnt lgkmcnt(0)
	s_add_u32 s2, s0, s2
	s_addc_u32 s3, s1, s3
	s_lshl_b64 s[0:1], s[4:5], 2
	s_add_u32 s0, s2, s0
	s_addc_u32 s1, s3, s1
	v_add_co_u32 v0, vcc_lo, s0, v3
	v_add_co_ci_u32_e64 v1, null, s1, v4, vcc_lo
	global_store_dword v[0:1], v2, off
.LBB38_18:
	s_endpgm
	.section	.rodata,"a",@progbits
	.p2align	6, 0x0
	.amdhsa_kernel _ZL13mul_mat_vec_fIffLi2ELi224ELb0ELb0EEvPKT_PKfPKi31ggml_cuda_mm_fusion_args_devicePfi15HIP_vector_typeIjLj3EEiiiSA_iiiSA_iiii
		.amdhsa_group_segment_fixed_size 0
		.amdhsa_private_segment_fixed_size 0
		.amdhsa_kernarg_size 144
		.amdhsa_user_sgpr_count 6
		.amdhsa_user_sgpr_private_segment_buffer 1
		.amdhsa_user_sgpr_dispatch_ptr 0
		.amdhsa_user_sgpr_queue_ptr 0
		.amdhsa_user_sgpr_kernarg_segment_ptr 1
		.amdhsa_user_sgpr_dispatch_id 0
		.amdhsa_user_sgpr_flat_scratch_init 0
		.amdhsa_user_sgpr_private_segment_size 0
		.amdhsa_wavefront_size32 1
		.amdhsa_uses_dynamic_stack 0
		.amdhsa_system_sgpr_private_segment_wavefront_offset 0
		.amdhsa_system_sgpr_workgroup_id_x 1
		.amdhsa_system_sgpr_workgroup_id_y 1
		.amdhsa_system_sgpr_workgroup_id_z 1
		.amdhsa_system_sgpr_workgroup_info 0
		.amdhsa_system_vgpr_workitem_id 0
		.amdhsa_next_free_vgpr 15
		.amdhsa_next_free_sgpr 30
		.amdhsa_reserve_vcc 1
		.amdhsa_reserve_flat_scratch 0
		.amdhsa_float_round_mode_32 0
		.amdhsa_float_round_mode_16_64 0
		.amdhsa_float_denorm_mode_32 3
		.amdhsa_float_denorm_mode_16_64 3
		.amdhsa_dx10_clamp 1
		.amdhsa_ieee_mode 1
		.amdhsa_fp16_overflow 0
		.amdhsa_workgroup_processor_mode 1
		.amdhsa_memory_ordered 1
		.amdhsa_forward_progress 1
		.amdhsa_shared_vgpr_count 0
		.amdhsa_exception_fp_ieee_invalid_op 0
		.amdhsa_exception_fp_denorm_src 0
		.amdhsa_exception_fp_ieee_div_zero 0
		.amdhsa_exception_fp_ieee_overflow 0
		.amdhsa_exception_fp_ieee_underflow 0
		.amdhsa_exception_fp_ieee_inexact 0
		.amdhsa_exception_int_div_zero 0
	.end_amdhsa_kernel
	.section	.text._ZL13mul_mat_vec_fIffLi2ELi224ELb0ELb0EEvPKT_PKfPKi31ggml_cuda_mm_fusion_args_devicePfi15HIP_vector_typeIjLj3EEiiiSA_iiiSA_iiii,"axG",@progbits,_ZL13mul_mat_vec_fIffLi2ELi224ELb0ELb0EEvPKT_PKfPKi31ggml_cuda_mm_fusion_args_devicePfi15HIP_vector_typeIjLj3EEiiiSA_iiiSA_iiii,comdat
.Lfunc_end38:
	.size	_ZL13mul_mat_vec_fIffLi2ELi224ELb0ELb0EEvPKT_PKfPKi31ggml_cuda_mm_fusion_args_devicePfi15HIP_vector_typeIjLj3EEiiiSA_iiiSA_iiii, .Lfunc_end38-_ZL13mul_mat_vec_fIffLi2ELi224ELb0ELb0EEvPKT_PKfPKi31ggml_cuda_mm_fusion_args_devicePfi15HIP_vector_typeIjLj3EEiiiSA_iiiSA_iiii
                                        ; -- End function
	.set _ZL13mul_mat_vec_fIffLi2ELi224ELb0ELb0EEvPKT_PKfPKi31ggml_cuda_mm_fusion_args_devicePfi15HIP_vector_typeIjLj3EEiiiSA_iiiSA_iiii.num_vgpr, 15
	.set _ZL13mul_mat_vec_fIffLi2ELi224ELb0ELb0EEvPKT_PKfPKi31ggml_cuda_mm_fusion_args_devicePfi15HIP_vector_typeIjLj3EEiiiSA_iiiSA_iiii.num_agpr, 0
	.set _ZL13mul_mat_vec_fIffLi2ELi224ELb0ELb0EEvPKT_PKfPKi31ggml_cuda_mm_fusion_args_devicePfi15HIP_vector_typeIjLj3EEiiiSA_iiiSA_iiii.numbered_sgpr, 30
	.set _ZL13mul_mat_vec_fIffLi2ELi224ELb0ELb0EEvPKT_PKfPKi31ggml_cuda_mm_fusion_args_devicePfi15HIP_vector_typeIjLj3EEiiiSA_iiiSA_iiii.num_named_barrier, 0
	.set _ZL13mul_mat_vec_fIffLi2ELi224ELb0ELb0EEvPKT_PKfPKi31ggml_cuda_mm_fusion_args_devicePfi15HIP_vector_typeIjLj3EEiiiSA_iiiSA_iiii.private_seg_size, 0
	.set _ZL13mul_mat_vec_fIffLi2ELi224ELb0ELb0EEvPKT_PKfPKi31ggml_cuda_mm_fusion_args_devicePfi15HIP_vector_typeIjLj3EEiiiSA_iiiSA_iiii.uses_vcc, 1
	.set _ZL13mul_mat_vec_fIffLi2ELi224ELb0ELb0EEvPKT_PKfPKi31ggml_cuda_mm_fusion_args_devicePfi15HIP_vector_typeIjLj3EEiiiSA_iiiSA_iiii.uses_flat_scratch, 0
	.set _ZL13mul_mat_vec_fIffLi2ELi224ELb0ELb0EEvPKT_PKfPKi31ggml_cuda_mm_fusion_args_devicePfi15HIP_vector_typeIjLj3EEiiiSA_iiiSA_iiii.has_dyn_sized_stack, 0
	.set _ZL13mul_mat_vec_fIffLi2ELi224ELb0ELb0EEvPKT_PKfPKi31ggml_cuda_mm_fusion_args_devicePfi15HIP_vector_typeIjLj3EEiiiSA_iiiSA_iiii.has_recursion, 0
	.set _ZL13mul_mat_vec_fIffLi2ELi224ELb0ELb0EEvPKT_PKfPKi31ggml_cuda_mm_fusion_args_devicePfi15HIP_vector_typeIjLj3EEiiiSA_iiiSA_iiii.has_indirect_call, 0
	.section	.AMDGPU.csdata,"",@progbits
; Kernel info:
; codeLenInByte = 1360
; TotalNumSgprs: 32
; NumVgprs: 15
; ScratchSize: 0
; MemoryBound: 0
; FloatMode: 240
; IeeeMode: 1
; LDSByteSize: 0 bytes/workgroup (compile time only)
; SGPRBlocks: 0
; VGPRBlocks: 1
; NumSGPRsForWavesPerEU: 32
; NumVGPRsForWavesPerEU: 15
; Occupancy: 16
; WaveLimiterHint : 0
; COMPUTE_PGM_RSRC2:SCRATCH_EN: 0
; COMPUTE_PGM_RSRC2:USER_SGPR: 6
; COMPUTE_PGM_RSRC2:TRAP_HANDLER: 0
; COMPUTE_PGM_RSRC2:TGID_X_EN: 1
; COMPUTE_PGM_RSRC2:TGID_Y_EN: 1
; COMPUTE_PGM_RSRC2:TGID_Z_EN: 1
; COMPUTE_PGM_RSRC2:TIDIG_COMP_CNT: 0
	.section	.text._ZL13mul_mat_vec_fIffLi2ELi256ELb0ELb0EEvPKT_PKfPKi31ggml_cuda_mm_fusion_args_devicePfi15HIP_vector_typeIjLj3EEiiiSA_iiiSA_iiii,"axG",@progbits,_ZL13mul_mat_vec_fIffLi2ELi256ELb0ELb0EEvPKT_PKfPKi31ggml_cuda_mm_fusion_args_devicePfi15HIP_vector_typeIjLj3EEiiiSA_iiiSA_iiii,comdat
	.globl	_ZL13mul_mat_vec_fIffLi2ELi256ELb0ELb0EEvPKT_PKfPKi31ggml_cuda_mm_fusion_args_devicePfi15HIP_vector_typeIjLj3EEiiiSA_iiiSA_iiii ; -- Begin function _ZL13mul_mat_vec_fIffLi2ELi256ELb0ELb0EEvPKT_PKfPKi31ggml_cuda_mm_fusion_args_devicePfi15HIP_vector_typeIjLj3EEiiiSA_iiiSA_iiii
	.p2align	8
	.type	_ZL13mul_mat_vec_fIffLi2ELi256ELb0ELb0EEvPKT_PKfPKi31ggml_cuda_mm_fusion_args_devicePfi15HIP_vector_typeIjLj3EEiiiSA_iiiSA_iiii,@function
_ZL13mul_mat_vec_fIffLi2ELi256ELb0ELb0EEvPKT_PKfPKi31ggml_cuda_mm_fusion_args_devicePfi15HIP_vector_typeIjLj3EEiiiSA_iiiSA_iiii: ; @_ZL13mul_mat_vec_fIffLi2ELi256ELb0ELb0EEvPKT_PKfPKi31ggml_cuda_mm_fusion_args_devicePfi15HIP_vector_typeIjLj3EEiiiSA_iiiSA_iiii
; %bb.0:
	s_clause 0x2
	s_load_dwordx2 s[0:1], s[4:5], 0x10
	s_load_dwordx8 s[12:19], s[4:5], 0x40
	s_load_dwordx4 s[20:23], s[4:5], 0x80
	s_waitcnt lgkmcnt(0)
	s_cmp_eq_u64 s[0:1], 0
	s_cselect_b32 s10, -1, 0
	s_cmp_lg_u64 s[0:1], 0
	s_cselect_b32 s11, -1, 0
	s_and_b32 vcc_lo, exec_lo, s10
	s_cbranch_vccnz .LBB39_2
; %bb.1:
	s_mul_i32 s2, s23, s8
	s_mov_b32 s3, 0
	s_add_i32 s2, s2, s7
	s_lshl_b64 s[24:25], s[2:3], 2
	s_add_u32 s0, s0, s24
	s_addc_u32 s1, s1, s25
	s_load_dword s9, s[0:1], 0x0
	s_cbranch_execz .LBB39_3
	s_branch .LBB39_4
.LBB39_2:
                                        ; implicit-def: $sgpr9
.LBB39_3:
	s_load_dwordx2 s[0:1], s[4:5], 0x5c
	s_waitcnt lgkmcnt(0)
	s_mul_hi_u32 s0, s0, s7
	s_add_i32 s0, s7, s0
	s_lshr_b32 s9, s0, s1
.LBB39_4:
	s_load_dwordx4 s[24:27], s[4:5], 0x68
	s_andn2_b32 vcc_lo, exec_lo, s11
	s_mov_b32 s19, s7
	s_cbranch_vccnz .LBB39_6
; %bb.5:
	s_mul_hi_u32 s0, s13, s7
	s_add_i32 s0, s7, s0
	s_lshr_b32 s0, s0, s14
	s_mul_i32 s0, s0, s15
	s_sub_i32 s19, s7, s0
.LBB39_6:
	s_load_dword s14, s[4:5], 0x78
	v_cmp_gt_u32_e32 vcc_lo, 32, v0
	v_lshl_add_u32 v5, v0, 2, 0
	s_and_saveexec_b32 s0, vcc_lo
; %bb.7:
	v_mov_b32_e32 v1, 0
	ds_write_b32 v5, v1
; %bb.8:
	s_or_b32 exec_lo, exec_lo, s0
	v_mov_b32_e32 v6, 0
	v_mov_b32_e32 v7, 0
	s_and_b32 s0, exec_lo, s10
	s_mov_b32 s11, 0
	s_cselect_b32 s10, s8, 0
	s_mov_b32 s13, exec_lo
	s_waitcnt lgkmcnt(0)
	s_barrier
	buffer_gl0_inv
	v_cmpx_gt_i32_e64 s12, v0
	s_cbranch_execz .LBB39_12
; %bb.9:
	s_load_dwordx4 s[0:3], s[4:5], 0x0
	s_mul_hi_u32 s15, s27, s10
	s_mul_i32 s16, s16, s6
	s_add_i32 s15, s10, s15
	s_mul_i32 s8, s9, s24
	s_mul_i32 s24, s19, s25
	s_ashr_i32 s29, s17, 31
	s_mov_b32 s28, s17
	s_ashr_i32 s17, s16, 31
	s_lshr_b32 s19, s15, s14
	s_ashr_i32 s9, s8, 31
	s_lshl_b64 s[14:15], s[16:17], 2
	s_mul_hi_i32 s17, s19, s20
	s_mul_i32 s16, s19, s20
	s_lshl_b64 s[8:9], s[8:9], 2
	s_ashr_i32 s25, s24, 31
	s_lshl_b64 s[16:17], s[16:17], 2
	v_lshlrev_b32_e32 v1, 3, v0
	v_mov_b32_e32 v7, 0
	v_mov_b32_e32 v8, v0
	s_waitcnt lgkmcnt(0)
	s_add_u32 s0, s0, s8
	s_addc_u32 s1, s1, s9
	s_add_u32 s0, s0, s14
	s_addc_u32 s1, s1, s15
	;; [unrolled: 2-line block ×3, first 2 shown]
	v_add_co_u32 v2, s0, s0, v1
	v_add_co_ci_u32_e64 v3, null, s1, 0, s0
	s_mul_hi_i32 s1, s10, s21
	s_mul_i32 s0, s10, s21
	s_lshl_b64 s[14:15], s[24:25], 2
	s_lshl_b64 s[8:9], s[28:29], 3
	;; [unrolled: 1-line block ×3, first 2 shown]
	s_add_u32 s2, s2, s14
	s_addc_u32 s3, s3, s15
	s_add_u32 s0, s2, s0
	s_addc_u32 s1, s3, s1
	v_add_co_u32 v4, s0, s0, v1
	v_add_co_ci_u32_e64 v6, null, s1, 0, s0
	v_add_co_u32 v1, s0, v2, 4
	v_add_co_ci_u32_e64 v2, null, 0, v3, s0
	;; [unrolled: 2-line block ×3, first 2 shown]
	v_mov_b32_e32 v6, 0
	.p2align	6
.LBB39_10:                              ; =>This Inner Loop Header: Depth=1
	v_add_co_u32 v9, s0, v3, s8
	v_add_co_ci_u32_e64 v10, null, s9, v4, s0
	v_add_nc_u32_e32 v8, 0x100, v8
	global_load_dwordx2 v[11:12], v[1:2], off offset:-4
	s_clause 0x1
	global_load_dwordx2 v[13:14], v[3:4], off offset:-4
	global_load_dwordx2 v[9:10], v[9:10], off offset:-4
	v_add_co_u32 v1, s0, 0x800, v1
	v_add_co_ci_u32_e64 v2, null, 0, v2, s0
	v_cmp_le_i32_e64 s0, s12, v8
	v_add_co_u32 v3, s1, 0x800, v3
	v_add_co_ci_u32_e64 v4, null, 0, v4, s1
	s_or_b32 s11, s0, s11
	s_waitcnt vmcnt(1)
	v_fmac_f32_e32 v7, v11, v13
	s_waitcnt vmcnt(0)
	v_fmac_f32_e32 v6, v11, v9
	v_fmac_f32_e32 v7, v12, v14
	;; [unrolled: 1-line block ×3, first 2 shown]
	s_andn2_b32 exec_lo, exec_lo, s11
	s_cbranch_execnz .LBB39_10
; %bb.11:
	s_or_b32 exec_lo, exec_lo, s11
.LBB39_12:
	s_or_b32 exec_lo, exec_lo, s13
	v_mbcnt_lo_u32_b32 v2, -1, 0
	v_xor_b32_e32 v1, 16, v2
	v_xor_b32_e32 v3, 8, v2
	v_cmp_gt_i32_e64 s0, 32, v1
	v_cndmask_b32_e64 v1, v2, v1, s0
	v_cmp_gt_i32_e64 s0, 32, v3
	v_lshlrev_b32_e32 v1, 2, v1
	v_cndmask_b32_e64 v3, v2, v3, s0
	ds_bpermute_b32 v4, v1, v7
	v_lshlrev_b32_e32 v3, 2, v3
	s_waitcnt lgkmcnt(0)
	v_add_f32_e32 v7, v7, v4
	v_xor_b32_e32 v4, 4, v2
	ds_bpermute_b32 v8, v3, v7
	v_cmp_gt_i32_e64 s0, 32, v4
	v_cndmask_b32_e64 v4, v2, v4, s0
	v_lshlrev_b32_e32 v4, 2, v4
	s_waitcnt lgkmcnt(0)
	v_add_f32_e32 v8, v7, v8
	v_xor_b32_e32 v7, 2, v2
	ds_bpermute_b32 v9, v4, v8
	v_cmp_gt_i32_e64 s0, 32, v7
	v_cndmask_b32_e64 v7, v2, v7, s0
	;; [unrolled: 7-line block ×3, first 2 shown]
	v_lshlrev_b32_e32 v8, 2, v2
	s_waitcnt lgkmcnt(0)
	v_add_f32_e32 v2, v9, v10
	v_lshrrev_b32_e32 v9, 3, v0
	ds_bpermute_b32 v10, v8, v2
	v_and_b32_e32 v9, 0x7c, v9
	v_add_nc_u32_e32 v9, 0, v9
	s_waitcnt lgkmcnt(0)
	v_add_f32_e32 v2, v2, v10
	ds_write_b32 v9, v2
	s_waitcnt lgkmcnt(0)
	s_barrier
	buffer_gl0_inv
	s_and_saveexec_b32 s0, vcc_lo
	s_cbranch_execz .LBB39_14
; %bb.13:
	ds_read_b32 v2, v5
	s_waitcnt lgkmcnt(0)
	ds_bpermute_b32 v10, v1, v2
	s_waitcnt lgkmcnt(0)
	v_add_f32_e32 v2, v2, v10
	ds_bpermute_b32 v10, v3, v2
	s_waitcnt lgkmcnt(0)
	v_add_f32_e32 v2, v2, v10
	;; [unrolled: 3-line block ×5, first 2 shown]
.LBB39_14:
	s_or_b32 exec_lo, exec_lo, s0
	ds_bpermute_b32 v10, v1, v6
	s_waitcnt lgkmcnt(0)
	s_barrier
	buffer_gl0_inv
	v_add_f32_e32 v6, v6, v10
	ds_bpermute_b32 v10, v3, v6
	s_waitcnt lgkmcnt(0)
	v_add_f32_e32 v6, v6, v10
	ds_bpermute_b32 v10, v4, v6
	s_waitcnt lgkmcnt(0)
	;; [unrolled: 3-line block ×4, first 2 shown]
	v_add_f32_e32 v6, v6, v10
	ds_write_b32 v9, v6
	s_waitcnt lgkmcnt(0)
	s_barrier
	buffer_gl0_inv
	s_and_saveexec_b32 s0, vcc_lo
	s_cbranch_execz .LBB39_16
; %bb.15:
	ds_read_b32 v5, v5
	s_waitcnt lgkmcnt(0)
	ds_bpermute_b32 v1, v1, v5
	s_waitcnt lgkmcnt(0)
	v_add_f32_e32 v1, v5, v1
	ds_bpermute_b32 v3, v3, v1
	s_waitcnt lgkmcnt(0)
	v_add_f32_e32 v1, v1, v3
	;; [unrolled: 3-line block ×5, first 2 shown]
.LBB39_16:
	s_or_b32 exec_lo, exec_lo, s0
	s_barrier
	buffer_gl0_inv
	s_mov_b32 s0, exec_lo
	v_cmpx_gt_u32_e32 2, v0
	s_cbranch_execz .LBB39_18
; %bb.17:
	s_load_dwordx2 s[0:1], s[4:5], 0x38
	v_mad_u64_u32 v[3:4], null, s18, v0, s[6:7]
	s_mul_hi_i32 s3, s22, s10
	s_mul_i32 s2, s22, s10
	s_mul_i32 s4, s26, s7
	s_lshl_b64 s[2:3], s[2:3], 2
	s_ashr_i32 s5, s4, 31
	v_cmp_eq_u32_e32 vcc_lo, 1, v0
	v_ashrrev_i32_e32 v4, 31, v3
	v_cndmask_b32_e32 v2, v2, v6, vcc_lo
	v_lshlrev_b64 v[3:4], 2, v[3:4]
	s_waitcnt lgkmcnt(0)
	s_add_u32 s2, s0, s2
	s_addc_u32 s3, s1, s3
	s_lshl_b64 s[0:1], s[4:5], 2
	s_add_u32 s0, s2, s0
	s_addc_u32 s1, s3, s1
	v_add_co_u32 v0, vcc_lo, s0, v3
	v_add_co_ci_u32_e64 v1, null, s1, v4, vcc_lo
	global_store_dword v[0:1], v2, off
.LBB39_18:
	s_endpgm
	.section	.rodata,"a",@progbits
	.p2align	6, 0x0
	.amdhsa_kernel _ZL13mul_mat_vec_fIffLi2ELi256ELb0ELb0EEvPKT_PKfPKi31ggml_cuda_mm_fusion_args_devicePfi15HIP_vector_typeIjLj3EEiiiSA_iiiSA_iiii
		.amdhsa_group_segment_fixed_size 0
		.amdhsa_private_segment_fixed_size 0
		.amdhsa_kernarg_size 144
		.amdhsa_user_sgpr_count 6
		.amdhsa_user_sgpr_private_segment_buffer 1
		.amdhsa_user_sgpr_dispatch_ptr 0
		.amdhsa_user_sgpr_queue_ptr 0
		.amdhsa_user_sgpr_kernarg_segment_ptr 1
		.amdhsa_user_sgpr_dispatch_id 0
		.amdhsa_user_sgpr_flat_scratch_init 0
		.amdhsa_user_sgpr_private_segment_size 0
		.amdhsa_wavefront_size32 1
		.amdhsa_uses_dynamic_stack 0
		.amdhsa_system_sgpr_private_segment_wavefront_offset 0
		.amdhsa_system_sgpr_workgroup_id_x 1
		.amdhsa_system_sgpr_workgroup_id_y 1
		.amdhsa_system_sgpr_workgroup_id_z 1
		.amdhsa_system_sgpr_workgroup_info 0
		.amdhsa_system_vgpr_workitem_id 0
		.amdhsa_next_free_vgpr 15
		.amdhsa_next_free_sgpr 30
		.amdhsa_reserve_vcc 1
		.amdhsa_reserve_flat_scratch 0
		.amdhsa_float_round_mode_32 0
		.amdhsa_float_round_mode_16_64 0
		.amdhsa_float_denorm_mode_32 3
		.amdhsa_float_denorm_mode_16_64 3
		.amdhsa_dx10_clamp 1
		.amdhsa_ieee_mode 1
		.amdhsa_fp16_overflow 0
		.amdhsa_workgroup_processor_mode 1
		.amdhsa_memory_ordered 1
		.amdhsa_forward_progress 1
		.amdhsa_shared_vgpr_count 0
		.amdhsa_exception_fp_ieee_invalid_op 0
		.amdhsa_exception_fp_denorm_src 0
		.amdhsa_exception_fp_ieee_div_zero 0
		.amdhsa_exception_fp_ieee_overflow 0
		.amdhsa_exception_fp_ieee_underflow 0
		.amdhsa_exception_fp_ieee_inexact 0
		.amdhsa_exception_int_div_zero 0
	.end_amdhsa_kernel
	.section	.text._ZL13mul_mat_vec_fIffLi2ELi256ELb0ELb0EEvPKT_PKfPKi31ggml_cuda_mm_fusion_args_devicePfi15HIP_vector_typeIjLj3EEiiiSA_iiiSA_iiii,"axG",@progbits,_ZL13mul_mat_vec_fIffLi2ELi256ELb0ELb0EEvPKT_PKfPKi31ggml_cuda_mm_fusion_args_devicePfi15HIP_vector_typeIjLj3EEiiiSA_iiiSA_iiii,comdat
.Lfunc_end39:
	.size	_ZL13mul_mat_vec_fIffLi2ELi256ELb0ELb0EEvPKT_PKfPKi31ggml_cuda_mm_fusion_args_devicePfi15HIP_vector_typeIjLj3EEiiiSA_iiiSA_iiii, .Lfunc_end39-_ZL13mul_mat_vec_fIffLi2ELi256ELb0ELb0EEvPKT_PKfPKi31ggml_cuda_mm_fusion_args_devicePfi15HIP_vector_typeIjLj3EEiiiSA_iiiSA_iiii
                                        ; -- End function
	.set _ZL13mul_mat_vec_fIffLi2ELi256ELb0ELb0EEvPKT_PKfPKi31ggml_cuda_mm_fusion_args_devicePfi15HIP_vector_typeIjLj3EEiiiSA_iiiSA_iiii.num_vgpr, 15
	.set _ZL13mul_mat_vec_fIffLi2ELi256ELb0ELb0EEvPKT_PKfPKi31ggml_cuda_mm_fusion_args_devicePfi15HIP_vector_typeIjLj3EEiiiSA_iiiSA_iiii.num_agpr, 0
	.set _ZL13mul_mat_vec_fIffLi2ELi256ELb0ELb0EEvPKT_PKfPKi31ggml_cuda_mm_fusion_args_devicePfi15HIP_vector_typeIjLj3EEiiiSA_iiiSA_iiii.numbered_sgpr, 30
	.set _ZL13mul_mat_vec_fIffLi2ELi256ELb0ELb0EEvPKT_PKfPKi31ggml_cuda_mm_fusion_args_devicePfi15HIP_vector_typeIjLj3EEiiiSA_iiiSA_iiii.num_named_barrier, 0
	.set _ZL13mul_mat_vec_fIffLi2ELi256ELb0ELb0EEvPKT_PKfPKi31ggml_cuda_mm_fusion_args_devicePfi15HIP_vector_typeIjLj3EEiiiSA_iiiSA_iiii.private_seg_size, 0
	.set _ZL13mul_mat_vec_fIffLi2ELi256ELb0ELb0EEvPKT_PKfPKi31ggml_cuda_mm_fusion_args_devicePfi15HIP_vector_typeIjLj3EEiiiSA_iiiSA_iiii.uses_vcc, 1
	.set _ZL13mul_mat_vec_fIffLi2ELi256ELb0ELb0EEvPKT_PKfPKi31ggml_cuda_mm_fusion_args_devicePfi15HIP_vector_typeIjLj3EEiiiSA_iiiSA_iiii.uses_flat_scratch, 0
	.set _ZL13mul_mat_vec_fIffLi2ELi256ELb0ELb0EEvPKT_PKfPKi31ggml_cuda_mm_fusion_args_devicePfi15HIP_vector_typeIjLj3EEiiiSA_iiiSA_iiii.has_dyn_sized_stack, 0
	.set _ZL13mul_mat_vec_fIffLi2ELi256ELb0ELb0EEvPKT_PKfPKi31ggml_cuda_mm_fusion_args_devicePfi15HIP_vector_typeIjLj3EEiiiSA_iiiSA_iiii.has_recursion, 0
	.set _ZL13mul_mat_vec_fIffLi2ELi256ELb0ELb0EEvPKT_PKfPKi31ggml_cuda_mm_fusion_args_devicePfi15HIP_vector_typeIjLj3EEiiiSA_iiiSA_iiii.has_indirect_call, 0
	.section	.AMDGPU.csdata,"",@progbits
; Kernel info:
; codeLenInByte = 1360
; TotalNumSgprs: 32
; NumVgprs: 15
; ScratchSize: 0
; MemoryBound: 0
; FloatMode: 240
; IeeeMode: 1
; LDSByteSize: 0 bytes/workgroup (compile time only)
; SGPRBlocks: 0
; VGPRBlocks: 1
; NumSGPRsForWavesPerEU: 32
; NumVGPRsForWavesPerEU: 15
; Occupancy: 16
; WaveLimiterHint : 0
; COMPUTE_PGM_RSRC2:SCRATCH_EN: 0
; COMPUTE_PGM_RSRC2:USER_SGPR: 6
; COMPUTE_PGM_RSRC2:TRAP_HANDLER: 0
; COMPUTE_PGM_RSRC2:TGID_X_EN: 1
; COMPUTE_PGM_RSRC2:TGID_Y_EN: 1
; COMPUTE_PGM_RSRC2:TGID_Z_EN: 1
; COMPUTE_PGM_RSRC2:TIDIG_COMP_CNT: 0
	.section	.text._ZL13mul_mat_vec_fIffLi3ELi32ELb0ELb0EEvPKT_PKfPKi31ggml_cuda_mm_fusion_args_devicePfi15HIP_vector_typeIjLj3EEiiiSA_iiiSA_iiii,"axG",@progbits,_ZL13mul_mat_vec_fIffLi3ELi32ELb0ELb0EEvPKT_PKfPKi31ggml_cuda_mm_fusion_args_devicePfi15HIP_vector_typeIjLj3EEiiiSA_iiiSA_iiii,comdat
	.globl	_ZL13mul_mat_vec_fIffLi3ELi32ELb0ELb0EEvPKT_PKfPKi31ggml_cuda_mm_fusion_args_devicePfi15HIP_vector_typeIjLj3EEiiiSA_iiiSA_iiii ; -- Begin function _ZL13mul_mat_vec_fIffLi3ELi32ELb0ELb0EEvPKT_PKfPKi31ggml_cuda_mm_fusion_args_devicePfi15HIP_vector_typeIjLj3EEiiiSA_iiiSA_iiii
	.p2align	8
	.type	_ZL13mul_mat_vec_fIffLi3ELi32ELb0ELb0EEvPKT_PKfPKi31ggml_cuda_mm_fusion_args_devicePfi15HIP_vector_typeIjLj3EEiiiSA_iiiSA_iiii,@function
_ZL13mul_mat_vec_fIffLi3ELi32ELb0ELb0EEvPKT_PKfPKi31ggml_cuda_mm_fusion_args_devicePfi15HIP_vector_typeIjLj3EEiiiSA_iiiSA_iiii: ; @_ZL13mul_mat_vec_fIffLi3ELi32ELb0ELb0EEvPKT_PKfPKi31ggml_cuda_mm_fusion_args_devicePfi15HIP_vector_typeIjLj3EEiiiSA_iiiSA_iiii
; %bb.0:
	s_clause 0x2
	s_load_dwordx2 s[20:21], s[4:5], 0x10
	s_load_dwordx8 s[12:19], s[4:5], 0x40
	s_load_dwordx4 s[0:3], s[4:5], 0x80
	s_waitcnt lgkmcnt(0)
	s_cmp_eq_u64 s[20:21], 0
	s_cselect_b32 s9, -1, 0
	s_cmp_lg_u64 s[20:21], 0
	s_cselect_b32 s25, -1, 0
	s_and_b32 vcc_lo, exec_lo, s9
	s_cbranch_vccnz .LBB40_2
; %bb.1:
	s_mul_i32 s3, s3, s8
	s_mov_b32 s11, 0
	s_add_i32 s10, s3, s7
	s_lshl_b64 s[22:23], s[10:11], 2
	s_add_u32 s20, s20, s22
	s_addc_u32 s21, s21, s23
	s_load_dword s24, s[20:21], 0x0
	s_load_dwordx4 s[20:23], s[4:5], 0x68
	s_cbranch_execz .LBB40_3
	s_branch .LBB40_4
.LBB40_2:
                                        ; implicit-def: $sgpr24
	s_load_dwordx4 s[20:23], s[4:5], 0x68
.LBB40_3:
	s_load_dwordx2 s[10:11], s[4:5], 0x5c
	s_waitcnt lgkmcnt(0)
	s_mul_hi_u32 s3, s10, s7
	s_add_i32 s3, s7, s3
	s_lshr_b32 s24, s3, s11
.LBB40_4:
	s_load_dword s19, s[4:5], 0x78
	s_andn2_b32 vcc_lo, exec_lo, s25
	s_mov_b32 s25, s7
	s_cbranch_vccnz .LBB40_6
; %bb.5:
	s_mul_hi_u32 s3, s13, s7
	s_add_i32 s3, s7, s3
	s_lshr_b32 s3, s3, s14
	s_mul_i32 s3, s3, s15
	s_sub_i32 s25, s7, s3
.LBB40_6:
	v_mov_b32_e32 v6, 0
	v_mov_b32_e32 v7, 0
	;; [unrolled: 1-line block ×3, first 2 shown]
	s_and_b32 s3, exec_lo, s9
	s_mov_b32 s14, 0
	s_cselect_b32 s3, s8, 0
	s_mov_b32 s13, exec_lo
	v_cmpx_gt_i32_e64 s12, v0
	s_cbranch_execz .LBB40_10
; %bb.7:
	s_load_dwordx4 s[8:11], s[4:5], 0x0
	s_waitcnt lgkmcnt(0)
	s_mul_hi_u32 s15, s23, s3
	s_mul_hi_i32 s27, s1, s3
	s_mul_i32 s26, s1, s3
	s_mul_i32 s20, s24, s20
	;; [unrolled: 1-line block ×4, first 2 shown]
	s_add_i32 s1, s3, s15
	s_lshl_b64 s[26:27], s[26:27], 2
	s_ashr_i32 s21, s20, 31
	s_ashr_i32 s25, s24, 31
	;; [unrolled: 1-line block ×3, first 2 shown]
	s_lshr_b32 s15, s1, s19
	s_mov_b32 s30, s17
	s_mul_hi_i32 s1, s15, s0
	s_mul_i32 s0, s15, s0
	v_lshlrev_b32_e32 v1, 3, v0
	v_mov_b32_e32 v5, 0
	v_mov_b32_e32 v8, v0
	;; [unrolled: 1-line block ×3, first 2 shown]
	s_add_u32 s16, s10, s26
	s_addc_u32 s19, s11, s27
	s_lshl_b64 s[28:29], s[28:29], 2
	s_add_u32 s15, s16, s28
	s_addc_u32 s16, s19, s29
	s_lshl_b64 s[20:21], s[20:21], 2
	s_ashr_i32 s31, s17, 31
	s_add_i32 s17, s17, s17
	s_lshl_b64 s[0:1], s[0:1], 2
	s_lshl_b64 s[24:25], s[24:25], 2
	s_add_u32 s8, s8, s20
	s_addc_u32 s9, s9, s21
	s_add_u32 s8, s8, s24
	s_addc_u32 s9, s9, s25
	;; [unrolled: 2-line block ×3, first 2 shown]
	v_add_co_u32 v2, s0, s0, v1
	v_add_co_ci_u32_e64 v3, null, s1, 0, s0
	s_lshl_b64 s[0:1], s[30:31], 3
	s_add_u32 s8, s10, s28
	s_addc_u32 s9, s11, s29
	s_add_u32 s8, s8, s26
	s_addc_u32 s9, s9, s27
	v_add_co_u32 v4, s8, s8, v1
	v_add_co_ci_u32_e64 v6, null, s9, 0, s8
	v_add_co_u32 v1, vcc_lo, v2, 4
	v_add_co_ci_u32_e64 v2, null, 0, v3, vcc_lo
	v_add_co_u32 v3, vcc_lo, v4, 4
	v_add_co_ci_u32_e64 v4, null, 0, v6, vcc_lo
	v_mov_b32_e32 v6, 0
	s_inst_prefetch 0x1
	.p2align	6
.LBB40_8:                               ; =>This Inner Loop Header: Depth=1
	v_add_nc_u32_e32 v9, s17, v8
	v_add_co_u32 v11, vcc_lo, v3, s0
	v_add_co_ci_u32_e64 v12, null, s1, v4, vcc_lo
	v_ashrrev_i32_e32 v10, 31, v9
	v_add_nc_u32_e32 v8, 32, v8
	v_lshlrev_b64 v[9:10], 3, v[9:10]
	v_add_co_u32 v9, vcc_lo, s15, v9
	v_add_co_ci_u32_e64 v10, null, s16, v10, vcc_lo
	global_load_dwordx2 v[13:14], v[1:2], off offset:-4
	s_clause 0x1
	global_load_dwordx2 v[15:16], v[3:4], off offset:-4
	global_load_dwordx2 v[11:12], v[11:12], off offset:-4
	global_load_dwordx2 v[9:10], v[9:10], off
	v_add_co_u32 v1, vcc_lo, 0x100, v1
	v_add_co_ci_u32_e64 v2, null, 0, v2, vcc_lo
	v_add_co_u32 v3, vcc_lo, 0x100, v3
	v_add_co_ci_u32_e64 v4, null, 0, v4, vcc_lo
	v_cmp_le_i32_e32 vcc_lo, s12, v8
	s_or_b32 s14, vcc_lo, s14
	s_waitcnt vmcnt(2)
	v_fmac_f32_e32 v5, v13, v15
	s_waitcnt vmcnt(1)
	v_fmac_f32_e32 v7, v13, v11
	;; [unrolled: 2-line block ×3, first 2 shown]
	v_fmac_f32_e32 v5, v14, v16
	v_fmac_f32_e32 v7, v14, v12
	;; [unrolled: 1-line block ×3, first 2 shown]
	s_andn2_b32 exec_lo, exec_lo, s14
	s_cbranch_execnz .LBB40_8
; %bb.9:
	s_inst_prefetch 0x2
	s_or_b32 exec_lo, exec_lo, s14
.LBB40_10:
	s_or_b32 exec_lo, exec_lo, s13
	v_mbcnt_lo_u32_b32 v1, -1, 0
	s_mov_b32 s0, exec_lo
	v_xor_b32_e32 v2, 16, v1
	v_xor_b32_e32 v8, 8, v1
	v_cmp_gt_i32_e32 vcc_lo, 32, v2
	v_cndmask_b32_e32 v2, v1, v2, vcc_lo
	v_cmp_gt_i32_e32 vcc_lo, 32, v8
	v_lshlrev_b32_e32 v2, 2, v2
	v_cndmask_b32_e32 v8, v1, v8, vcc_lo
	ds_bpermute_b32 v3, v2, v5
	ds_bpermute_b32 v4, v2, v7
	;; [unrolled: 1-line block ×3, first 2 shown]
	v_lshlrev_b32_e32 v8, 2, v8
	s_waitcnt lgkmcnt(0)
	v_add_f32_e32 v3, v5, v3
	v_add_f32_e32 v4, v7, v4
	;; [unrolled: 1-line block ×3, first 2 shown]
	ds_bpermute_b32 v5, v8, v3
	ds_bpermute_b32 v6, v8, v4
	ds_bpermute_b32 v7, v8, v2
	v_xor_b32_e32 v8, 4, v1
	v_cmp_gt_i32_e32 vcc_lo, 32, v8
	v_cndmask_b32_e32 v8, v1, v8, vcc_lo
	v_lshlrev_b32_e32 v8, 2, v8
	s_waitcnt lgkmcnt(2)
	v_add_f32_e32 v3, v3, v5
	s_waitcnt lgkmcnt(1)
	v_add_f32_e32 v4, v4, v6
	s_waitcnt lgkmcnt(0)
	v_add_f32_e32 v2, v2, v7
	ds_bpermute_b32 v5, v8, v3
	ds_bpermute_b32 v6, v8, v4
	ds_bpermute_b32 v7, v8, v2
	v_xor_b32_e32 v8, 2, v1
	v_cmp_gt_i32_e32 vcc_lo, 32, v8
	v_cndmask_b32_e32 v8, v1, v8, vcc_lo
	v_lshlrev_b32_e32 v8, 2, v8
	s_waitcnt lgkmcnt(2)
	v_add_f32_e32 v3, v3, v5
	s_waitcnt lgkmcnt(1)
	v_add_f32_e32 v4, v4, v6
	s_waitcnt lgkmcnt(0)
	v_add_f32_e32 v5, v2, v7
	;; [unrolled: 13-line block ×3, first 2 shown]
	ds_bpermute_b32 v4, v8, v1
	ds_bpermute_b32 v5, v8, v2
	;; [unrolled: 1-line block ×3, first 2 shown]
	v_cmpx_gt_u32_e32 3, v0
	s_cbranch_execz .LBB40_12
; %bb.11:
	s_load_dwordx2 s[0:1], s[4:5], 0x38
	v_mad_u64_u32 v[7:8], null, s18, v0, s[6:7]
	s_waitcnt lgkmcnt(0)
	v_add_f32_e32 v1, v1, v4
	v_add_f32_e32 v2, v2, v5
	v_cmp_eq_u32_e32 vcc_lo, 1, v0
	s_mul_hi_i32 s5, s2, s3
	s_mul_i32 s4, s2, s3
	s_mul_i32 s2, s22, s7
	v_ashrrev_i32_e32 v8, 31, v7
	s_lshl_b64 s[4:5], s[4:5], 2
	s_ashr_i32 s3, s2, 31
	v_cndmask_b32_e32 v4, v1, v2, vcc_lo
	v_add_f32_e32 v3, v3, v6
	v_lshlrev_b64 v[1:2], 2, v[7:8]
	v_cmp_eq_u32_e32 vcc_lo, 2, v0
	v_cndmask_b32_e32 v3, v4, v3, vcc_lo
	s_add_u32 s4, s0, s4
	s_addc_u32 s5, s1, s5
	s_lshl_b64 s[0:1], s[2:3], 2
	s_add_u32 s0, s4, s0
	s_addc_u32 s1, s5, s1
	v_add_co_u32 v0, vcc_lo, s0, v1
	v_add_co_ci_u32_e64 v1, null, s1, v2, vcc_lo
	global_store_dword v[0:1], v3, off
.LBB40_12:
	s_endpgm
	.section	.rodata,"a",@progbits
	.p2align	6, 0x0
	.amdhsa_kernel _ZL13mul_mat_vec_fIffLi3ELi32ELb0ELb0EEvPKT_PKfPKi31ggml_cuda_mm_fusion_args_devicePfi15HIP_vector_typeIjLj3EEiiiSA_iiiSA_iiii
		.amdhsa_group_segment_fixed_size 0
		.amdhsa_private_segment_fixed_size 0
		.amdhsa_kernarg_size 144
		.amdhsa_user_sgpr_count 6
		.amdhsa_user_sgpr_private_segment_buffer 1
		.amdhsa_user_sgpr_dispatch_ptr 0
		.amdhsa_user_sgpr_queue_ptr 0
		.amdhsa_user_sgpr_kernarg_segment_ptr 1
		.amdhsa_user_sgpr_dispatch_id 0
		.amdhsa_user_sgpr_flat_scratch_init 0
		.amdhsa_user_sgpr_private_segment_size 0
		.amdhsa_wavefront_size32 1
		.amdhsa_uses_dynamic_stack 0
		.amdhsa_system_sgpr_private_segment_wavefront_offset 0
		.amdhsa_system_sgpr_workgroup_id_x 1
		.amdhsa_system_sgpr_workgroup_id_y 1
		.amdhsa_system_sgpr_workgroup_id_z 1
		.amdhsa_system_sgpr_workgroup_info 0
		.amdhsa_system_vgpr_workitem_id 0
		.amdhsa_next_free_vgpr 17
		.amdhsa_next_free_sgpr 32
		.amdhsa_reserve_vcc 1
		.amdhsa_reserve_flat_scratch 0
		.amdhsa_float_round_mode_32 0
		.amdhsa_float_round_mode_16_64 0
		.amdhsa_float_denorm_mode_32 3
		.amdhsa_float_denorm_mode_16_64 3
		.amdhsa_dx10_clamp 1
		.amdhsa_ieee_mode 1
		.amdhsa_fp16_overflow 0
		.amdhsa_workgroup_processor_mode 1
		.amdhsa_memory_ordered 1
		.amdhsa_forward_progress 1
		.amdhsa_shared_vgpr_count 0
		.amdhsa_exception_fp_ieee_invalid_op 0
		.amdhsa_exception_fp_denorm_src 0
		.amdhsa_exception_fp_ieee_div_zero 0
		.amdhsa_exception_fp_ieee_overflow 0
		.amdhsa_exception_fp_ieee_underflow 0
		.amdhsa_exception_fp_ieee_inexact 0
		.amdhsa_exception_int_div_zero 0
	.end_amdhsa_kernel
	.section	.text._ZL13mul_mat_vec_fIffLi3ELi32ELb0ELb0EEvPKT_PKfPKi31ggml_cuda_mm_fusion_args_devicePfi15HIP_vector_typeIjLj3EEiiiSA_iiiSA_iiii,"axG",@progbits,_ZL13mul_mat_vec_fIffLi3ELi32ELb0ELb0EEvPKT_PKfPKi31ggml_cuda_mm_fusion_args_devicePfi15HIP_vector_typeIjLj3EEiiiSA_iiiSA_iiii,comdat
.Lfunc_end40:
	.size	_ZL13mul_mat_vec_fIffLi3ELi32ELb0ELb0EEvPKT_PKfPKi31ggml_cuda_mm_fusion_args_devicePfi15HIP_vector_typeIjLj3EEiiiSA_iiiSA_iiii, .Lfunc_end40-_ZL13mul_mat_vec_fIffLi3ELi32ELb0ELb0EEvPKT_PKfPKi31ggml_cuda_mm_fusion_args_devicePfi15HIP_vector_typeIjLj3EEiiiSA_iiiSA_iiii
                                        ; -- End function
	.set _ZL13mul_mat_vec_fIffLi3ELi32ELb0ELb0EEvPKT_PKfPKi31ggml_cuda_mm_fusion_args_devicePfi15HIP_vector_typeIjLj3EEiiiSA_iiiSA_iiii.num_vgpr, 17
	.set _ZL13mul_mat_vec_fIffLi3ELi32ELb0ELb0EEvPKT_PKfPKi31ggml_cuda_mm_fusion_args_devicePfi15HIP_vector_typeIjLj3EEiiiSA_iiiSA_iiii.num_agpr, 0
	.set _ZL13mul_mat_vec_fIffLi3ELi32ELb0ELb0EEvPKT_PKfPKi31ggml_cuda_mm_fusion_args_devicePfi15HIP_vector_typeIjLj3EEiiiSA_iiiSA_iiii.numbered_sgpr, 32
	.set _ZL13mul_mat_vec_fIffLi3ELi32ELb0ELb0EEvPKT_PKfPKi31ggml_cuda_mm_fusion_args_devicePfi15HIP_vector_typeIjLj3EEiiiSA_iiiSA_iiii.num_named_barrier, 0
	.set _ZL13mul_mat_vec_fIffLi3ELi32ELb0ELb0EEvPKT_PKfPKi31ggml_cuda_mm_fusion_args_devicePfi15HIP_vector_typeIjLj3EEiiiSA_iiiSA_iiii.private_seg_size, 0
	.set _ZL13mul_mat_vec_fIffLi3ELi32ELb0ELb0EEvPKT_PKfPKi31ggml_cuda_mm_fusion_args_devicePfi15HIP_vector_typeIjLj3EEiiiSA_iiiSA_iiii.uses_vcc, 1
	.set _ZL13mul_mat_vec_fIffLi3ELi32ELb0ELb0EEvPKT_PKfPKi31ggml_cuda_mm_fusion_args_devicePfi15HIP_vector_typeIjLj3EEiiiSA_iiiSA_iiii.uses_flat_scratch, 0
	.set _ZL13mul_mat_vec_fIffLi3ELi32ELb0ELb0EEvPKT_PKfPKi31ggml_cuda_mm_fusion_args_devicePfi15HIP_vector_typeIjLj3EEiiiSA_iiiSA_iiii.has_dyn_sized_stack, 0
	.set _ZL13mul_mat_vec_fIffLi3ELi32ELb0ELb0EEvPKT_PKfPKi31ggml_cuda_mm_fusion_args_devicePfi15HIP_vector_typeIjLj3EEiiiSA_iiiSA_iiii.has_recursion, 0
	.set _ZL13mul_mat_vec_fIffLi3ELi32ELb0ELb0EEvPKT_PKfPKi31ggml_cuda_mm_fusion_args_devicePfi15HIP_vector_typeIjLj3EEiiiSA_iiiSA_iiii.has_indirect_call, 0
	.section	.AMDGPU.csdata,"",@progbits
; Kernel info:
; codeLenInByte = 1140
; TotalNumSgprs: 34
; NumVgprs: 17
; ScratchSize: 0
; MemoryBound: 0
; FloatMode: 240
; IeeeMode: 1
; LDSByteSize: 0 bytes/workgroup (compile time only)
; SGPRBlocks: 0
; VGPRBlocks: 2
; NumSGPRsForWavesPerEU: 34
; NumVGPRsForWavesPerEU: 17
; Occupancy: 16
; WaveLimiterHint : 0
; COMPUTE_PGM_RSRC2:SCRATCH_EN: 0
; COMPUTE_PGM_RSRC2:USER_SGPR: 6
; COMPUTE_PGM_RSRC2:TRAP_HANDLER: 0
; COMPUTE_PGM_RSRC2:TGID_X_EN: 1
; COMPUTE_PGM_RSRC2:TGID_Y_EN: 1
; COMPUTE_PGM_RSRC2:TGID_Z_EN: 1
; COMPUTE_PGM_RSRC2:TIDIG_COMP_CNT: 0
	.section	.text._ZL13mul_mat_vec_fIffLi3ELi64ELb0ELb0EEvPKT_PKfPKi31ggml_cuda_mm_fusion_args_devicePfi15HIP_vector_typeIjLj3EEiiiSA_iiiSA_iiii,"axG",@progbits,_ZL13mul_mat_vec_fIffLi3ELi64ELb0ELb0EEvPKT_PKfPKi31ggml_cuda_mm_fusion_args_devicePfi15HIP_vector_typeIjLj3EEiiiSA_iiiSA_iiii,comdat
	.globl	_ZL13mul_mat_vec_fIffLi3ELi64ELb0ELb0EEvPKT_PKfPKi31ggml_cuda_mm_fusion_args_devicePfi15HIP_vector_typeIjLj3EEiiiSA_iiiSA_iiii ; -- Begin function _ZL13mul_mat_vec_fIffLi3ELi64ELb0ELb0EEvPKT_PKfPKi31ggml_cuda_mm_fusion_args_devicePfi15HIP_vector_typeIjLj3EEiiiSA_iiiSA_iiii
	.p2align	8
	.type	_ZL13mul_mat_vec_fIffLi3ELi64ELb0ELb0EEvPKT_PKfPKi31ggml_cuda_mm_fusion_args_devicePfi15HIP_vector_typeIjLj3EEiiiSA_iiiSA_iiii,@function
_ZL13mul_mat_vec_fIffLi3ELi64ELb0ELb0EEvPKT_PKfPKi31ggml_cuda_mm_fusion_args_devicePfi15HIP_vector_typeIjLj3EEiiiSA_iiiSA_iiii: ; @_ZL13mul_mat_vec_fIffLi3ELi64ELb0ELb0EEvPKT_PKfPKi31ggml_cuda_mm_fusion_args_devicePfi15HIP_vector_typeIjLj3EEiiiSA_iiiSA_iiii
; %bb.0:
	s_clause 0x2
	s_load_dwordx2 s[0:1], s[4:5], 0x10
	s_load_dwordx8 s[12:19], s[4:5], 0x40
	s_load_dwordx4 s[20:23], s[4:5], 0x80
	s_waitcnt lgkmcnt(0)
	s_cmp_eq_u64 s[0:1], 0
	s_cselect_b32 s10, -1, 0
	s_cmp_lg_u64 s[0:1], 0
	s_cselect_b32 s9, -1, 0
	s_and_b32 vcc_lo, exec_lo, s10
	s_cbranch_vccnz .LBB41_2
; %bb.1:
	s_mul_i32 s2, s23, s8
	s_mov_b32 s3, 0
	s_add_i32 s2, s2, s7
	s_lshl_b64 s[24:25], s[2:3], 2
	s_add_u32 s0, s0, s24
	s_addc_u32 s1, s1, s25
	s_load_dword s19, s[0:1], 0x0
	s_cbranch_execz .LBB41_3
	s_branch .LBB41_4
.LBB41_2:
                                        ; implicit-def: $sgpr19
.LBB41_3:
	s_load_dwordx2 s[0:1], s[4:5], 0x5c
	s_waitcnt lgkmcnt(0)
	s_mul_hi_u32 s0, s0, s7
	s_add_i32 s0, s7, s0
	s_lshr_b32 s19, s0, s1
.LBB41_4:
	s_load_dwordx4 s[24:27], s[4:5], 0x68
	s_andn2_b32 vcc_lo, exec_lo, s9
	s_mov_b32 s23, s7
	s_cbranch_vccnz .LBB41_6
; %bb.5:
	s_mul_hi_u32 s0, s13, s7
	s_add_i32 s0, s7, s0
	s_lshr_b32 s0, s0, s14
	s_mul_i32 s0, s0, s15
	s_sub_i32 s23, s7, s0
.LBB41_6:
	s_load_dword s9, s[4:5], 0x78
	v_cmp_gt_u32_e32 vcc_lo, 32, v0
	v_lshl_add_u32 v5, v0, 2, 0
	s_and_saveexec_b32 s0, vcc_lo
; %bb.7:
	v_mov_b32_e32 v1, 0
	ds_write_b32 v5, v1
; %bb.8:
	s_or_b32 exec_lo, exec_lo, s0
	v_mov_b32_e32 v6, 0
	v_mov_b32_e32 v7, 0
	;; [unrolled: 1-line block ×3, first 2 shown]
	s_and_b32 s0, exec_lo, s10
	s_mov_b32 s11, 0
	s_cselect_b32 s10, s8, 0
	s_mov_b32 s13, exec_lo
	s_waitcnt lgkmcnt(0)
	s_barrier
	buffer_gl0_inv
	v_cmpx_gt_i32_e64 s12, v0
	s_cbranch_execz .LBB41_12
; %bb.9:
	s_load_dwordx4 s[0:3], s[4:5], 0x0
	s_mul_hi_u32 s27, s27, s10
	s_mul_hi_i32 s15, s21, s10
	s_mul_i32 s14, s21, s10
	s_mul_i32 s24, s19, s24
	;; [unrolled: 1-line block ×4, first 2 shown]
	s_add_i32 s16, s10, s27
	s_lshl_b64 s[34:35], s[14:15], 2
	s_ashr_i32 s25, s24, 31
	s_ashr_i32 s29, s28, 31
	;; [unrolled: 1-line block ×3, first 2 shown]
	s_lshr_b32 s9, s16, s9
	v_lshlrev_b32_e32 v1, 3, v0
	s_mul_hi_i32 s21, s9, s20
	s_mul_i32 s20, s9, s20
	s_mov_b32 s8, s17
	v_mov_b32_e32 v8, 0
	v_mov_b32_e32 v9, v0
	;; [unrolled: 1-line block ×3, first 2 shown]
	s_waitcnt lgkmcnt(0)
	s_add_u32 s14, s2, s34
	s_addc_u32 s15, s3, s35
	s_lshl_b64 s[30:31], s[30:31], 2
	s_add_u32 s14, s14, s30
	s_addc_u32 s15, s15, s31
	s_lshl_b64 s[24:25], s[24:25], 2
	s_ashr_i32 s9, s17, 31
	s_add_i32 s16, s17, s17
	s_lshl_b64 s[20:21], s[20:21], 2
	s_lshl_b64 s[28:29], s[28:29], 2
	s_add_u32 s0, s0, s24
	s_addc_u32 s1, s1, s25
	s_add_u32 s0, s0, s28
	s_addc_u32 s1, s1, s29
	;; [unrolled: 2-line block ×3, first 2 shown]
	v_add_co_u32 v2, s0, s0, v1
	s_lshl_b64 s[8:9], s[8:9], 3
	v_add_co_ci_u32_e64 v3, null, s1, 0, s0
	s_add_u32 s0, s2, s30
	s_addc_u32 s1, s3, s31
	s_add_u32 s0, s0, s34
	s_addc_u32 s1, s1, s35
	v_add_co_u32 v4, s0, s0, v1
	v_add_co_ci_u32_e64 v6, null, s1, 0, s0
	v_add_co_u32 v1, s0, v2, 4
	v_add_co_ci_u32_e64 v2, null, 0, v3, s0
	;; [unrolled: 2-line block ×3, first 2 shown]
	v_mov_b32_e32 v6, 0
	s_inst_prefetch 0x1
	.p2align	6
.LBB41_10:                              ; =>This Inner Loop Header: Depth=1
	v_add_nc_u32_e32 v10, s16, v9
	v_add_co_u32 v12, s0, v3, s8
	v_add_co_ci_u32_e64 v13, null, s9, v4, s0
	v_ashrrev_i32_e32 v11, 31, v10
	v_add_nc_u32_e32 v9, 64, v9
	v_lshlrev_b64 v[10:11], 3, v[10:11]
	v_add_co_u32 v10, s0, s14, v10
	v_add_co_ci_u32_e64 v11, null, s15, v11, s0
	global_load_dwordx2 v[14:15], v[1:2], off offset:-4
	s_clause 0x1
	global_load_dwordx2 v[16:17], v[3:4], off offset:-4
	global_load_dwordx2 v[12:13], v[12:13], off offset:-4
	global_load_dwordx2 v[10:11], v[10:11], off
	v_add_co_u32 v1, s0, 0x200, v1
	v_add_co_ci_u32_e64 v2, null, 0, v2, s0
	v_add_co_u32 v3, s0, 0x200, v3
	v_add_co_ci_u32_e64 v4, null, 0, v4, s0
	v_cmp_le_i32_e64 s0, s12, v9
	s_or_b32 s11, s0, s11
	s_waitcnt vmcnt(2)
	v_fmac_f32_e32 v8, v14, v16
	s_waitcnt vmcnt(1)
	v_fmac_f32_e32 v7, v14, v12
	;; [unrolled: 2-line block ×3, first 2 shown]
	v_fmac_f32_e32 v8, v15, v17
	v_fmac_f32_e32 v7, v15, v13
	;; [unrolled: 1-line block ×3, first 2 shown]
	s_andn2_b32 exec_lo, exec_lo, s11
	s_cbranch_execnz .LBB41_10
; %bb.11:
	s_inst_prefetch 0x2
	s_or_b32 exec_lo, exec_lo, s11
.LBB41_12:
	s_or_b32 exec_lo, exec_lo, s13
	v_mbcnt_lo_u32_b32 v2, -1, 0
	v_xor_b32_e32 v1, 16, v2
	v_xor_b32_e32 v3, 8, v2
	v_cmp_gt_i32_e64 s0, 32, v1
	v_cndmask_b32_e64 v1, v2, v1, s0
	v_cmp_gt_i32_e64 s0, 32, v3
	v_lshlrev_b32_e32 v1, 2, v1
	v_cndmask_b32_e64 v3, v2, v3, s0
	ds_bpermute_b32 v4, v1, v8
	v_lshlrev_b32_e32 v3, 2, v3
	s_waitcnt lgkmcnt(0)
	v_add_f32_e32 v8, v8, v4
	v_xor_b32_e32 v4, 4, v2
	ds_bpermute_b32 v9, v3, v8
	v_cmp_gt_i32_e64 s0, 32, v4
	v_cndmask_b32_e64 v4, v2, v4, s0
	v_lshlrev_b32_e32 v4, 2, v4
	s_waitcnt lgkmcnt(0)
	v_add_f32_e32 v9, v8, v9
	v_xor_b32_e32 v8, 2, v2
	ds_bpermute_b32 v10, v4, v9
	v_cmp_gt_i32_e64 s0, 32, v8
	v_cndmask_b32_e64 v8, v2, v8, s0
	;; [unrolled: 7-line block ×3, first 2 shown]
	v_lshlrev_b32_e32 v9, 2, v2
	s_waitcnt lgkmcnt(0)
	v_add_f32_e32 v2, v10, v11
	v_lshrrev_b32_e32 v10, 3, v0
	ds_bpermute_b32 v11, v9, v2
	v_and_b32_e32 v10, 0x7c, v10
	v_add_nc_u32_e32 v10, 0, v10
	s_waitcnt lgkmcnt(0)
	v_add_f32_e32 v2, v2, v11
	ds_write_b32 v10, v2
	s_waitcnt lgkmcnt(0)
	s_barrier
	buffer_gl0_inv
	s_and_saveexec_b32 s0, vcc_lo
	s_cbranch_execz .LBB41_14
; %bb.13:
	ds_read_b32 v2, v5
	s_waitcnt lgkmcnt(0)
	ds_bpermute_b32 v11, v1, v2
	s_waitcnt lgkmcnt(0)
	v_add_f32_e32 v2, v2, v11
	ds_bpermute_b32 v11, v3, v2
	s_waitcnt lgkmcnt(0)
	v_add_f32_e32 v2, v2, v11
	;; [unrolled: 3-line block ×5, first 2 shown]
.LBB41_14:
	s_or_b32 exec_lo, exec_lo, s0
	ds_bpermute_b32 v11, v1, v7
	s_waitcnt lgkmcnt(0)
	s_barrier
	buffer_gl0_inv
	v_add_f32_e32 v7, v7, v11
	ds_bpermute_b32 v11, v3, v7
	s_waitcnt lgkmcnt(0)
	v_add_f32_e32 v7, v7, v11
	ds_bpermute_b32 v11, v4, v7
	s_waitcnt lgkmcnt(0)
	;; [unrolled: 3-line block ×4, first 2 shown]
	v_add_f32_e32 v7, v7, v11
	ds_write_b32 v10, v7
	s_waitcnt lgkmcnt(0)
	s_barrier
	buffer_gl0_inv
	s_and_saveexec_b32 s0, vcc_lo
	s_cbranch_execz .LBB41_16
; %bb.15:
	ds_read_b32 v7, v5
	s_waitcnt lgkmcnt(0)
	ds_bpermute_b32 v11, v1, v7
	s_waitcnt lgkmcnt(0)
	v_add_f32_e32 v7, v7, v11
	ds_bpermute_b32 v11, v3, v7
	s_waitcnt lgkmcnt(0)
	v_add_f32_e32 v7, v7, v11
	;; [unrolled: 3-line block ×5, first 2 shown]
.LBB41_16:
	s_or_b32 exec_lo, exec_lo, s0
	ds_bpermute_b32 v11, v1, v6
	s_waitcnt lgkmcnt(0)
	s_barrier
	buffer_gl0_inv
	v_add_f32_e32 v6, v6, v11
	ds_bpermute_b32 v11, v3, v6
	s_waitcnt lgkmcnt(0)
	v_add_f32_e32 v6, v6, v11
	ds_bpermute_b32 v11, v4, v6
	s_waitcnt lgkmcnt(0)
	;; [unrolled: 3-line block ×4, first 2 shown]
	v_add_f32_e32 v6, v6, v11
	ds_write_b32 v10, v6
	s_waitcnt lgkmcnt(0)
	s_barrier
	buffer_gl0_inv
	s_and_saveexec_b32 s0, vcc_lo
	s_cbranch_execz .LBB41_18
; %bb.17:
	ds_read_b32 v5, v5
	s_waitcnt lgkmcnt(0)
	ds_bpermute_b32 v1, v1, v5
	s_waitcnt lgkmcnt(0)
	v_add_f32_e32 v1, v5, v1
	ds_bpermute_b32 v3, v3, v1
	s_waitcnt lgkmcnt(0)
	v_add_f32_e32 v1, v1, v3
	;; [unrolled: 3-line block ×5, first 2 shown]
.LBB41_18:
	s_or_b32 exec_lo, exec_lo, s0
	s_barrier
	buffer_gl0_inv
	s_mov_b32 s0, exec_lo
	v_cmpx_gt_u32_e32 3, v0
	s_cbranch_execz .LBB41_20
; %bb.19:
	s_load_dwordx2 s[0:1], s[4:5], 0x38
	v_mad_u64_u32 v[3:4], null, s18, v0, s[6:7]
	v_cmp_eq_u32_e32 vcc_lo, 1, v0
	s_mul_hi_i32 s3, s22, s10
	s_mul_i32 s2, s22, s10
	s_mul_i32 s4, s26, s7
	s_lshl_b64 s[2:3], s[2:3], 2
	v_cndmask_b32_e32 v5, v2, v7, vcc_lo
	v_ashrrev_i32_e32 v4, 31, v3
	s_ashr_i32 s5, s4, 31
	v_cmp_eq_u32_e32 vcc_lo, 2, v0
	v_lshlrev_b64 v[1:2], 2, v[3:4]
	v_cndmask_b32_e32 v3, v5, v6, vcc_lo
	s_waitcnt lgkmcnt(0)
	s_add_u32 s2, s0, s2
	s_addc_u32 s3, s1, s3
	s_lshl_b64 s[0:1], s[4:5], 2
	s_add_u32 s0, s2, s0
	s_addc_u32 s1, s3, s1
	v_add_co_u32 v0, vcc_lo, s0, v1
	v_add_co_ci_u32_e64 v1, null, s1, v2, vcc_lo
	global_store_dword v[0:1], v3, off
.LBB41_20:
	s_endpgm
	.section	.rodata,"a",@progbits
	.p2align	6, 0x0
	.amdhsa_kernel _ZL13mul_mat_vec_fIffLi3ELi64ELb0ELb0EEvPKT_PKfPKi31ggml_cuda_mm_fusion_args_devicePfi15HIP_vector_typeIjLj3EEiiiSA_iiiSA_iiii
		.amdhsa_group_segment_fixed_size 0
		.amdhsa_private_segment_fixed_size 0
		.amdhsa_kernarg_size 144
		.amdhsa_user_sgpr_count 6
		.amdhsa_user_sgpr_private_segment_buffer 1
		.amdhsa_user_sgpr_dispatch_ptr 0
		.amdhsa_user_sgpr_queue_ptr 0
		.amdhsa_user_sgpr_kernarg_segment_ptr 1
		.amdhsa_user_sgpr_dispatch_id 0
		.amdhsa_user_sgpr_flat_scratch_init 0
		.amdhsa_user_sgpr_private_segment_size 0
		.amdhsa_wavefront_size32 1
		.amdhsa_uses_dynamic_stack 0
		.amdhsa_system_sgpr_private_segment_wavefront_offset 0
		.amdhsa_system_sgpr_workgroup_id_x 1
		.amdhsa_system_sgpr_workgroup_id_y 1
		.amdhsa_system_sgpr_workgroup_id_z 1
		.amdhsa_system_sgpr_workgroup_info 0
		.amdhsa_system_vgpr_workitem_id 0
		.amdhsa_next_free_vgpr 18
		.amdhsa_next_free_sgpr 36
		.amdhsa_reserve_vcc 1
		.amdhsa_reserve_flat_scratch 0
		.amdhsa_float_round_mode_32 0
		.amdhsa_float_round_mode_16_64 0
		.amdhsa_float_denorm_mode_32 3
		.amdhsa_float_denorm_mode_16_64 3
		.amdhsa_dx10_clamp 1
		.amdhsa_ieee_mode 1
		.amdhsa_fp16_overflow 0
		.amdhsa_workgroup_processor_mode 1
		.amdhsa_memory_ordered 1
		.amdhsa_forward_progress 1
		.amdhsa_shared_vgpr_count 0
		.amdhsa_exception_fp_ieee_invalid_op 0
		.amdhsa_exception_fp_denorm_src 0
		.amdhsa_exception_fp_ieee_div_zero 0
		.amdhsa_exception_fp_ieee_overflow 0
		.amdhsa_exception_fp_ieee_underflow 0
		.amdhsa_exception_fp_ieee_inexact 0
		.amdhsa_exception_int_div_zero 0
	.end_amdhsa_kernel
	.section	.text._ZL13mul_mat_vec_fIffLi3ELi64ELb0ELb0EEvPKT_PKfPKi31ggml_cuda_mm_fusion_args_devicePfi15HIP_vector_typeIjLj3EEiiiSA_iiiSA_iiii,"axG",@progbits,_ZL13mul_mat_vec_fIffLi3ELi64ELb0ELb0EEvPKT_PKfPKi31ggml_cuda_mm_fusion_args_devicePfi15HIP_vector_typeIjLj3EEiiiSA_iiiSA_iiii,comdat
.Lfunc_end41:
	.size	_ZL13mul_mat_vec_fIffLi3ELi64ELb0ELb0EEvPKT_PKfPKi31ggml_cuda_mm_fusion_args_devicePfi15HIP_vector_typeIjLj3EEiiiSA_iiiSA_iiii, .Lfunc_end41-_ZL13mul_mat_vec_fIffLi3ELi64ELb0ELb0EEvPKT_PKfPKi31ggml_cuda_mm_fusion_args_devicePfi15HIP_vector_typeIjLj3EEiiiSA_iiiSA_iiii
                                        ; -- End function
	.set _ZL13mul_mat_vec_fIffLi3ELi64ELb0ELb0EEvPKT_PKfPKi31ggml_cuda_mm_fusion_args_devicePfi15HIP_vector_typeIjLj3EEiiiSA_iiiSA_iiii.num_vgpr, 18
	.set _ZL13mul_mat_vec_fIffLi3ELi64ELb0ELb0EEvPKT_PKfPKi31ggml_cuda_mm_fusion_args_devicePfi15HIP_vector_typeIjLj3EEiiiSA_iiiSA_iiii.num_agpr, 0
	.set _ZL13mul_mat_vec_fIffLi3ELi64ELb0ELb0EEvPKT_PKfPKi31ggml_cuda_mm_fusion_args_devicePfi15HIP_vector_typeIjLj3EEiiiSA_iiiSA_iiii.numbered_sgpr, 36
	.set _ZL13mul_mat_vec_fIffLi3ELi64ELb0ELb0EEvPKT_PKfPKi31ggml_cuda_mm_fusion_args_devicePfi15HIP_vector_typeIjLj3EEiiiSA_iiiSA_iiii.num_named_barrier, 0
	.set _ZL13mul_mat_vec_fIffLi3ELi64ELb0ELb0EEvPKT_PKfPKi31ggml_cuda_mm_fusion_args_devicePfi15HIP_vector_typeIjLj3EEiiiSA_iiiSA_iiii.private_seg_size, 0
	.set _ZL13mul_mat_vec_fIffLi3ELi64ELb0ELb0EEvPKT_PKfPKi31ggml_cuda_mm_fusion_args_devicePfi15HIP_vector_typeIjLj3EEiiiSA_iiiSA_iiii.uses_vcc, 1
	.set _ZL13mul_mat_vec_fIffLi3ELi64ELb0ELb0EEvPKT_PKfPKi31ggml_cuda_mm_fusion_args_devicePfi15HIP_vector_typeIjLj3EEiiiSA_iiiSA_iiii.uses_flat_scratch, 0
	.set _ZL13mul_mat_vec_fIffLi3ELi64ELb0ELb0EEvPKT_PKfPKi31ggml_cuda_mm_fusion_args_devicePfi15HIP_vector_typeIjLj3EEiiiSA_iiiSA_iiii.has_dyn_sized_stack, 0
	.set _ZL13mul_mat_vec_fIffLi3ELi64ELb0ELb0EEvPKT_PKfPKi31ggml_cuda_mm_fusion_args_devicePfi15HIP_vector_typeIjLj3EEiiiSA_iiiSA_iiii.has_recursion, 0
	.set _ZL13mul_mat_vec_fIffLi3ELi64ELb0ELb0EEvPKT_PKfPKi31ggml_cuda_mm_fusion_args_devicePfi15HIP_vector_typeIjLj3EEiiiSA_iiiSA_iiii.has_indirect_call, 0
	.section	.AMDGPU.csdata,"",@progbits
; Kernel info:
; codeLenInByte = 1640
; TotalNumSgprs: 38
; NumVgprs: 18
; ScratchSize: 0
; MemoryBound: 0
; FloatMode: 240
; IeeeMode: 1
; LDSByteSize: 0 bytes/workgroup (compile time only)
; SGPRBlocks: 0
; VGPRBlocks: 2
; NumSGPRsForWavesPerEU: 38
; NumVGPRsForWavesPerEU: 18
; Occupancy: 16
; WaveLimiterHint : 0
; COMPUTE_PGM_RSRC2:SCRATCH_EN: 0
; COMPUTE_PGM_RSRC2:USER_SGPR: 6
; COMPUTE_PGM_RSRC2:TRAP_HANDLER: 0
; COMPUTE_PGM_RSRC2:TGID_X_EN: 1
; COMPUTE_PGM_RSRC2:TGID_Y_EN: 1
; COMPUTE_PGM_RSRC2:TGID_Z_EN: 1
; COMPUTE_PGM_RSRC2:TIDIG_COMP_CNT: 0
	.section	.text._ZL13mul_mat_vec_fIffLi3ELi96ELb0ELb0EEvPKT_PKfPKi31ggml_cuda_mm_fusion_args_devicePfi15HIP_vector_typeIjLj3EEiiiSA_iiiSA_iiii,"axG",@progbits,_ZL13mul_mat_vec_fIffLi3ELi96ELb0ELb0EEvPKT_PKfPKi31ggml_cuda_mm_fusion_args_devicePfi15HIP_vector_typeIjLj3EEiiiSA_iiiSA_iiii,comdat
	.globl	_ZL13mul_mat_vec_fIffLi3ELi96ELb0ELb0EEvPKT_PKfPKi31ggml_cuda_mm_fusion_args_devicePfi15HIP_vector_typeIjLj3EEiiiSA_iiiSA_iiii ; -- Begin function _ZL13mul_mat_vec_fIffLi3ELi96ELb0ELb0EEvPKT_PKfPKi31ggml_cuda_mm_fusion_args_devicePfi15HIP_vector_typeIjLj3EEiiiSA_iiiSA_iiii
	.p2align	8
	.type	_ZL13mul_mat_vec_fIffLi3ELi96ELb0ELb0EEvPKT_PKfPKi31ggml_cuda_mm_fusion_args_devicePfi15HIP_vector_typeIjLj3EEiiiSA_iiiSA_iiii,@function
_ZL13mul_mat_vec_fIffLi3ELi96ELb0ELb0EEvPKT_PKfPKi31ggml_cuda_mm_fusion_args_devicePfi15HIP_vector_typeIjLj3EEiiiSA_iiiSA_iiii: ; @_ZL13mul_mat_vec_fIffLi3ELi96ELb0ELb0EEvPKT_PKfPKi31ggml_cuda_mm_fusion_args_devicePfi15HIP_vector_typeIjLj3EEiiiSA_iiiSA_iiii
; %bb.0:
	s_clause 0x2
	s_load_dwordx2 s[0:1], s[4:5], 0x10
	s_load_dwordx8 s[12:19], s[4:5], 0x40
	s_load_dwordx4 s[20:23], s[4:5], 0x80
	s_waitcnt lgkmcnt(0)
	s_cmp_eq_u64 s[0:1], 0
	s_cselect_b32 s10, -1, 0
	s_cmp_lg_u64 s[0:1], 0
	s_cselect_b32 s9, -1, 0
	s_and_b32 vcc_lo, exec_lo, s10
	s_cbranch_vccnz .LBB42_2
; %bb.1:
	s_mul_i32 s2, s23, s8
	s_mov_b32 s3, 0
	s_add_i32 s2, s2, s7
	s_lshl_b64 s[24:25], s[2:3], 2
	s_add_u32 s0, s0, s24
	s_addc_u32 s1, s1, s25
	s_load_dword s19, s[0:1], 0x0
	s_cbranch_execz .LBB42_3
	s_branch .LBB42_4
.LBB42_2:
                                        ; implicit-def: $sgpr19
.LBB42_3:
	s_load_dwordx2 s[0:1], s[4:5], 0x5c
	s_waitcnt lgkmcnt(0)
	s_mul_hi_u32 s0, s0, s7
	s_add_i32 s0, s7, s0
	s_lshr_b32 s19, s0, s1
.LBB42_4:
	s_load_dwordx4 s[24:27], s[4:5], 0x68
	s_andn2_b32 vcc_lo, exec_lo, s9
	s_mov_b32 s23, s7
	s_cbranch_vccnz .LBB42_6
; %bb.5:
	s_mul_hi_u32 s0, s13, s7
	s_add_i32 s0, s7, s0
	s_lshr_b32 s0, s0, s14
	s_mul_i32 s0, s0, s15
	s_sub_i32 s23, s7, s0
.LBB42_6:
	s_load_dword s9, s[4:5], 0x78
	v_cmp_gt_u32_e32 vcc_lo, 32, v0
	v_lshl_add_u32 v5, v0, 2, 0
	s_and_saveexec_b32 s0, vcc_lo
; %bb.7:
	v_mov_b32_e32 v1, 0
	ds_write_b32 v5, v1
; %bb.8:
	s_or_b32 exec_lo, exec_lo, s0
	v_mov_b32_e32 v6, 0
	v_mov_b32_e32 v7, 0
	;; [unrolled: 1-line block ×3, first 2 shown]
	s_and_b32 s0, exec_lo, s10
	s_mov_b32 s11, 0
	s_cselect_b32 s10, s8, 0
	s_mov_b32 s13, exec_lo
	s_waitcnt lgkmcnt(0)
	s_barrier
	buffer_gl0_inv
	v_cmpx_gt_i32_e64 s12, v0
	s_cbranch_execz .LBB42_12
; %bb.9:
	s_load_dwordx4 s[0:3], s[4:5], 0x0
	s_mul_hi_u32 s27, s27, s10
	s_mul_hi_i32 s15, s21, s10
	s_mul_i32 s14, s21, s10
	s_mul_i32 s24, s19, s24
	;; [unrolled: 1-line block ×4, first 2 shown]
	s_add_i32 s16, s10, s27
	s_lshl_b64 s[34:35], s[14:15], 2
	s_ashr_i32 s25, s24, 31
	s_ashr_i32 s29, s28, 31
	;; [unrolled: 1-line block ×3, first 2 shown]
	s_lshr_b32 s9, s16, s9
	v_lshlrev_b32_e32 v1, 3, v0
	s_mul_hi_i32 s21, s9, s20
	s_mul_i32 s20, s9, s20
	s_mov_b32 s8, s17
	v_mov_b32_e32 v8, 0
	v_mov_b32_e32 v9, v0
	;; [unrolled: 1-line block ×3, first 2 shown]
	s_waitcnt lgkmcnt(0)
	s_add_u32 s14, s2, s34
	s_addc_u32 s15, s3, s35
	s_lshl_b64 s[30:31], s[30:31], 2
	s_add_u32 s14, s14, s30
	s_addc_u32 s15, s15, s31
	s_lshl_b64 s[24:25], s[24:25], 2
	s_ashr_i32 s9, s17, 31
	s_add_i32 s16, s17, s17
	s_lshl_b64 s[20:21], s[20:21], 2
	s_lshl_b64 s[28:29], s[28:29], 2
	s_add_u32 s0, s0, s24
	s_addc_u32 s1, s1, s25
	s_add_u32 s0, s0, s28
	s_addc_u32 s1, s1, s29
	;; [unrolled: 2-line block ×3, first 2 shown]
	v_add_co_u32 v2, s0, s0, v1
	s_lshl_b64 s[8:9], s[8:9], 3
	v_add_co_ci_u32_e64 v3, null, s1, 0, s0
	s_add_u32 s0, s2, s30
	s_addc_u32 s1, s3, s31
	s_add_u32 s0, s0, s34
	s_addc_u32 s1, s1, s35
	v_add_co_u32 v4, s0, s0, v1
	v_add_co_ci_u32_e64 v6, null, s1, 0, s0
	v_add_co_u32 v1, s0, v2, 4
	v_add_co_ci_u32_e64 v2, null, 0, v3, s0
	;; [unrolled: 2-line block ×3, first 2 shown]
	v_mov_b32_e32 v6, 0
	s_inst_prefetch 0x1
	.p2align	6
.LBB42_10:                              ; =>This Inner Loop Header: Depth=1
	v_add_nc_u32_e32 v10, s16, v9
	v_add_co_u32 v12, s0, v3, s8
	v_add_co_ci_u32_e64 v13, null, s9, v4, s0
	v_ashrrev_i32_e32 v11, 31, v10
	v_add_nc_u32_e32 v9, 0x60, v9
	v_lshlrev_b64 v[10:11], 3, v[10:11]
	v_add_co_u32 v10, s0, s14, v10
	v_add_co_ci_u32_e64 v11, null, s15, v11, s0
	global_load_dwordx2 v[14:15], v[1:2], off offset:-4
	s_clause 0x1
	global_load_dwordx2 v[16:17], v[3:4], off offset:-4
	global_load_dwordx2 v[12:13], v[12:13], off offset:-4
	global_load_dwordx2 v[10:11], v[10:11], off
	v_add_co_u32 v1, s0, 0x300, v1
	v_add_co_ci_u32_e64 v2, null, 0, v2, s0
	v_add_co_u32 v3, s0, 0x300, v3
	v_add_co_ci_u32_e64 v4, null, 0, v4, s0
	v_cmp_le_i32_e64 s0, s12, v9
	s_or_b32 s11, s0, s11
	s_waitcnt vmcnt(2)
	v_fmac_f32_e32 v8, v14, v16
	s_waitcnt vmcnt(1)
	v_fmac_f32_e32 v7, v14, v12
	;; [unrolled: 2-line block ×3, first 2 shown]
	v_fmac_f32_e32 v8, v15, v17
	v_fmac_f32_e32 v7, v15, v13
	;; [unrolled: 1-line block ×3, first 2 shown]
	s_andn2_b32 exec_lo, exec_lo, s11
	s_cbranch_execnz .LBB42_10
; %bb.11:
	s_inst_prefetch 0x2
	s_or_b32 exec_lo, exec_lo, s11
.LBB42_12:
	s_or_b32 exec_lo, exec_lo, s13
	v_mbcnt_lo_u32_b32 v2, -1, 0
	v_xor_b32_e32 v1, 16, v2
	v_xor_b32_e32 v3, 8, v2
	v_cmp_gt_i32_e64 s0, 32, v1
	v_cndmask_b32_e64 v1, v2, v1, s0
	v_cmp_gt_i32_e64 s0, 32, v3
	v_lshlrev_b32_e32 v1, 2, v1
	v_cndmask_b32_e64 v3, v2, v3, s0
	ds_bpermute_b32 v4, v1, v8
	v_lshlrev_b32_e32 v3, 2, v3
	s_waitcnt lgkmcnt(0)
	v_add_f32_e32 v8, v8, v4
	v_xor_b32_e32 v4, 4, v2
	ds_bpermute_b32 v9, v3, v8
	v_cmp_gt_i32_e64 s0, 32, v4
	v_cndmask_b32_e64 v4, v2, v4, s0
	v_lshlrev_b32_e32 v4, 2, v4
	s_waitcnt lgkmcnt(0)
	v_add_f32_e32 v9, v8, v9
	v_xor_b32_e32 v8, 2, v2
	ds_bpermute_b32 v10, v4, v9
	v_cmp_gt_i32_e64 s0, 32, v8
	v_cndmask_b32_e64 v8, v2, v8, s0
	;; [unrolled: 7-line block ×3, first 2 shown]
	v_lshlrev_b32_e32 v9, 2, v2
	s_waitcnt lgkmcnt(0)
	v_add_f32_e32 v2, v10, v11
	v_lshrrev_b32_e32 v10, 3, v0
	ds_bpermute_b32 v11, v9, v2
	v_and_b32_e32 v10, 0x7c, v10
	v_add_nc_u32_e32 v10, 0, v10
	s_waitcnt lgkmcnt(0)
	v_add_f32_e32 v2, v2, v11
	ds_write_b32 v10, v2
	s_waitcnt lgkmcnt(0)
	s_barrier
	buffer_gl0_inv
	s_and_saveexec_b32 s0, vcc_lo
	s_cbranch_execz .LBB42_14
; %bb.13:
	ds_read_b32 v2, v5
	s_waitcnt lgkmcnt(0)
	ds_bpermute_b32 v11, v1, v2
	s_waitcnt lgkmcnt(0)
	v_add_f32_e32 v2, v2, v11
	ds_bpermute_b32 v11, v3, v2
	s_waitcnt lgkmcnt(0)
	v_add_f32_e32 v2, v2, v11
	;; [unrolled: 3-line block ×5, first 2 shown]
.LBB42_14:
	s_or_b32 exec_lo, exec_lo, s0
	ds_bpermute_b32 v11, v1, v7
	s_waitcnt lgkmcnt(0)
	s_barrier
	buffer_gl0_inv
	v_add_f32_e32 v7, v7, v11
	ds_bpermute_b32 v11, v3, v7
	s_waitcnt lgkmcnt(0)
	v_add_f32_e32 v7, v7, v11
	ds_bpermute_b32 v11, v4, v7
	s_waitcnt lgkmcnt(0)
	;; [unrolled: 3-line block ×4, first 2 shown]
	v_add_f32_e32 v7, v7, v11
	ds_write_b32 v10, v7
	s_waitcnt lgkmcnt(0)
	s_barrier
	buffer_gl0_inv
	s_and_saveexec_b32 s0, vcc_lo
	s_cbranch_execz .LBB42_16
; %bb.15:
	ds_read_b32 v7, v5
	s_waitcnt lgkmcnt(0)
	ds_bpermute_b32 v11, v1, v7
	s_waitcnt lgkmcnt(0)
	v_add_f32_e32 v7, v7, v11
	ds_bpermute_b32 v11, v3, v7
	s_waitcnt lgkmcnt(0)
	v_add_f32_e32 v7, v7, v11
	;; [unrolled: 3-line block ×5, first 2 shown]
.LBB42_16:
	s_or_b32 exec_lo, exec_lo, s0
	ds_bpermute_b32 v11, v1, v6
	s_waitcnt lgkmcnt(0)
	s_barrier
	buffer_gl0_inv
	v_add_f32_e32 v6, v6, v11
	ds_bpermute_b32 v11, v3, v6
	s_waitcnt lgkmcnt(0)
	v_add_f32_e32 v6, v6, v11
	ds_bpermute_b32 v11, v4, v6
	s_waitcnt lgkmcnt(0)
	;; [unrolled: 3-line block ×4, first 2 shown]
	v_add_f32_e32 v6, v6, v11
	ds_write_b32 v10, v6
	s_waitcnt lgkmcnt(0)
	s_barrier
	buffer_gl0_inv
	s_and_saveexec_b32 s0, vcc_lo
	s_cbranch_execz .LBB42_18
; %bb.17:
	ds_read_b32 v5, v5
	s_waitcnt lgkmcnt(0)
	ds_bpermute_b32 v1, v1, v5
	s_waitcnt lgkmcnt(0)
	v_add_f32_e32 v1, v5, v1
	ds_bpermute_b32 v3, v3, v1
	s_waitcnt lgkmcnt(0)
	v_add_f32_e32 v1, v1, v3
	;; [unrolled: 3-line block ×5, first 2 shown]
.LBB42_18:
	s_or_b32 exec_lo, exec_lo, s0
	s_barrier
	buffer_gl0_inv
	s_mov_b32 s0, exec_lo
	v_cmpx_gt_u32_e32 3, v0
	s_cbranch_execz .LBB42_20
; %bb.19:
	s_load_dwordx2 s[0:1], s[4:5], 0x38
	v_mad_u64_u32 v[3:4], null, s18, v0, s[6:7]
	v_cmp_eq_u32_e32 vcc_lo, 1, v0
	s_mul_hi_i32 s3, s22, s10
	s_mul_i32 s2, s22, s10
	s_mul_i32 s4, s26, s7
	s_lshl_b64 s[2:3], s[2:3], 2
	v_cndmask_b32_e32 v5, v2, v7, vcc_lo
	v_ashrrev_i32_e32 v4, 31, v3
	s_ashr_i32 s5, s4, 31
	v_cmp_eq_u32_e32 vcc_lo, 2, v0
	v_lshlrev_b64 v[1:2], 2, v[3:4]
	v_cndmask_b32_e32 v3, v5, v6, vcc_lo
	s_waitcnt lgkmcnt(0)
	s_add_u32 s2, s0, s2
	s_addc_u32 s3, s1, s3
	s_lshl_b64 s[0:1], s[4:5], 2
	s_add_u32 s0, s2, s0
	s_addc_u32 s1, s3, s1
	v_add_co_u32 v0, vcc_lo, s0, v1
	v_add_co_ci_u32_e64 v1, null, s1, v2, vcc_lo
	global_store_dword v[0:1], v3, off
.LBB42_20:
	s_endpgm
	.section	.rodata,"a",@progbits
	.p2align	6, 0x0
	.amdhsa_kernel _ZL13mul_mat_vec_fIffLi3ELi96ELb0ELb0EEvPKT_PKfPKi31ggml_cuda_mm_fusion_args_devicePfi15HIP_vector_typeIjLj3EEiiiSA_iiiSA_iiii
		.amdhsa_group_segment_fixed_size 0
		.amdhsa_private_segment_fixed_size 0
		.amdhsa_kernarg_size 144
		.amdhsa_user_sgpr_count 6
		.amdhsa_user_sgpr_private_segment_buffer 1
		.amdhsa_user_sgpr_dispatch_ptr 0
		.amdhsa_user_sgpr_queue_ptr 0
		.amdhsa_user_sgpr_kernarg_segment_ptr 1
		.amdhsa_user_sgpr_dispatch_id 0
		.amdhsa_user_sgpr_flat_scratch_init 0
		.amdhsa_user_sgpr_private_segment_size 0
		.amdhsa_wavefront_size32 1
		.amdhsa_uses_dynamic_stack 0
		.amdhsa_system_sgpr_private_segment_wavefront_offset 0
		.amdhsa_system_sgpr_workgroup_id_x 1
		.amdhsa_system_sgpr_workgroup_id_y 1
		.amdhsa_system_sgpr_workgroup_id_z 1
		.amdhsa_system_sgpr_workgroup_info 0
		.amdhsa_system_vgpr_workitem_id 0
		.amdhsa_next_free_vgpr 18
		.amdhsa_next_free_sgpr 36
		.amdhsa_reserve_vcc 1
		.amdhsa_reserve_flat_scratch 0
		.amdhsa_float_round_mode_32 0
		.amdhsa_float_round_mode_16_64 0
		.amdhsa_float_denorm_mode_32 3
		.amdhsa_float_denorm_mode_16_64 3
		.amdhsa_dx10_clamp 1
		.amdhsa_ieee_mode 1
		.amdhsa_fp16_overflow 0
		.amdhsa_workgroup_processor_mode 1
		.amdhsa_memory_ordered 1
		.amdhsa_forward_progress 1
		.amdhsa_shared_vgpr_count 0
		.amdhsa_exception_fp_ieee_invalid_op 0
		.amdhsa_exception_fp_denorm_src 0
		.amdhsa_exception_fp_ieee_div_zero 0
		.amdhsa_exception_fp_ieee_overflow 0
		.amdhsa_exception_fp_ieee_underflow 0
		.amdhsa_exception_fp_ieee_inexact 0
		.amdhsa_exception_int_div_zero 0
	.end_amdhsa_kernel
	.section	.text._ZL13mul_mat_vec_fIffLi3ELi96ELb0ELb0EEvPKT_PKfPKi31ggml_cuda_mm_fusion_args_devicePfi15HIP_vector_typeIjLj3EEiiiSA_iiiSA_iiii,"axG",@progbits,_ZL13mul_mat_vec_fIffLi3ELi96ELb0ELb0EEvPKT_PKfPKi31ggml_cuda_mm_fusion_args_devicePfi15HIP_vector_typeIjLj3EEiiiSA_iiiSA_iiii,comdat
.Lfunc_end42:
	.size	_ZL13mul_mat_vec_fIffLi3ELi96ELb0ELb0EEvPKT_PKfPKi31ggml_cuda_mm_fusion_args_devicePfi15HIP_vector_typeIjLj3EEiiiSA_iiiSA_iiii, .Lfunc_end42-_ZL13mul_mat_vec_fIffLi3ELi96ELb0ELb0EEvPKT_PKfPKi31ggml_cuda_mm_fusion_args_devicePfi15HIP_vector_typeIjLj3EEiiiSA_iiiSA_iiii
                                        ; -- End function
	.set _ZL13mul_mat_vec_fIffLi3ELi96ELb0ELb0EEvPKT_PKfPKi31ggml_cuda_mm_fusion_args_devicePfi15HIP_vector_typeIjLj3EEiiiSA_iiiSA_iiii.num_vgpr, 18
	.set _ZL13mul_mat_vec_fIffLi3ELi96ELb0ELb0EEvPKT_PKfPKi31ggml_cuda_mm_fusion_args_devicePfi15HIP_vector_typeIjLj3EEiiiSA_iiiSA_iiii.num_agpr, 0
	.set _ZL13mul_mat_vec_fIffLi3ELi96ELb0ELb0EEvPKT_PKfPKi31ggml_cuda_mm_fusion_args_devicePfi15HIP_vector_typeIjLj3EEiiiSA_iiiSA_iiii.numbered_sgpr, 36
	.set _ZL13mul_mat_vec_fIffLi3ELi96ELb0ELb0EEvPKT_PKfPKi31ggml_cuda_mm_fusion_args_devicePfi15HIP_vector_typeIjLj3EEiiiSA_iiiSA_iiii.num_named_barrier, 0
	.set _ZL13mul_mat_vec_fIffLi3ELi96ELb0ELb0EEvPKT_PKfPKi31ggml_cuda_mm_fusion_args_devicePfi15HIP_vector_typeIjLj3EEiiiSA_iiiSA_iiii.private_seg_size, 0
	.set _ZL13mul_mat_vec_fIffLi3ELi96ELb0ELb0EEvPKT_PKfPKi31ggml_cuda_mm_fusion_args_devicePfi15HIP_vector_typeIjLj3EEiiiSA_iiiSA_iiii.uses_vcc, 1
	.set _ZL13mul_mat_vec_fIffLi3ELi96ELb0ELb0EEvPKT_PKfPKi31ggml_cuda_mm_fusion_args_devicePfi15HIP_vector_typeIjLj3EEiiiSA_iiiSA_iiii.uses_flat_scratch, 0
	.set _ZL13mul_mat_vec_fIffLi3ELi96ELb0ELb0EEvPKT_PKfPKi31ggml_cuda_mm_fusion_args_devicePfi15HIP_vector_typeIjLj3EEiiiSA_iiiSA_iiii.has_dyn_sized_stack, 0
	.set _ZL13mul_mat_vec_fIffLi3ELi96ELb0ELb0EEvPKT_PKfPKi31ggml_cuda_mm_fusion_args_devicePfi15HIP_vector_typeIjLj3EEiiiSA_iiiSA_iiii.has_recursion, 0
	.set _ZL13mul_mat_vec_fIffLi3ELi96ELb0ELb0EEvPKT_PKfPKi31ggml_cuda_mm_fusion_args_devicePfi15HIP_vector_typeIjLj3EEiiiSA_iiiSA_iiii.has_indirect_call, 0
	.section	.AMDGPU.csdata,"",@progbits
; Kernel info:
; codeLenInByte = 1644
; TotalNumSgprs: 38
; NumVgprs: 18
; ScratchSize: 0
; MemoryBound: 0
; FloatMode: 240
; IeeeMode: 1
; LDSByteSize: 0 bytes/workgroup (compile time only)
; SGPRBlocks: 0
; VGPRBlocks: 2
; NumSGPRsForWavesPerEU: 38
; NumVGPRsForWavesPerEU: 18
; Occupancy: 16
; WaveLimiterHint : 0
; COMPUTE_PGM_RSRC2:SCRATCH_EN: 0
; COMPUTE_PGM_RSRC2:USER_SGPR: 6
; COMPUTE_PGM_RSRC2:TRAP_HANDLER: 0
; COMPUTE_PGM_RSRC2:TGID_X_EN: 1
; COMPUTE_PGM_RSRC2:TGID_Y_EN: 1
; COMPUTE_PGM_RSRC2:TGID_Z_EN: 1
; COMPUTE_PGM_RSRC2:TIDIG_COMP_CNT: 0
	.section	.text._ZL13mul_mat_vec_fIffLi3ELi128ELb0ELb0EEvPKT_PKfPKi31ggml_cuda_mm_fusion_args_devicePfi15HIP_vector_typeIjLj3EEiiiSA_iiiSA_iiii,"axG",@progbits,_ZL13mul_mat_vec_fIffLi3ELi128ELb0ELb0EEvPKT_PKfPKi31ggml_cuda_mm_fusion_args_devicePfi15HIP_vector_typeIjLj3EEiiiSA_iiiSA_iiii,comdat
	.globl	_ZL13mul_mat_vec_fIffLi3ELi128ELb0ELb0EEvPKT_PKfPKi31ggml_cuda_mm_fusion_args_devicePfi15HIP_vector_typeIjLj3EEiiiSA_iiiSA_iiii ; -- Begin function _ZL13mul_mat_vec_fIffLi3ELi128ELb0ELb0EEvPKT_PKfPKi31ggml_cuda_mm_fusion_args_devicePfi15HIP_vector_typeIjLj3EEiiiSA_iiiSA_iiii
	.p2align	8
	.type	_ZL13mul_mat_vec_fIffLi3ELi128ELb0ELb0EEvPKT_PKfPKi31ggml_cuda_mm_fusion_args_devicePfi15HIP_vector_typeIjLj3EEiiiSA_iiiSA_iiii,@function
_ZL13mul_mat_vec_fIffLi3ELi128ELb0ELb0EEvPKT_PKfPKi31ggml_cuda_mm_fusion_args_devicePfi15HIP_vector_typeIjLj3EEiiiSA_iiiSA_iiii: ; @_ZL13mul_mat_vec_fIffLi3ELi128ELb0ELb0EEvPKT_PKfPKi31ggml_cuda_mm_fusion_args_devicePfi15HIP_vector_typeIjLj3EEiiiSA_iiiSA_iiii
; %bb.0:
	s_clause 0x2
	s_load_dwordx2 s[0:1], s[4:5], 0x10
	s_load_dwordx8 s[12:19], s[4:5], 0x40
	s_load_dwordx4 s[20:23], s[4:5], 0x80
	s_waitcnt lgkmcnt(0)
	s_cmp_eq_u64 s[0:1], 0
	s_cselect_b32 s10, -1, 0
	s_cmp_lg_u64 s[0:1], 0
	s_cselect_b32 s9, -1, 0
	s_and_b32 vcc_lo, exec_lo, s10
	s_cbranch_vccnz .LBB43_2
; %bb.1:
	s_mul_i32 s2, s23, s8
	s_mov_b32 s3, 0
	s_add_i32 s2, s2, s7
	s_lshl_b64 s[24:25], s[2:3], 2
	s_add_u32 s0, s0, s24
	s_addc_u32 s1, s1, s25
	s_load_dword s19, s[0:1], 0x0
	s_cbranch_execz .LBB43_3
	s_branch .LBB43_4
.LBB43_2:
                                        ; implicit-def: $sgpr19
.LBB43_3:
	s_load_dwordx2 s[0:1], s[4:5], 0x5c
	s_waitcnt lgkmcnt(0)
	s_mul_hi_u32 s0, s0, s7
	s_add_i32 s0, s7, s0
	s_lshr_b32 s19, s0, s1
.LBB43_4:
	s_load_dwordx4 s[24:27], s[4:5], 0x68
	s_andn2_b32 vcc_lo, exec_lo, s9
	s_mov_b32 s23, s7
	s_cbranch_vccnz .LBB43_6
; %bb.5:
	s_mul_hi_u32 s0, s13, s7
	s_add_i32 s0, s7, s0
	s_lshr_b32 s0, s0, s14
	s_mul_i32 s0, s0, s15
	s_sub_i32 s23, s7, s0
.LBB43_6:
	s_load_dword s9, s[4:5], 0x78
	v_cmp_gt_u32_e32 vcc_lo, 32, v0
	v_lshl_add_u32 v5, v0, 2, 0
	s_and_saveexec_b32 s0, vcc_lo
; %bb.7:
	v_mov_b32_e32 v1, 0
	ds_write_b32 v5, v1
; %bb.8:
	s_or_b32 exec_lo, exec_lo, s0
	v_mov_b32_e32 v6, 0
	v_mov_b32_e32 v7, 0
	;; [unrolled: 1-line block ×3, first 2 shown]
	s_and_b32 s0, exec_lo, s10
	s_mov_b32 s11, 0
	s_cselect_b32 s10, s8, 0
	s_mov_b32 s13, exec_lo
	s_waitcnt lgkmcnt(0)
	s_barrier
	buffer_gl0_inv
	v_cmpx_gt_i32_e64 s12, v0
	s_cbranch_execz .LBB43_12
; %bb.9:
	s_load_dwordx4 s[0:3], s[4:5], 0x0
	s_mul_hi_u32 s27, s27, s10
	s_mul_hi_i32 s15, s21, s10
	s_mul_i32 s14, s21, s10
	s_mul_i32 s24, s19, s24
	;; [unrolled: 1-line block ×4, first 2 shown]
	s_add_i32 s16, s10, s27
	s_lshl_b64 s[34:35], s[14:15], 2
	s_ashr_i32 s25, s24, 31
	s_ashr_i32 s29, s28, 31
	;; [unrolled: 1-line block ×3, first 2 shown]
	s_lshr_b32 s9, s16, s9
	v_lshlrev_b32_e32 v1, 3, v0
	s_mul_hi_i32 s21, s9, s20
	s_mul_i32 s20, s9, s20
	s_mov_b32 s8, s17
	v_mov_b32_e32 v8, 0
	v_mov_b32_e32 v9, v0
	;; [unrolled: 1-line block ×3, first 2 shown]
	s_waitcnt lgkmcnt(0)
	s_add_u32 s14, s2, s34
	s_addc_u32 s15, s3, s35
	s_lshl_b64 s[30:31], s[30:31], 2
	s_add_u32 s14, s14, s30
	s_addc_u32 s15, s15, s31
	s_lshl_b64 s[24:25], s[24:25], 2
	s_ashr_i32 s9, s17, 31
	s_add_i32 s16, s17, s17
	s_lshl_b64 s[20:21], s[20:21], 2
	s_lshl_b64 s[28:29], s[28:29], 2
	s_add_u32 s0, s0, s24
	s_addc_u32 s1, s1, s25
	s_add_u32 s0, s0, s28
	s_addc_u32 s1, s1, s29
	;; [unrolled: 2-line block ×3, first 2 shown]
	v_add_co_u32 v2, s0, s0, v1
	s_lshl_b64 s[8:9], s[8:9], 3
	v_add_co_ci_u32_e64 v3, null, s1, 0, s0
	s_add_u32 s0, s2, s30
	s_addc_u32 s1, s3, s31
	s_add_u32 s0, s0, s34
	s_addc_u32 s1, s1, s35
	v_add_co_u32 v4, s0, s0, v1
	v_add_co_ci_u32_e64 v6, null, s1, 0, s0
	v_add_co_u32 v1, s0, v2, 4
	v_add_co_ci_u32_e64 v2, null, 0, v3, s0
	;; [unrolled: 2-line block ×3, first 2 shown]
	v_mov_b32_e32 v6, 0
	s_inst_prefetch 0x1
	.p2align	6
.LBB43_10:                              ; =>This Inner Loop Header: Depth=1
	v_add_nc_u32_e32 v10, s16, v9
	v_add_co_u32 v12, s0, v3, s8
	v_add_co_ci_u32_e64 v13, null, s9, v4, s0
	v_ashrrev_i32_e32 v11, 31, v10
	v_add_nc_u32_e32 v9, 0x80, v9
	v_lshlrev_b64 v[10:11], 3, v[10:11]
	v_add_co_u32 v10, s0, s14, v10
	v_add_co_ci_u32_e64 v11, null, s15, v11, s0
	global_load_dwordx2 v[14:15], v[1:2], off offset:-4
	s_clause 0x1
	global_load_dwordx2 v[16:17], v[3:4], off offset:-4
	global_load_dwordx2 v[12:13], v[12:13], off offset:-4
	global_load_dwordx2 v[10:11], v[10:11], off
	v_add_co_u32 v1, s0, 0x400, v1
	v_add_co_ci_u32_e64 v2, null, 0, v2, s0
	v_add_co_u32 v3, s0, 0x400, v3
	v_add_co_ci_u32_e64 v4, null, 0, v4, s0
	v_cmp_le_i32_e64 s0, s12, v9
	s_or_b32 s11, s0, s11
	s_waitcnt vmcnt(2)
	v_fmac_f32_e32 v8, v14, v16
	s_waitcnt vmcnt(1)
	v_fmac_f32_e32 v7, v14, v12
	;; [unrolled: 2-line block ×3, first 2 shown]
	v_fmac_f32_e32 v8, v15, v17
	v_fmac_f32_e32 v7, v15, v13
	;; [unrolled: 1-line block ×3, first 2 shown]
	s_andn2_b32 exec_lo, exec_lo, s11
	s_cbranch_execnz .LBB43_10
; %bb.11:
	s_inst_prefetch 0x2
	s_or_b32 exec_lo, exec_lo, s11
.LBB43_12:
	s_or_b32 exec_lo, exec_lo, s13
	v_mbcnt_lo_u32_b32 v2, -1, 0
	v_xor_b32_e32 v1, 16, v2
	v_xor_b32_e32 v3, 8, v2
	v_cmp_gt_i32_e64 s0, 32, v1
	v_cndmask_b32_e64 v1, v2, v1, s0
	v_cmp_gt_i32_e64 s0, 32, v3
	v_lshlrev_b32_e32 v1, 2, v1
	v_cndmask_b32_e64 v3, v2, v3, s0
	ds_bpermute_b32 v4, v1, v8
	v_lshlrev_b32_e32 v3, 2, v3
	s_waitcnt lgkmcnt(0)
	v_add_f32_e32 v8, v8, v4
	v_xor_b32_e32 v4, 4, v2
	ds_bpermute_b32 v9, v3, v8
	v_cmp_gt_i32_e64 s0, 32, v4
	v_cndmask_b32_e64 v4, v2, v4, s0
	v_lshlrev_b32_e32 v4, 2, v4
	s_waitcnt lgkmcnt(0)
	v_add_f32_e32 v9, v8, v9
	v_xor_b32_e32 v8, 2, v2
	ds_bpermute_b32 v10, v4, v9
	v_cmp_gt_i32_e64 s0, 32, v8
	v_cndmask_b32_e64 v8, v2, v8, s0
	;; [unrolled: 7-line block ×3, first 2 shown]
	v_lshlrev_b32_e32 v9, 2, v2
	s_waitcnt lgkmcnt(0)
	v_add_f32_e32 v2, v10, v11
	v_lshrrev_b32_e32 v10, 3, v0
	ds_bpermute_b32 v11, v9, v2
	v_and_b32_e32 v10, 0x7c, v10
	v_add_nc_u32_e32 v10, 0, v10
	s_waitcnt lgkmcnt(0)
	v_add_f32_e32 v2, v2, v11
	ds_write_b32 v10, v2
	s_waitcnt lgkmcnt(0)
	s_barrier
	buffer_gl0_inv
	s_and_saveexec_b32 s0, vcc_lo
	s_cbranch_execz .LBB43_14
; %bb.13:
	ds_read_b32 v2, v5
	s_waitcnt lgkmcnt(0)
	ds_bpermute_b32 v11, v1, v2
	s_waitcnt lgkmcnt(0)
	v_add_f32_e32 v2, v2, v11
	ds_bpermute_b32 v11, v3, v2
	s_waitcnt lgkmcnt(0)
	v_add_f32_e32 v2, v2, v11
	;; [unrolled: 3-line block ×5, first 2 shown]
.LBB43_14:
	s_or_b32 exec_lo, exec_lo, s0
	ds_bpermute_b32 v11, v1, v7
	s_waitcnt lgkmcnt(0)
	s_barrier
	buffer_gl0_inv
	v_add_f32_e32 v7, v7, v11
	ds_bpermute_b32 v11, v3, v7
	s_waitcnt lgkmcnt(0)
	v_add_f32_e32 v7, v7, v11
	ds_bpermute_b32 v11, v4, v7
	s_waitcnt lgkmcnt(0)
	;; [unrolled: 3-line block ×4, first 2 shown]
	v_add_f32_e32 v7, v7, v11
	ds_write_b32 v10, v7
	s_waitcnt lgkmcnt(0)
	s_barrier
	buffer_gl0_inv
	s_and_saveexec_b32 s0, vcc_lo
	s_cbranch_execz .LBB43_16
; %bb.15:
	ds_read_b32 v7, v5
	s_waitcnt lgkmcnt(0)
	ds_bpermute_b32 v11, v1, v7
	s_waitcnt lgkmcnt(0)
	v_add_f32_e32 v7, v7, v11
	ds_bpermute_b32 v11, v3, v7
	s_waitcnt lgkmcnt(0)
	v_add_f32_e32 v7, v7, v11
	;; [unrolled: 3-line block ×5, first 2 shown]
.LBB43_16:
	s_or_b32 exec_lo, exec_lo, s0
	ds_bpermute_b32 v11, v1, v6
	s_waitcnt lgkmcnt(0)
	s_barrier
	buffer_gl0_inv
	v_add_f32_e32 v6, v6, v11
	ds_bpermute_b32 v11, v3, v6
	s_waitcnt lgkmcnt(0)
	v_add_f32_e32 v6, v6, v11
	ds_bpermute_b32 v11, v4, v6
	s_waitcnt lgkmcnt(0)
	v_add_f32_e32 v6, v6, v11
	ds_bpermute_b32 v11, v8, v6
	s_waitcnt lgkmcnt(0)
	v_add_f32_e32 v6, v6, v11
	ds_bpermute_b32 v11, v9, v6
	s_waitcnt lgkmcnt(0)
	v_add_f32_e32 v6, v6, v11
	ds_write_b32 v10, v6
	s_waitcnt lgkmcnt(0)
	s_barrier
	buffer_gl0_inv
	s_and_saveexec_b32 s0, vcc_lo
	s_cbranch_execz .LBB43_18
; %bb.17:
	ds_read_b32 v5, v5
	s_waitcnt lgkmcnt(0)
	ds_bpermute_b32 v1, v1, v5
	s_waitcnt lgkmcnt(0)
	v_add_f32_e32 v1, v5, v1
	ds_bpermute_b32 v3, v3, v1
	s_waitcnt lgkmcnt(0)
	v_add_f32_e32 v1, v1, v3
	;; [unrolled: 3-line block ×5, first 2 shown]
.LBB43_18:
	s_or_b32 exec_lo, exec_lo, s0
	s_barrier
	buffer_gl0_inv
	s_mov_b32 s0, exec_lo
	v_cmpx_gt_u32_e32 3, v0
	s_cbranch_execz .LBB43_20
; %bb.19:
	s_load_dwordx2 s[0:1], s[4:5], 0x38
	v_mad_u64_u32 v[3:4], null, s18, v0, s[6:7]
	v_cmp_eq_u32_e32 vcc_lo, 1, v0
	s_mul_hi_i32 s3, s22, s10
	s_mul_i32 s2, s22, s10
	s_mul_i32 s4, s26, s7
	s_lshl_b64 s[2:3], s[2:3], 2
	v_cndmask_b32_e32 v5, v2, v7, vcc_lo
	v_ashrrev_i32_e32 v4, 31, v3
	s_ashr_i32 s5, s4, 31
	v_cmp_eq_u32_e32 vcc_lo, 2, v0
	v_lshlrev_b64 v[1:2], 2, v[3:4]
	v_cndmask_b32_e32 v3, v5, v6, vcc_lo
	s_waitcnt lgkmcnt(0)
	s_add_u32 s2, s0, s2
	s_addc_u32 s3, s1, s3
	s_lshl_b64 s[0:1], s[4:5], 2
	s_add_u32 s0, s2, s0
	s_addc_u32 s1, s3, s1
	v_add_co_u32 v0, vcc_lo, s0, v1
	v_add_co_ci_u32_e64 v1, null, s1, v2, vcc_lo
	global_store_dword v[0:1], v3, off
.LBB43_20:
	s_endpgm
	.section	.rodata,"a",@progbits
	.p2align	6, 0x0
	.amdhsa_kernel _ZL13mul_mat_vec_fIffLi3ELi128ELb0ELb0EEvPKT_PKfPKi31ggml_cuda_mm_fusion_args_devicePfi15HIP_vector_typeIjLj3EEiiiSA_iiiSA_iiii
		.amdhsa_group_segment_fixed_size 0
		.amdhsa_private_segment_fixed_size 0
		.amdhsa_kernarg_size 144
		.amdhsa_user_sgpr_count 6
		.amdhsa_user_sgpr_private_segment_buffer 1
		.amdhsa_user_sgpr_dispatch_ptr 0
		.amdhsa_user_sgpr_queue_ptr 0
		.amdhsa_user_sgpr_kernarg_segment_ptr 1
		.amdhsa_user_sgpr_dispatch_id 0
		.amdhsa_user_sgpr_flat_scratch_init 0
		.amdhsa_user_sgpr_private_segment_size 0
		.amdhsa_wavefront_size32 1
		.amdhsa_uses_dynamic_stack 0
		.amdhsa_system_sgpr_private_segment_wavefront_offset 0
		.amdhsa_system_sgpr_workgroup_id_x 1
		.amdhsa_system_sgpr_workgroup_id_y 1
		.amdhsa_system_sgpr_workgroup_id_z 1
		.amdhsa_system_sgpr_workgroup_info 0
		.amdhsa_system_vgpr_workitem_id 0
		.amdhsa_next_free_vgpr 18
		.amdhsa_next_free_sgpr 36
		.amdhsa_reserve_vcc 1
		.amdhsa_reserve_flat_scratch 0
		.amdhsa_float_round_mode_32 0
		.amdhsa_float_round_mode_16_64 0
		.amdhsa_float_denorm_mode_32 3
		.amdhsa_float_denorm_mode_16_64 3
		.amdhsa_dx10_clamp 1
		.amdhsa_ieee_mode 1
		.amdhsa_fp16_overflow 0
		.amdhsa_workgroup_processor_mode 1
		.amdhsa_memory_ordered 1
		.amdhsa_forward_progress 1
		.amdhsa_shared_vgpr_count 0
		.amdhsa_exception_fp_ieee_invalid_op 0
		.amdhsa_exception_fp_denorm_src 0
		.amdhsa_exception_fp_ieee_div_zero 0
		.amdhsa_exception_fp_ieee_overflow 0
		.amdhsa_exception_fp_ieee_underflow 0
		.amdhsa_exception_fp_ieee_inexact 0
		.amdhsa_exception_int_div_zero 0
	.end_amdhsa_kernel
	.section	.text._ZL13mul_mat_vec_fIffLi3ELi128ELb0ELb0EEvPKT_PKfPKi31ggml_cuda_mm_fusion_args_devicePfi15HIP_vector_typeIjLj3EEiiiSA_iiiSA_iiii,"axG",@progbits,_ZL13mul_mat_vec_fIffLi3ELi128ELb0ELb0EEvPKT_PKfPKi31ggml_cuda_mm_fusion_args_devicePfi15HIP_vector_typeIjLj3EEiiiSA_iiiSA_iiii,comdat
.Lfunc_end43:
	.size	_ZL13mul_mat_vec_fIffLi3ELi128ELb0ELb0EEvPKT_PKfPKi31ggml_cuda_mm_fusion_args_devicePfi15HIP_vector_typeIjLj3EEiiiSA_iiiSA_iiii, .Lfunc_end43-_ZL13mul_mat_vec_fIffLi3ELi128ELb0ELb0EEvPKT_PKfPKi31ggml_cuda_mm_fusion_args_devicePfi15HIP_vector_typeIjLj3EEiiiSA_iiiSA_iiii
                                        ; -- End function
	.set _ZL13mul_mat_vec_fIffLi3ELi128ELb0ELb0EEvPKT_PKfPKi31ggml_cuda_mm_fusion_args_devicePfi15HIP_vector_typeIjLj3EEiiiSA_iiiSA_iiii.num_vgpr, 18
	.set _ZL13mul_mat_vec_fIffLi3ELi128ELb0ELb0EEvPKT_PKfPKi31ggml_cuda_mm_fusion_args_devicePfi15HIP_vector_typeIjLj3EEiiiSA_iiiSA_iiii.num_agpr, 0
	.set _ZL13mul_mat_vec_fIffLi3ELi128ELb0ELb0EEvPKT_PKfPKi31ggml_cuda_mm_fusion_args_devicePfi15HIP_vector_typeIjLj3EEiiiSA_iiiSA_iiii.numbered_sgpr, 36
	.set _ZL13mul_mat_vec_fIffLi3ELi128ELb0ELb0EEvPKT_PKfPKi31ggml_cuda_mm_fusion_args_devicePfi15HIP_vector_typeIjLj3EEiiiSA_iiiSA_iiii.num_named_barrier, 0
	.set _ZL13mul_mat_vec_fIffLi3ELi128ELb0ELb0EEvPKT_PKfPKi31ggml_cuda_mm_fusion_args_devicePfi15HIP_vector_typeIjLj3EEiiiSA_iiiSA_iiii.private_seg_size, 0
	.set _ZL13mul_mat_vec_fIffLi3ELi128ELb0ELb0EEvPKT_PKfPKi31ggml_cuda_mm_fusion_args_devicePfi15HIP_vector_typeIjLj3EEiiiSA_iiiSA_iiii.uses_vcc, 1
	.set _ZL13mul_mat_vec_fIffLi3ELi128ELb0ELb0EEvPKT_PKfPKi31ggml_cuda_mm_fusion_args_devicePfi15HIP_vector_typeIjLj3EEiiiSA_iiiSA_iiii.uses_flat_scratch, 0
	.set _ZL13mul_mat_vec_fIffLi3ELi128ELb0ELb0EEvPKT_PKfPKi31ggml_cuda_mm_fusion_args_devicePfi15HIP_vector_typeIjLj3EEiiiSA_iiiSA_iiii.has_dyn_sized_stack, 0
	.set _ZL13mul_mat_vec_fIffLi3ELi128ELb0ELb0EEvPKT_PKfPKi31ggml_cuda_mm_fusion_args_devicePfi15HIP_vector_typeIjLj3EEiiiSA_iiiSA_iiii.has_recursion, 0
	.set _ZL13mul_mat_vec_fIffLi3ELi128ELb0ELb0EEvPKT_PKfPKi31ggml_cuda_mm_fusion_args_devicePfi15HIP_vector_typeIjLj3EEiiiSA_iiiSA_iiii.has_indirect_call, 0
	.section	.AMDGPU.csdata,"",@progbits
; Kernel info:
; codeLenInByte = 1644
; TotalNumSgprs: 38
; NumVgprs: 18
; ScratchSize: 0
; MemoryBound: 0
; FloatMode: 240
; IeeeMode: 1
; LDSByteSize: 0 bytes/workgroup (compile time only)
; SGPRBlocks: 0
; VGPRBlocks: 2
; NumSGPRsForWavesPerEU: 38
; NumVGPRsForWavesPerEU: 18
; Occupancy: 16
; WaveLimiterHint : 0
; COMPUTE_PGM_RSRC2:SCRATCH_EN: 0
; COMPUTE_PGM_RSRC2:USER_SGPR: 6
; COMPUTE_PGM_RSRC2:TRAP_HANDLER: 0
; COMPUTE_PGM_RSRC2:TGID_X_EN: 1
; COMPUTE_PGM_RSRC2:TGID_Y_EN: 1
; COMPUTE_PGM_RSRC2:TGID_Z_EN: 1
; COMPUTE_PGM_RSRC2:TIDIG_COMP_CNT: 0
	.section	.text._ZL13mul_mat_vec_fIffLi3ELi160ELb0ELb0EEvPKT_PKfPKi31ggml_cuda_mm_fusion_args_devicePfi15HIP_vector_typeIjLj3EEiiiSA_iiiSA_iiii,"axG",@progbits,_ZL13mul_mat_vec_fIffLi3ELi160ELb0ELb0EEvPKT_PKfPKi31ggml_cuda_mm_fusion_args_devicePfi15HIP_vector_typeIjLj3EEiiiSA_iiiSA_iiii,comdat
	.globl	_ZL13mul_mat_vec_fIffLi3ELi160ELb0ELb0EEvPKT_PKfPKi31ggml_cuda_mm_fusion_args_devicePfi15HIP_vector_typeIjLj3EEiiiSA_iiiSA_iiii ; -- Begin function _ZL13mul_mat_vec_fIffLi3ELi160ELb0ELb0EEvPKT_PKfPKi31ggml_cuda_mm_fusion_args_devicePfi15HIP_vector_typeIjLj3EEiiiSA_iiiSA_iiii
	.p2align	8
	.type	_ZL13mul_mat_vec_fIffLi3ELi160ELb0ELb0EEvPKT_PKfPKi31ggml_cuda_mm_fusion_args_devicePfi15HIP_vector_typeIjLj3EEiiiSA_iiiSA_iiii,@function
_ZL13mul_mat_vec_fIffLi3ELi160ELb0ELb0EEvPKT_PKfPKi31ggml_cuda_mm_fusion_args_devicePfi15HIP_vector_typeIjLj3EEiiiSA_iiiSA_iiii: ; @_ZL13mul_mat_vec_fIffLi3ELi160ELb0ELb0EEvPKT_PKfPKi31ggml_cuda_mm_fusion_args_devicePfi15HIP_vector_typeIjLj3EEiiiSA_iiiSA_iiii
; %bb.0:
	s_clause 0x2
	s_load_dwordx2 s[0:1], s[4:5], 0x10
	s_load_dwordx8 s[12:19], s[4:5], 0x40
	s_load_dwordx4 s[20:23], s[4:5], 0x80
	s_waitcnt lgkmcnt(0)
	s_cmp_eq_u64 s[0:1], 0
	s_cselect_b32 s10, -1, 0
	s_cmp_lg_u64 s[0:1], 0
	s_cselect_b32 s9, -1, 0
	s_and_b32 vcc_lo, exec_lo, s10
	s_cbranch_vccnz .LBB44_2
; %bb.1:
	s_mul_i32 s2, s23, s8
	s_mov_b32 s3, 0
	s_add_i32 s2, s2, s7
	s_lshl_b64 s[24:25], s[2:3], 2
	s_add_u32 s0, s0, s24
	s_addc_u32 s1, s1, s25
	s_load_dword s19, s[0:1], 0x0
	s_cbranch_execz .LBB44_3
	s_branch .LBB44_4
.LBB44_2:
                                        ; implicit-def: $sgpr19
.LBB44_3:
	s_load_dwordx2 s[0:1], s[4:5], 0x5c
	s_waitcnt lgkmcnt(0)
	s_mul_hi_u32 s0, s0, s7
	s_add_i32 s0, s7, s0
	s_lshr_b32 s19, s0, s1
.LBB44_4:
	s_load_dwordx4 s[24:27], s[4:5], 0x68
	s_andn2_b32 vcc_lo, exec_lo, s9
	s_mov_b32 s23, s7
	s_cbranch_vccnz .LBB44_6
; %bb.5:
	s_mul_hi_u32 s0, s13, s7
	s_add_i32 s0, s7, s0
	s_lshr_b32 s0, s0, s14
	s_mul_i32 s0, s0, s15
	s_sub_i32 s23, s7, s0
.LBB44_6:
	s_load_dword s9, s[4:5], 0x78
	v_cmp_gt_u32_e32 vcc_lo, 32, v0
	v_lshl_add_u32 v5, v0, 2, 0
	s_and_saveexec_b32 s0, vcc_lo
; %bb.7:
	v_mov_b32_e32 v1, 0
	ds_write_b32 v5, v1
; %bb.8:
	s_or_b32 exec_lo, exec_lo, s0
	v_mov_b32_e32 v6, 0
	v_mov_b32_e32 v7, 0
	;; [unrolled: 1-line block ×3, first 2 shown]
	s_and_b32 s0, exec_lo, s10
	s_mov_b32 s11, 0
	s_cselect_b32 s10, s8, 0
	s_mov_b32 s13, exec_lo
	s_waitcnt lgkmcnt(0)
	s_barrier
	buffer_gl0_inv
	v_cmpx_gt_i32_e64 s12, v0
	s_cbranch_execz .LBB44_12
; %bb.9:
	s_load_dwordx4 s[0:3], s[4:5], 0x0
	s_mul_hi_u32 s27, s27, s10
	s_mul_hi_i32 s15, s21, s10
	s_mul_i32 s14, s21, s10
	s_mul_i32 s24, s19, s24
	;; [unrolled: 1-line block ×4, first 2 shown]
	s_add_i32 s16, s10, s27
	s_lshl_b64 s[34:35], s[14:15], 2
	s_ashr_i32 s25, s24, 31
	s_ashr_i32 s29, s28, 31
	;; [unrolled: 1-line block ×3, first 2 shown]
	s_lshr_b32 s9, s16, s9
	v_lshlrev_b32_e32 v1, 3, v0
	s_mul_hi_i32 s21, s9, s20
	s_mul_i32 s20, s9, s20
	s_mov_b32 s8, s17
	v_mov_b32_e32 v8, 0
	v_mov_b32_e32 v9, v0
	;; [unrolled: 1-line block ×3, first 2 shown]
	s_waitcnt lgkmcnt(0)
	s_add_u32 s14, s2, s34
	s_addc_u32 s15, s3, s35
	s_lshl_b64 s[30:31], s[30:31], 2
	s_add_u32 s14, s14, s30
	s_addc_u32 s15, s15, s31
	s_lshl_b64 s[24:25], s[24:25], 2
	s_ashr_i32 s9, s17, 31
	s_add_i32 s16, s17, s17
	s_lshl_b64 s[20:21], s[20:21], 2
	s_lshl_b64 s[28:29], s[28:29], 2
	s_add_u32 s0, s0, s24
	s_addc_u32 s1, s1, s25
	s_add_u32 s0, s0, s28
	s_addc_u32 s1, s1, s29
	;; [unrolled: 2-line block ×3, first 2 shown]
	v_add_co_u32 v2, s0, s0, v1
	s_lshl_b64 s[8:9], s[8:9], 3
	v_add_co_ci_u32_e64 v3, null, s1, 0, s0
	s_add_u32 s0, s2, s30
	s_addc_u32 s1, s3, s31
	s_add_u32 s0, s0, s34
	s_addc_u32 s1, s1, s35
	v_add_co_u32 v4, s0, s0, v1
	v_add_co_ci_u32_e64 v6, null, s1, 0, s0
	v_add_co_u32 v1, s0, v2, 4
	v_add_co_ci_u32_e64 v2, null, 0, v3, s0
	;; [unrolled: 2-line block ×3, first 2 shown]
	v_mov_b32_e32 v6, 0
	s_inst_prefetch 0x1
	.p2align	6
.LBB44_10:                              ; =>This Inner Loop Header: Depth=1
	v_add_nc_u32_e32 v10, s16, v9
	v_add_co_u32 v12, s0, v3, s8
	v_add_co_ci_u32_e64 v13, null, s9, v4, s0
	v_ashrrev_i32_e32 v11, 31, v10
	v_add_nc_u32_e32 v9, 0xa0, v9
	v_lshlrev_b64 v[10:11], 3, v[10:11]
	v_add_co_u32 v10, s0, s14, v10
	v_add_co_ci_u32_e64 v11, null, s15, v11, s0
	global_load_dwordx2 v[14:15], v[1:2], off offset:-4
	s_clause 0x1
	global_load_dwordx2 v[16:17], v[3:4], off offset:-4
	global_load_dwordx2 v[12:13], v[12:13], off offset:-4
	global_load_dwordx2 v[10:11], v[10:11], off
	v_add_co_u32 v1, s0, 0x500, v1
	v_add_co_ci_u32_e64 v2, null, 0, v2, s0
	v_add_co_u32 v3, s0, 0x500, v3
	v_add_co_ci_u32_e64 v4, null, 0, v4, s0
	v_cmp_le_i32_e64 s0, s12, v9
	s_or_b32 s11, s0, s11
	s_waitcnt vmcnt(2)
	v_fmac_f32_e32 v8, v14, v16
	s_waitcnt vmcnt(1)
	v_fmac_f32_e32 v7, v14, v12
	;; [unrolled: 2-line block ×3, first 2 shown]
	v_fmac_f32_e32 v8, v15, v17
	v_fmac_f32_e32 v7, v15, v13
	;; [unrolled: 1-line block ×3, first 2 shown]
	s_andn2_b32 exec_lo, exec_lo, s11
	s_cbranch_execnz .LBB44_10
; %bb.11:
	s_inst_prefetch 0x2
	s_or_b32 exec_lo, exec_lo, s11
.LBB44_12:
	s_or_b32 exec_lo, exec_lo, s13
	v_mbcnt_lo_u32_b32 v2, -1, 0
	v_xor_b32_e32 v1, 16, v2
	v_xor_b32_e32 v3, 8, v2
	v_cmp_gt_i32_e64 s0, 32, v1
	v_cndmask_b32_e64 v1, v2, v1, s0
	v_cmp_gt_i32_e64 s0, 32, v3
	v_lshlrev_b32_e32 v1, 2, v1
	v_cndmask_b32_e64 v3, v2, v3, s0
	ds_bpermute_b32 v4, v1, v8
	v_lshlrev_b32_e32 v3, 2, v3
	s_waitcnt lgkmcnt(0)
	v_add_f32_e32 v8, v8, v4
	v_xor_b32_e32 v4, 4, v2
	ds_bpermute_b32 v9, v3, v8
	v_cmp_gt_i32_e64 s0, 32, v4
	v_cndmask_b32_e64 v4, v2, v4, s0
	v_lshlrev_b32_e32 v4, 2, v4
	s_waitcnt lgkmcnt(0)
	v_add_f32_e32 v9, v8, v9
	v_xor_b32_e32 v8, 2, v2
	ds_bpermute_b32 v10, v4, v9
	v_cmp_gt_i32_e64 s0, 32, v8
	v_cndmask_b32_e64 v8, v2, v8, s0
	;; [unrolled: 7-line block ×3, first 2 shown]
	v_lshlrev_b32_e32 v9, 2, v2
	s_waitcnt lgkmcnt(0)
	v_add_f32_e32 v2, v10, v11
	v_lshrrev_b32_e32 v10, 3, v0
	ds_bpermute_b32 v11, v9, v2
	v_and_b32_e32 v10, 0x7c, v10
	v_add_nc_u32_e32 v10, 0, v10
	s_waitcnt lgkmcnt(0)
	v_add_f32_e32 v2, v2, v11
	ds_write_b32 v10, v2
	s_waitcnt lgkmcnt(0)
	s_barrier
	buffer_gl0_inv
	s_and_saveexec_b32 s0, vcc_lo
	s_cbranch_execz .LBB44_14
; %bb.13:
	ds_read_b32 v2, v5
	s_waitcnt lgkmcnt(0)
	ds_bpermute_b32 v11, v1, v2
	s_waitcnt lgkmcnt(0)
	v_add_f32_e32 v2, v2, v11
	ds_bpermute_b32 v11, v3, v2
	s_waitcnt lgkmcnt(0)
	v_add_f32_e32 v2, v2, v11
	;; [unrolled: 3-line block ×5, first 2 shown]
.LBB44_14:
	s_or_b32 exec_lo, exec_lo, s0
	ds_bpermute_b32 v11, v1, v7
	s_waitcnt lgkmcnt(0)
	s_barrier
	buffer_gl0_inv
	v_add_f32_e32 v7, v7, v11
	ds_bpermute_b32 v11, v3, v7
	s_waitcnt lgkmcnt(0)
	v_add_f32_e32 v7, v7, v11
	ds_bpermute_b32 v11, v4, v7
	s_waitcnt lgkmcnt(0)
	;; [unrolled: 3-line block ×4, first 2 shown]
	v_add_f32_e32 v7, v7, v11
	ds_write_b32 v10, v7
	s_waitcnt lgkmcnt(0)
	s_barrier
	buffer_gl0_inv
	s_and_saveexec_b32 s0, vcc_lo
	s_cbranch_execz .LBB44_16
; %bb.15:
	ds_read_b32 v7, v5
	s_waitcnt lgkmcnt(0)
	ds_bpermute_b32 v11, v1, v7
	s_waitcnt lgkmcnt(0)
	v_add_f32_e32 v7, v7, v11
	ds_bpermute_b32 v11, v3, v7
	s_waitcnt lgkmcnt(0)
	v_add_f32_e32 v7, v7, v11
	ds_bpermute_b32 v11, v4, v7
	s_waitcnt lgkmcnt(0)
	v_add_f32_e32 v7, v7, v11
	ds_bpermute_b32 v11, v8, v7
	s_waitcnt lgkmcnt(0)
	v_add_f32_e32 v7, v7, v11
	ds_bpermute_b32 v11, v9, v7
	s_waitcnt lgkmcnt(0)
	v_add_f32_e32 v7, v7, v11
.LBB44_16:
	s_or_b32 exec_lo, exec_lo, s0
	ds_bpermute_b32 v11, v1, v6
	s_waitcnt lgkmcnt(0)
	s_barrier
	buffer_gl0_inv
	v_add_f32_e32 v6, v6, v11
	ds_bpermute_b32 v11, v3, v6
	s_waitcnt lgkmcnt(0)
	v_add_f32_e32 v6, v6, v11
	ds_bpermute_b32 v11, v4, v6
	s_waitcnt lgkmcnt(0)
	;; [unrolled: 3-line block ×4, first 2 shown]
	v_add_f32_e32 v6, v6, v11
	ds_write_b32 v10, v6
	s_waitcnt lgkmcnt(0)
	s_barrier
	buffer_gl0_inv
	s_and_saveexec_b32 s0, vcc_lo
	s_cbranch_execz .LBB44_18
; %bb.17:
	ds_read_b32 v5, v5
	s_waitcnt lgkmcnt(0)
	ds_bpermute_b32 v1, v1, v5
	s_waitcnt lgkmcnt(0)
	v_add_f32_e32 v1, v5, v1
	ds_bpermute_b32 v3, v3, v1
	s_waitcnt lgkmcnt(0)
	v_add_f32_e32 v1, v1, v3
	;; [unrolled: 3-line block ×5, first 2 shown]
.LBB44_18:
	s_or_b32 exec_lo, exec_lo, s0
	s_barrier
	buffer_gl0_inv
	s_mov_b32 s0, exec_lo
	v_cmpx_gt_u32_e32 3, v0
	s_cbranch_execz .LBB44_20
; %bb.19:
	s_load_dwordx2 s[0:1], s[4:5], 0x38
	v_mad_u64_u32 v[3:4], null, s18, v0, s[6:7]
	v_cmp_eq_u32_e32 vcc_lo, 1, v0
	s_mul_hi_i32 s3, s22, s10
	s_mul_i32 s2, s22, s10
	s_mul_i32 s4, s26, s7
	s_lshl_b64 s[2:3], s[2:3], 2
	v_cndmask_b32_e32 v5, v2, v7, vcc_lo
	v_ashrrev_i32_e32 v4, 31, v3
	s_ashr_i32 s5, s4, 31
	v_cmp_eq_u32_e32 vcc_lo, 2, v0
	v_lshlrev_b64 v[1:2], 2, v[3:4]
	v_cndmask_b32_e32 v3, v5, v6, vcc_lo
	s_waitcnt lgkmcnt(0)
	s_add_u32 s2, s0, s2
	s_addc_u32 s3, s1, s3
	s_lshl_b64 s[0:1], s[4:5], 2
	s_add_u32 s0, s2, s0
	s_addc_u32 s1, s3, s1
	v_add_co_u32 v0, vcc_lo, s0, v1
	v_add_co_ci_u32_e64 v1, null, s1, v2, vcc_lo
	global_store_dword v[0:1], v3, off
.LBB44_20:
	s_endpgm
	.section	.rodata,"a",@progbits
	.p2align	6, 0x0
	.amdhsa_kernel _ZL13mul_mat_vec_fIffLi3ELi160ELb0ELb0EEvPKT_PKfPKi31ggml_cuda_mm_fusion_args_devicePfi15HIP_vector_typeIjLj3EEiiiSA_iiiSA_iiii
		.amdhsa_group_segment_fixed_size 0
		.amdhsa_private_segment_fixed_size 0
		.amdhsa_kernarg_size 144
		.amdhsa_user_sgpr_count 6
		.amdhsa_user_sgpr_private_segment_buffer 1
		.amdhsa_user_sgpr_dispatch_ptr 0
		.amdhsa_user_sgpr_queue_ptr 0
		.amdhsa_user_sgpr_kernarg_segment_ptr 1
		.amdhsa_user_sgpr_dispatch_id 0
		.amdhsa_user_sgpr_flat_scratch_init 0
		.amdhsa_user_sgpr_private_segment_size 0
		.amdhsa_wavefront_size32 1
		.amdhsa_uses_dynamic_stack 0
		.amdhsa_system_sgpr_private_segment_wavefront_offset 0
		.amdhsa_system_sgpr_workgroup_id_x 1
		.amdhsa_system_sgpr_workgroup_id_y 1
		.amdhsa_system_sgpr_workgroup_id_z 1
		.amdhsa_system_sgpr_workgroup_info 0
		.amdhsa_system_vgpr_workitem_id 0
		.amdhsa_next_free_vgpr 18
		.amdhsa_next_free_sgpr 36
		.amdhsa_reserve_vcc 1
		.amdhsa_reserve_flat_scratch 0
		.amdhsa_float_round_mode_32 0
		.amdhsa_float_round_mode_16_64 0
		.amdhsa_float_denorm_mode_32 3
		.amdhsa_float_denorm_mode_16_64 3
		.amdhsa_dx10_clamp 1
		.amdhsa_ieee_mode 1
		.amdhsa_fp16_overflow 0
		.amdhsa_workgroup_processor_mode 1
		.amdhsa_memory_ordered 1
		.amdhsa_forward_progress 1
		.amdhsa_shared_vgpr_count 0
		.amdhsa_exception_fp_ieee_invalid_op 0
		.amdhsa_exception_fp_denorm_src 0
		.amdhsa_exception_fp_ieee_div_zero 0
		.amdhsa_exception_fp_ieee_overflow 0
		.amdhsa_exception_fp_ieee_underflow 0
		.amdhsa_exception_fp_ieee_inexact 0
		.amdhsa_exception_int_div_zero 0
	.end_amdhsa_kernel
	.section	.text._ZL13mul_mat_vec_fIffLi3ELi160ELb0ELb0EEvPKT_PKfPKi31ggml_cuda_mm_fusion_args_devicePfi15HIP_vector_typeIjLj3EEiiiSA_iiiSA_iiii,"axG",@progbits,_ZL13mul_mat_vec_fIffLi3ELi160ELb0ELb0EEvPKT_PKfPKi31ggml_cuda_mm_fusion_args_devicePfi15HIP_vector_typeIjLj3EEiiiSA_iiiSA_iiii,comdat
.Lfunc_end44:
	.size	_ZL13mul_mat_vec_fIffLi3ELi160ELb0ELb0EEvPKT_PKfPKi31ggml_cuda_mm_fusion_args_devicePfi15HIP_vector_typeIjLj3EEiiiSA_iiiSA_iiii, .Lfunc_end44-_ZL13mul_mat_vec_fIffLi3ELi160ELb0ELb0EEvPKT_PKfPKi31ggml_cuda_mm_fusion_args_devicePfi15HIP_vector_typeIjLj3EEiiiSA_iiiSA_iiii
                                        ; -- End function
	.set _ZL13mul_mat_vec_fIffLi3ELi160ELb0ELb0EEvPKT_PKfPKi31ggml_cuda_mm_fusion_args_devicePfi15HIP_vector_typeIjLj3EEiiiSA_iiiSA_iiii.num_vgpr, 18
	.set _ZL13mul_mat_vec_fIffLi3ELi160ELb0ELb0EEvPKT_PKfPKi31ggml_cuda_mm_fusion_args_devicePfi15HIP_vector_typeIjLj3EEiiiSA_iiiSA_iiii.num_agpr, 0
	.set _ZL13mul_mat_vec_fIffLi3ELi160ELb0ELb0EEvPKT_PKfPKi31ggml_cuda_mm_fusion_args_devicePfi15HIP_vector_typeIjLj3EEiiiSA_iiiSA_iiii.numbered_sgpr, 36
	.set _ZL13mul_mat_vec_fIffLi3ELi160ELb0ELb0EEvPKT_PKfPKi31ggml_cuda_mm_fusion_args_devicePfi15HIP_vector_typeIjLj3EEiiiSA_iiiSA_iiii.num_named_barrier, 0
	.set _ZL13mul_mat_vec_fIffLi3ELi160ELb0ELb0EEvPKT_PKfPKi31ggml_cuda_mm_fusion_args_devicePfi15HIP_vector_typeIjLj3EEiiiSA_iiiSA_iiii.private_seg_size, 0
	.set _ZL13mul_mat_vec_fIffLi3ELi160ELb0ELb0EEvPKT_PKfPKi31ggml_cuda_mm_fusion_args_devicePfi15HIP_vector_typeIjLj3EEiiiSA_iiiSA_iiii.uses_vcc, 1
	.set _ZL13mul_mat_vec_fIffLi3ELi160ELb0ELb0EEvPKT_PKfPKi31ggml_cuda_mm_fusion_args_devicePfi15HIP_vector_typeIjLj3EEiiiSA_iiiSA_iiii.uses_flat_scratch, 0
	.set _ZL13mul_mat_vec_fIffLi3ELi160ELb0ELb0EEvPKT_PKfPKi31ggml_cuda_mm_fusion_args_devicePfi15HIP_vector_typeIjLj3EEiiiSA_iiiSA_iiii.has_dyn_sized_stack, 0
	.set _ZL13mul_mat_vec_fIffLi3ELi160ELb0ELb0EEvPKT_PKfPKi31ggml_cuda_mm_fusion_args_devicePfi15HIP_vector_typeIjLj3EEiiiSA_iiiSA_iiii.has_recursion, 0
	.set _ZL13mul_mat_vec_fIffLi3ELi160ELb0ELb0EEvPKT_PKfPKi31ggml_cuda_mm_fusion_args_devicePfi15HIP_vector_typeIjLj3EEiiiSA_iiiSA_iiii.has_indirect_call, 0
	.section	.AMDGPU.csdata,"",@progbits
; Kernel info:
; codeLenInByte = 1644
; TotalNumSgprs: 38
; NumVgprs: 18
; ScratchSize: 0
; MemoryBound: 0
; FloatMode: 240
; IeeeMode: 1
; LDSByteSize: 0 bytes/workgroup (compile time only)
; SGPRBlocks: 0
; VGPRBlocks: 2
; NumSGPRsForWavesPerEU: 38
; NumVGPRsForWavesPerEU: 18
; Occupancy: 16
; WaveLimiterHint : 0
; COMPUTE_PGM_RSRC2:SCRATCH_EN: 0
; COMPUTE_PGM_RSRC2:USER_SGPR: 6
; COMPUTE_PGM_RSRC2:TRAP_HANDLER: 0
; COMPUTE_PGM_RSRC2:TGID_X_EN: 1
; COMPUTE_PGM_RSRC2:TGID_Y_EN: 1
; COMPUTE_PGM_RSRC2:TGID_Z_EN: 1
; COMPUTE_PGM_RSRC2:TIDIG_COMP_CNT: 0
	.section	.text._ZL13mul_mat_vec_fIffLi3ELi192ELb0ELb0EEvPKT_PKfPKi31ggml_cuda_mm_fusion_args_devicePfi15HIP_vector_typeIjLj3EEiiiSA_iiiSA_iiii,"axG",@progbits,_ZL13mul_mat_vec_fIffLi3ELi192ELb0ELb0EEvPKT_PKfPKi31ggml_cuda_mm_fusion_args_devicePfi15HIP_vector_typeIjLj3EEiiiSA_iiiSA_iiii,comdat
	.globl	_ZL13mul_mat_vec_fIffLi3ELi192ELb0ELb0EEvPKT_PKfPKi31ggml_cuda_mm_fusion_args_devicePfi15HIP_vector_typeIjLj3EEiiiSA_iiiSA_iiii ; -- Begin function _ZL13mul_mat_vec_fIffLi3ELi192ELb0ELb0EEvPKT_PKfPKi31ggml_cuda_mm_fusion_args_devicePfi15HIP_vector_typeIjLj3EEiiiSA_iiiSA_iiii
	.p2align	8
	.type	_ZL13mul_mat_vec_fIffLi3ELi192ELb0ELb0EEvPKT_PKfPKi31ggml_cuda_mm_fusion_args_devicePfi15HIP_vector_typeIjLj3EEiiiSA_iiiSA_iiii,@function
_ZL13mul_mat_vec_fIffLi3ELi192ELb0ELb0EEvPKT_PKfPKi31ggml_cuda_mm_fusion_args_devicePfi15HIP_vector_typeIjLj3EEiiiSA_iiiSA_iiii: ; @_ZL13mul_mat_vec_fIffLi3ELi192ELb0ELb0EEvPKT_PKfPKi31ggml_cuda_mm_fusion_args_devicePfi15HIP_vector_typeIjLj3EEiiiSA_iiiSA_iiii
; %bb.0:
	s_clause 0x2
	s_load_dwordx2 s[0:1], s[4:5], 0x10
	s_load_dwordx8 s[12:19], s[4:5], 0x40
	s_load_dwordx4 s[20:23], s[4:5], 0x80
	s_waitcnt lgkmcnt(0)
	s_cmp_eq_u64 s[0:1], 0
	s_cselect_b32 s10, -1, 0
	s_cmp_lg_u64 s[0:1], 0
	s_cselect_b32 s9, -1, 0
	s_and_b32 vcc_lo, exec_lo, s10
	s_cbranch_vccnz .LBB45_2
; %bb.1:
	s_mul_i32 s2, s23, s8
	s_mov_b32 s3, 0
	s_add_i32 s2, s2, s7
	s_lshl_b64 s[24:25], s[2:3], 2
	s_add_u32 s0, s0, s24
	s_addc_u32 s1, s1, s25
	s_load_dword s19, s[0:1], 0x0
	s_cbranch_execz .LBB45_3
	s_branch .LBB45_4
.LBB45_2:
                                        ; implicit-def: $sgpr19
.LBB45_3:
	s_load_dwordx2 s[0:1], s[4:5], 0x5c
	s_waitcnt lgkmcnt(0)
	s_mul_hi_u32 s0, s0, s7
	s_add_i32 s0, s7, s0
	s_lshr_b32 s19, s0, s1
.LBB45_4:
	s_load_dwordx4 s[24:27], s[4:5], 0x68
	s_andn2_b32 vcc_lo, exec_lo, s9
	s_mov_b32 s23, s7
	s_cbranch_vccnz .LBB45_6
; %bb.5:
	s_mul_hi_u32 s0, s13, s7
	s_add_i32 s0, s7, s0
	s_lshr_b32 s0, s0, s14
	s_mul_i32 s0, s0, s15
	s_sub_i32 s23, s7, s0
.LBB45_6:
	s_load_dword s9, s[4:5], 0x78
	v_cmp_gt_u32_e32 vcc_lo, 32, v0
	v_lshl_add_u32 v5, v0, 2, 0
	s_and_saveexec_b32 s0, vcc_lo
; %bb.7:
	v_mov_b32_e32 v1, 0
	ds_write_b32 v5, v1
; %bb.8:
	s_or_b32 exec_lo, exec_lo, s0
	v_mov_b32_e32 v6, 0
	v_mov_b32_e32 v7, 0
	;; [unrolled: 1-line block ×3, first 2 shown]
	s_and_b32 s0, exec_lo, s10
	s_mov_b32 s11, 0
	s_cselect_b32 s10, s8, 0
	s_mov_b32 s13, exec_lo
	s_waitcnt lgkmcnt(0)
	s_barrier
	buffer_gl0_inv
	v_cmpx_gt_i32_e64 s12, v0
	s_cbranch_execz .LBB45_12
; %bb.9:
	s_load_dwordx4 s[0:3], s[4:5], 0x0
	s_mul_hi_u32 s27, s27, s10
	s_mul_hi_i32 s15, s21, s10
	s_mul_i32 s14, s21, s10
	s_mul_i32 s24, s19, s24
	;; [unrolled: 1-line block ×4, first 2 shown]
	s_add_i32 s16, s10, s27
	s_lshl_b64 s[34:35], s[14:15], 2
	s_ashr_i32 s25, s24, 31
	s_ashr_i32 s29, s28, 31
	;; [unrolled: 1-line block ×3, first 2 shown]
	s_lshr_b32 s9, s16, s9
	v_lshlrev_b32_e32 v1, 3, v0
	s_mul_hi_i32 s21, s9, s20
	s_mul_i32 s20, s9, s20
	s_mov_b32 s8, s17
	v_mov_b32_e32 v8, 0
	v_mov_b32_e32 v9, v0
	;; [unrolled: 1-line block ×3, first 2 shown]
	s_waitcnt lgkmcnt(0)
	s_add_u32 s14, s2, s34
	s_addc_u32 s15, s3, s35
	s_lshl_b64 s[30:31], s[30:31], 2
	s_add_u32 s14, s14, s30
	s_addc_u32 s15, s15, s31
	s_lshl_b64 s[24:25], s[24:25], 2
	s_ashr_i32 s9, s17, 31
	s_add_i32 s16, s17, s17
	s_lshl_b64 s[20:21], s[20:21], 2
	s_lshl_b64 s[28:29], s[28:29], 2
	s_add_u32 s0, s0, s24
	s_addc_u32 s1, s1, s25
	s_add_u32 s0, s0, s28
	s_addc_u32 s1, s1, s29
	;; [unrolled: 2-line block ×3, first 2 shown]
	v_add_co_u32 v2, s0, s0, v1
	s_lshl_b64 s[8:9], s[8:9], 3
	v_add_co_ci_u32_e64 v3, null, s1, 0, s0
	s_add_u32 s0, s2, s30
	s_addc_u32 s1, s3, s31
	s_add_u32 s0, s0, s34
	s_addc_u32 s1, s1, s35
	v_add_co_u32 v4, s0, s0, v1
	v_add_co_ci_u32_e64 v6, null, s1, 0, s0
	v_add_co_u32 v1, s0, v2, 4
	v_add_co_ci_u32_e64 v2, null, 0, v3, s0
	;; [unrolled: 2-line block ×3, first 2 shown]
	v_mov_b32_e32 v6, 0
	s_inst_prefetch 0x1
	.p2align	6
.LBB45_10:                              ; =>This Inner Loop Header: Depth=1
	v_add_nc_u32_e32 v10, s16, v9
	v_add_co_u32 v12, s0, v3, s8
	v_add_co_ci_u32_e64 v13, null, s9, v4, s0
	v_ashrrev_i32_e32 v11, 31, v10
	v_add_nc_u32_e32 v9, 0xc0, v9
	v_lshlrev_b64 v[10:11], 3, v[10:11]
	v_add_co_u32 v10, s0, s14, v10
	v_add_co_ci_u32_e64 v11, null, s15, v11, s0
	global_load_dwordx2 v[14:15], v[1:2], off offset:-4
	s_clause 0x1
	global_load_dwordx2 v[16:17], v[3:4], off offset:-4
	global_load_dwordx2 v[12:13], v[12:13], off offset:-4
	global_load_dwordx2 v[10:11], v[10:11], off
	v_add_co_u32 v1, s0, 0x600, v1
	v_add_co_ci_u32_e64 v2, null, 0, v2, s0
	v_add_co_u32 v3, s0, 0x600, v3
	v_add_co_ci_u32_e64 v4, null, 0, v4, s0
	v_cmp_le_i32_e64 s0, s12, v9
	s_or_b32 s11, s0, s11
	s_waitcnt vmcnt(2)
	v_fmac_f32_e32 v8, v14, v16
	s_waitcnt vmcnt(1)
	v_fmac_f32_e32 v7, v14, v12
	;; [unrolled: 2-line block ×3, first 2 shown]
	v_fmac_f32_e32 v8, v15, v17
	v_fmac_f32_e32 v7, v15, v13
	;; [unrolled: 1-line block ×3, first 2 shown]
	s_andn2_b32 exec_lo, exec_lo, s11
	s_cbranch_execnz .LBB45_10
; %bb.11:
	s_inst_prefetch 0x2
	s_or_b32 exec_lo, exec_lo, s11
.LBB45_12:
	s_or_b32 exec_lo, exec_lo, s13
	v_mbcnt_lo_u32_b32 v2, -1, 0
	v_xor_b32_e32 v1, 16, v2
	v_xor_b32_e32 v3, 8, v2
	v_cmp_gt_i32_e64 s0, 32, v1
	v_cndmask_b32_e64 v1, v2, v1, s0
	v_cmp_gt_i32_e64 s0, 32, v3
	v_lshlrev_b32_e32 v1, 2, v1
	v_cndmask_b32_e64 v3, v2, v3, s0
	ds_bpermute_b32 v4, v1, v8
	v_lshlrev_b32_e32 v3, 2, v3
	s_waitcnt lgkmcnt(0)
	v_add_f32_e32 v8, v8, v4
	v_xor_b32_e32 v4, 4, v2
	ds_bpermute_b32 v9, v3, v8
	v_cmp_gt_i32_e64 s0, 32, v4
	v_cndmask_b32_e64 v4, v2, v4, s0
	v_lshlrev_b32_e32 v4, 2, v4
	s_waitcnt lgkmcnt(0)
	v_add_f32_e32 v9, v8, v9
	v_xor_b32_e32 v8, 2, v2
	ds_bpermute_b32 v10, v4, v9
	v_cmp_gt_i32_e64 s0, 32, v8
	v_cndmask_b32_e64 v8, v2, v8, s0
	;; [unrolled: 7-line block ×3, first 2 shown]
	v_lshlrev_b32_e32 v9, 2, v2
	s_waitcnt lgkmcnt(0)
	v_add_f32_e32 v2, v10, v11
	v_lshrrev_b32_e32 v10, 3, v0
	ds_bpermute_b32 v11, v9, v2
	v_and_b32_e32 v10, 0x7c, v10
	v_add_nc_u32_e32 v10, 0, v10
	s_waitcnt lgkmcnt(0)
	v_add_f32_e32 v2, v2, v11
	ds_write_b32 v10, v2
	s_waitcnt lgkmcnt(0)
	s_barrier
	buffer_gl0_inv
	s_and_saveexec_b32 s0, vcc_lo
	s_cbranch_execz .LBB45_14
; %bb.13:
	ds_read_b32 v2, v5
	s_waitcnt lgkmcnt(0)
	ds_bpermute_b32 v11, v1, v2
	s_waitcnt lgkmcnt(0)
	v_add_f32_e32 v2, v2, v11
	ds_bpermute_b32 v11, v3, v2
	s_waitcnt lgkmcnt(0)
	v_add_f32_e32 v2, v2, v11
	;; [unrolled: 3-line block ×5, first 2 shown]
.LBB45_14:
	s_or_b32 exec_lo, exec_lo, s0
	ds_bpermute_b32 v11, v1, v7
	s_waitcnt lgkmcnt(0)
	s_barrier
	buffer_gl0_inv
	v_add_f32_e32 v7, v7, v11
	ds_bpermute_b32 v11, v3, v7
	s_waitcnt lgkmcnt(0)
	v_add_f32_e32 v7, v7, v11
	ds_bpermute_b32 v11, v4, v7
	s_waitcnt lgkmcnt(0)
	;; [unrolled: 3-line block ×4, first 2 shown]
	v_add_f32_e32 v7, v7, v11
	ds_write_b32 v10, v7
	s_waitcnt lgkmcnt(0)
	s_barrier
	buffer_gl0_inv
	s_and_saveexec_b32 s0, vcc_lo
	s_cbranch_execz .LBB45_16
; %bb.15:
	ds_read_b32 v7, v5
	s_waitcnt lgkmcnt(0)
	ds_bpermute_b32 v11, v1, v7
	s_waitcnt lgkmcnt(0)
	v_add_f32_e32 v7, v7, v11
	ds_bpermute_b32 v11, v3, v7
	s_waitcnt lgkmcnt(0)
	v_add_f32_e32 v7, v7, v11
	;; [unrolled: 3-line block ×5, first 2 shown]
.LBB45_16:
	s_or_b32 exec_lo, exec_lo, s0
	ds_bpermute_b32 v11, v1, v6
	s_waitcnt lgkmcnt(0)
	s_barrier
	buffer_gl0_inv
	v_add_f32_e32 v6, v6, v11
	ds_bpermute_b32 v11, v3, v6
	s_waitcnt lgkmcnt(0)
	v_add_f32_e32 v6, v6, v11
	ds_bpermute_b32 v11, v4, v6
	s_waitcnt lgkmcnt(0)
	;; [unrolled: 3-line block ×4, first 2 shown]
	v_add_f32_e32 v6, v6, v11
	ds_write_b32 v10, v6
	s_waitcnt lgkmcnt(0)
	s_barrier
	buffer_gl0_inv
	s_and_saveexec_b32 s0, vcc_lo
	s_cbranch_execz .LBB45_18
; %bb.17:
	ds_read_b32 v5, v5
	s_waitcnt lgkmcnt(0)
	ds_bpermute_b32 v1, v1, v5
	s_waitcnt lgkmcnt(0)
	v_add_f32_e32 v1, v5, v1
	ds_bpermute_b32 v3, v3, v1
	s_waitcnt lgkmcnt(0)
	v_add_f32_e32 v1, v1, v3
	;; [unrolled: 3-line block ×5, first 2 shown]
.LBB45_18:
	s_or_b32 exec_lo, exec_lo, s0
	s_barrier
	buffer_gl0_inv
	s_mov_b32 s0, exec_lo
	v_cmpx_gt_u32_e32 3, v0
	s_cbranch_execz .LBB45_20
; %bb.19:
	s_load_dwordx2 s[0:1], s[4:5], 0x38
	v_mad_u64_u32 v[3:4], null, s18, v0, s[6:7]
	v_cmp_eq_u32_e32 vcc_lo, 1, v0
	s_mul_hi_i32 s3, s22, s10
	s_mul_i32 s2, s22, s10
	s_mul_i32 s4, s26, s7
	s_lshl_b64 s[2:3], s[2:3], 2
	v_cndmask_b32_e32 v5, v2, v7, vcc_lo
	v_ashrrev_i32_e32 v4, 31, v3
	s_ashr_i32 s5, s4, 31
	v_cmp_eq_u32_e32 vcc_lo, 2, v0
	v_lshlrev_b64 v[1:2], 2, v[3:4]
	v_cndmask_b32_e32 v3, v5, v6, vcc_lo
	s_waitcnt lgkmcnt(0)
	s_add_u32 s2, s0, s2
	s_addc_u32 s3, s1, s3
	s_lshl_b64 s[0:1], s[4:5], 2
	s_add_u32 s0, s2, s0
	s_addc_u32 s1, s3, s1
	v_add_co_u32 v0, vcc_lo, s0, v1
	v_add_co_ci_u32_e64 v1, null, s1, v2, vcc_lo
	global_store_dword v[0:1], v3, off
.LBB45_20:
	s_endpgm
	.section	.rodata,"a",@progbits
	.p2align	6, 0x0
	.amdhsa_kernel _ZL13mul_mat_vec_fIffLi3ELi192ELb0ELb0EEvPKT_PKfPKi31ggml_cuda_mm_fusion_args_devicePfi15HIP_vector_typeIjLj3EEiiiSA_iiiSA_iiii
		.amdhsa_group_segment_fixed_size 0
		.amdhsa_private_segment_fixed_size 0
		.amdhsa_kernarg_size 144
		.amdhsa_user_sgpr_count 6
		.amdhsa_user_sgpr_private_segment_buffer 1
		.amdhsa_user_sgpr_dispatch_ptr 0
		.amdhsa_user_sgpr_queue_ptr 0
		.amdhsa_user_sgpr_kernarg_segment_ptr 1
		.amdhsa_user_sgpr_dispatch_id 0
		.amdhsa_user_sgpr_flat_scratch_init 0
		.amdhsa_user_sgpr_private_segment_size 0
		.amdhsa_wavefront_size32 1
		.amdhsa_uses_dynamic_stack 0
		.amdhsa_system_sgpr_private_segment_wavefront_offset 0
		.amdhsa_system_sgpr_workgroup_id_x 1
		.amdhsa_system_sgpr_workgroup_id_y 1
		.amdhsa_system_sgpr_workgroup_id_z 1
		.amdhsa_system_sgpr_workgroup_info 0
		.amdhsa_system_vgpr_workitem_id 0
		.amdhsa_next_free_vgpr 18
		.amdhsa_next_free_sgpr 36
		.amdhsa_reserve_vcc 1
		.amdhsa_reserve_flat_scratch 0
		.amdhsa_float_round_mode_32 0
		.amdhsa_float_round_mode_16_64 0
		.amdhsa_float_denorm_mode_32 3
		.amdhsa_float_denorm_mode_16_64 3
		.amdhsa_dx10_clamp 1
		.amdhsa_ieee_mode 1
		.amdhsa_fp16_overflow 0
		.amdhsa_workgroup_processor_mode 1
		.amdhsa_memory_ordered 1
		.amdhsa_forward_progress 1
		.amdhsa_shared_vgpr_count 0
		.amdhsa_exception_fp_ieee_invalid_op 0
		.amdhsa_exception_fp_denorm_src 0
		.amdhsa_exception_fp_ieee_div_zero 0
		.amdhsa_exception_fp_ieee_overflow 0
		.amdhsa_exception_fp_ieee_underflow 0
		.amdhsa_exception_fp_ieee_inexact 0
		.amdhsa_exception_int_div_zero 0
	.end_amdhsa_kernel
	.section	.text._ZL13mul_mat_vec_fIffLi3ELi192ELb0ELb0EEvPKT_PKfPKi31ggml_cuda_mm_fusion_args_devicePfi15HIP_vector_typeIjLj3EEiiiSA_iiiSA_iiii,"axG",@progbits,_ZL13mul_mat_vec_fIffLi3ELi192ELb0ELb0EEvPKT_PKfPKi31ggml_cuda_mm_fusion_args_devicePfi15HIP_vector_typeIjLj3EEiiiSA_iiiSA_iiii,comdat
.Lfunc_end45:
	.size	_ZL13mul_mat_vec_fIffLi3ELi192ELb0ELb0EEvPKT_PKfPKi31ggml_cuda_mm_fusion_args_devicePfi15HIP_vector_typeIjLj3EEiiiSA_iiiSA_iiii, .Lfunc_end45-_ZL13mul_mat_vec_fIffLi3ELi192ELb0ELb0EEvPKT_PKfPKi31ggml_cuda_mm_fusion_args_devicePfi15HIP_vector_typeIjLj3EEiiiSA_iiiSA_iiii
                                        ; -- End function
	.set _ZL13mul_mat_vec_fIffLi3ELi192ELb0ELb0EEvPKT_PKfPKi31ggml_cuda_mm_fusion_args_devicePfi15HIP_vector_typeIjLj3EEiiiSA_iiiSA_iiii.num_vgpr, 18
	.set _ZL13mul_mat_vec_fIffLi3ELi192ELb0ELb0EEvPKT_PKfPKi31ggml_cuda_mm_fusion_args_devicePfi15HIP_vector_typeIjLj3EEiiiSA_iiiSA_iiii.num_agpr, 0
	.set _ZL13mul_mat_vec_fIffLi3ELi192ELb0ELb0EEvPKT_PKfPKi31ggml_cuda_mm_fusion_args_devicePfi15HIP_vector_typeIjLj3EEiiiSA_iiiSA_iiii.numbered_sgpr, 36
	.set _ZL13mul_mat_vec_fIffLi3ELi192ELb0ELb0EEvPKT_PKfPKi31ggml_cuda_mm_fusion_args_devicePfi15HIP_vector_typeIjLj3EEiiiSA_iiiSA_iiii.num_named_barrier, 0
	.set _ZL13mul_mat_vec_fIffLi3ELi192ELb0ELb0EEvPKT_PKfPKi31ggml_cuda_mm_fusion_args_devicePfi15HIP_vector_typeIjLj3EEiiiSA_iiiSA_iiii.private_seg_size, 0
	.set _ZL13mul_mat_vec_fIffLi3ELi192ELb0ELb0EEvPKT_PKfPKi31ggml_cuda_mm_fusion_args_devicePfi15HIP_vector_typeIjLj3EEiiiSA_iiiSA_iiii.uses_vcc, 1
	.set _ZL13mul_mat_vec_fIffLi3ELi192ELb0ELb0EEvPKT_PKfPKi31ggml_cuda_mm_fusion_args_devicePfi15HIP_vector_typeIjLj3EEiiiSA_iiiSA_iiii.uses_flat_scratch, 0
	.set _ZL13mul_mat_vec_fIffLi3ELi192ELb0ELb0EEvPKT_PKfPKi31ggml_cuda_mm_fusion_args_devicePfi15HIP_vector_typeIjLj3EEiiiSA_iiiSA_iiii.has_dyn_sized_stack, 0
	.set _ZL13mul_mat_vec_fIffLi3ELi192ELb0ELb0EEvPKT_PKfPKi31ggml_cuda_mm_fusion_args_devicePfi15HIP_vector_typeIjLj3EEiiiSA_iiiSA_iiii.has_recursion, 0
	.set _ZL13mul_mat_vec_fIffLi3ELi192ELb0ELb0EEvPKT_PKfPKi31ggml_cuda_mm_fusion_args_devicePfi15HIP_vector_typeIjLj3EEiiiSA_iiiSA_iiii.has_indirect_call, 0
	.section	.AMDGPU.csdata,"",@progbits
; Kernel info:
; codeLenInByte = 1644
; TotalNumSgprs: 38
; NumVgprs: 18
; ScratchSize: 0
; MemoryBound: 0
; FloatMode: 240
; IeeeMode: 1
; LDSByteSize: 0 bytes/workgroup (compile time only)
; SGPRBlocks: 0
; VGPRBlocks: 2
; NumSGPRsForWavesPerEU: 38
; NumVGPRsForWavesPerEU: 18
; Occupancy: 16
; WaveLimiterHint : 0
; COMPUTE_PGM_RSRC2:SCRATCH_EN: 0
; COMPUTE_PGM_RSRC2:USER_SGPR: 6
; COMPUTE_PGM_RSRC2:TRAP_HANDLER: 0
; COMPUTE_PGM_RSRC2:TGID_X_EN: 1
; COMPUTE_PGM_RSRC2:TGID_Y_EN: 1
; COMPUTE_PGM_RSRC2:TGID_Z_EN: 1
; COMPUTE_PGM_RSRC2:TIDIG_COMP_CNT: 0
	.section	.text._ZL13mul_mat_vec_fIffLi3ELi224ELb0ELb0EEvPKT_PKfPKi31ggml_cuda_mm_fusion_args_devicePfi15HIP_vector_typeIjLj3EEiiiSA_iiiSA_iiii,"axG",@progbits,_ZL13mul_mat_vec_fIffLi3ELi224ELb0ELb0EEvPKT_PKfPKi31ggml_cuda_mm_fusion_args_devicePfi15HIP_vector_typeIjLj3EEiiiSA_iiiSA_iiii,comdat
	.globl	_ZL13mul_mat_vec_fIffLi3ELi224ELb0ELb0EEvPKT_PKfPKi31ggml_cuda_mm_fusion_args_devicePfi15HIP_vector_typeIjLj3EEiiiSA_iiiSA_iiii ; -- Begin function _ZL13mul_mat_vec_fIffLi3ELi224ELb0ELb0EEvPKT_PKfPKi31ggml_cuda_mm_fusion_args_devicePfi15HIP_vector_typeIjLj3EEiiiSA_iiiSA_iiii
	.p2align	8
	.type	_ZL13mul_mat_vec_fIffLi3ELi224ELb0ELb0EEvPKT_PKfPKi31ggml_cuda_mm_fusion_args_devicePfi15HIP_vector_typeIjLj3EEiiiSA_iiiSA_iiii,@function
_ZL13mul_mat_vec_fIffLi3ELi224ELb0ELb0EEvPKT_PKfPKi31ggml_cuda_mm_fusion_args_devicePfi15HIP_vector_typeIjLj3EEiiiSA_iiiSA_iiii: ; @_ZL13mul_mat_vec_fIffLi3ELi224ELb0ELb0EEvPKT_PKfPKi31ggml_cuda_mm_fusion_args_devicePfi15HIP_vector_typeIjLj3EEiiiSA_iiiSA_iiii
; %bb.0:
	s_clause 0x2
	s_load_dwordx2 s[0:1], s[4:5], 0x10
	s_load_dwordx8 s[12:19], s[4:5], 0x40
	s_load_dwordx4 s[20:23], s[4:5], 0x80
	s_waitcnt lgkmcnt(0)
	s_cmp_eq_u64 s[0:1], 0
	s_cselect_b32 s10, -1, 0
	s_cmp_lg_u64 s[0:1], 0
	s_cselect_b32 s9, -1, 0
	s_and_b32 vcc_lo, exec_lo, s10
	s_cbranch_vccnz .LBB46_2
; %bb.1:
	s_mul_i32 s2, s23, s8
	s_mov_b32 s3, 0
	s_add_i32 s2, s2, s7
	s_lshl_b64 s[24:25], s[2:3], 2
	s_add_u32 s0, s0, s24
	s_addc_u32 s1, s1, s25
	s_load_dword s19, s[0:1], 0x0
	s_cbranch_execz .LBB46_3
	s_branch .LBB46_4
.LBB46_2:
                                        ; implicit-def: $sgpr19
.LBB46_3:
	s_load_dwordx2 s[0:1], s[4:5], 0x5c
	s_waitcnt lgkmcnt(0)
	s_mul_hi_u32 s0, s0, s7
	s_add_i32 s0, s7, s0
	s_lshr_b32 s19, s0, s1
.LBB46_4:
	s_load_dwordx4 s[24:27], s[4:5], 0x68
	s_andn2_b32 vcc_lo, exec_lo, s9
	s_mov_b32 s23, s7
	s_cbranch_vccnz .LBB46_6
; %bb.5:
	s_mul_hi_u32 s0, s13, s7
	s_add_i32 s0, s7, s0
	s_lshr_b32 s0, s0, s14
	s_mul_i32 s0, s0, s15
	s_sub_i32 s23, s7, s0
.LBB46_6:
	s_load_dword s9, s[4:5], 0x78
	v_cmp_gt_u32_e32 vcc_lo, 32, v0
	v_lshl_add_u32 v5, v0, 2, 0
	s_and_saveexec_b32 s0, vcc_lo
; %bb.7:
	v_mov_b32_e32 v1, 0
	ds_write_b32 v5, v1
; %bb.8:
	s_or_b32 exec_lo, exec_lo, s0
	v_mov_b32_e32 v6, 0
	v_mov_b32_e32 v7, 0
	;; [unrolled: 1-line block ×3, first 2 shown]
	s_and_b32 s0, exec_lo, s10
	s_mov_b32 s11, 0
	s_cselect_b32 s10, s8, 0
	s_mov_b32 s13, exec_lo
	s_waitcnt lgkmcnt(0)
	s_barrier
	buffer_gl0_inv
	v_cmpx_gt_i32_e64 s12, v0
	s_cbranch_execz .LBB46_12
; %bb.9:
	s_load_dwordx4 s[0:3], s[4:5], 0x0
	s_mul_hi_u32 s27, s27, s10
	s_mul_hi_i32 s15, s21, s10
	s_mul_i32 s14, s21, s10
	s_mul_i32 s24, s19, s24
	;; [unrolled: 1-line block ×4, first 2 shown]
	s_add_i32 s16, s10, s27
	s_lshl_b64 s[34:35], s[14:15], 2
	s_ashr_i32 s25, s24, 31
	s_ashr_i32 s29, s28, 31
	;; [unrolled: 1-line block ×3, first 2 shown]
	s_lshr_b32 s9, s16, s9
	v_lshlrev_b32_e32 v1, 3, v0
	s_mul_hi_i32 s21, s9, s20
	s_mul_i32 s20, s9, s20
	s_mov_b32 s8, s17
	v_mov_b32_e32 v8, 0
	v_mov_b32_e32 v9, v0
	;; [unrolled: 1-line block ×3, first 2 shown]
	s_waitcnt lgkmcnt(0)
	s_add_u32 s14, s2, s34
	s_addc_u32 s15, s3, s35
	s_lshl_b64 s[30:31], s[30:31], 2
	s_add_u32 s14, s14, s30
	s_addc_u32 s15, s15, s31
	s_lshl_b64 s[24:25], s[24:25], 2
	s_ashr_i32 s9, s17, 31
	s_add_i32 s16, s17, s17
	s_lshl_b64 s[20:21], s[20:21], 2
	s_lshl_b64 s[28:29], s[28:29], 2
	s_add_u32 s0, s0, s24
	s_addc_u32 s1, s1, s25
	s_add_u32 s0, s0, s28
	s_addc_u32 s1, s1, s29
	;; [unrolled: 2-line block ×3, first 2 shown]
	v_add_co_u32 v2, s0, s0, v1
	s_lshl_b64 s[8:9], s[8:9], 3
	v_add_co_ci_u32_e64 v3, null, s1, 0, s0
	s_add_u32 s0, s2, s30
	s_addc_u32 s1, s3, s31
	s_add_u32 s0, s0, s34
	s_addc_u32 s1, s1, s35
	v_add_co_u32 v4, s0, s0, v1
	v_add_co_ci_u32_e64 v6, null, s1, 0, s0
	v_add_co_u32 v1, s0, v2, 4
	v_add_co_ci_u32_e64 v2, null, 0, v3, s0
	;; [unrolled: 2-line block ×3, first 2 shown]
	v_mov_b32_e32 v6, 0
	s_inst_prefetch 0x1
	.p2align	6
.LBB46_10:                              ; =>This Inner Loop Header: Depth=1
	v_add_nc_u32_e32 v10, s16, v9
	v_add_co_u32 v12, s0, v3, s8
	v_add_co_ci_u32_e64 v13, null, s9, v4, s0
	v_ashrrev_i32_e32 v11, 31, v10
	v_add_nc_u32_e32 v9, 0xe0, v9
	v_lshlrev_b64 v[10:11], 3, v[10:11]
	v_add_co_u32 v10, s0, s14, v10
	v_add_co_ci_u32_e64 v11, null, s15, v11, s0
	global_load_dwordx2 v[14:15], v[1:2], off offset:-4
	s_clause 0x1
	global_load_dwordx2 v[16:17], v[3:4], off offset:-4
	global_load_dwordx2 v[12:13], v[12:13], off offset:-4
	global_load_dwordx2 v[10:11], v[10:11], off
	v_add_co_u32 v1, s0, 0x700, v1
	v_add_co_ci_u32_e64 v2, null, 0, v2, s0
	v_add_co_u32 v3, s0, 0x700, v3
	v_add_co_ci_u32_e64 v4, null, 0, v4, s0
	v_cmp_le_i32_e64 s0, s12, v9
	s_or_b32 s11, s0, s11
	s_waitcnt vmcnt(2)
	v_fmac_f32_e32 v8, v14, v16
	s_waitcnt vmcnt(1)
	v_fmac_f32_e32 v7, v14, v12
	;; [unrolled: 2-line block ×3, first 2 shown]
	v_fmac_f32_e32 v8, v15, v17
	v_fmac_f32_e32 v7, v15, v13
	;; [unrolled: 1-line block ×3, first 2 shown]
	s_andn2_b32 exec_lo, exec_lo, s11
	s_cbranch_execnz .LBB46_10
; %bb.11:
	s_inst_prefetch 0x2
	s_or_b32 exec_lo, exec_lo, s11
.LBB46_12:
	s_or_b32 exec_lo, exec_lo, s13
	v_mbcnt_lo_u32_b32 v2, -1, 0
	v_xor_b32_e32 v1, 16, v2
	v_xor_b32_e32 v3, 8, v2
	v_cmp_gt_i32_e64 s0, 32, v1
	v_cndmask_b32_e64 v1, v2, v1, s0
	v_cmp_gt_i32_e64 s0, 32, v3
	v_lshlrev_b32_e32 v1, 2, v1
	v_cndmask_b32_e64 v3, v2, v3, s0
	ds_bpermute_b32 v4, v1, v8
	v_lshlrev_b32_e32 v3, 2, v3
	s_waitcnt lgkmcnt(0)
	v_add_f32_e32 v8, v8, v4
	v_xor_b32_e32 v4, 4, v2
	ds_bpermute_b32 v9, v3, v8
	v_cmp_gt_i32_e64 s0, 32, v4
	v_cndmask_b32_e64 v4, v2, v4, s0
	v_lshlrev_b32_e32 v4, 2, v4
	s_waitcnt lgkmcnt(0)
	v_add_f32_e32 v9, v8, v9
	v_xor_b32_e32 v8, 2, v2
	ds_bpermute_b32 v10, v4, v9
	v_cmp_gt_i32_e64 s0, 32, v8
	v_cndmask_b32_e64 v8, v2, v8, s0
	;; [unrolled: 7-line block ×3, first 2 shown]
	v_lshlrev_b32_e32 v9, 2, v2
	s_waitcnt lgkmcnt(0)
	v_add_f32_e32 v2, v10, v11
	v_lshrrev_b32_e32 v10, 3, v0
	ds_bpermute_b32 v11, v9, v2
	v_and_b32_e32 v10, 0x7c, v10
	v_add_nc_u32_e32 v10, 0, v10
	s_waitcnt lgkmcnt(0)
	v_add_f32_e32 v2, v2, v11
	ds_write_b32 v10, v2
	s_waitcnt lgkmcnt(0)
	s_barrier
	buffer_gl0_inv
	s_and_saveexec_b32 s0, vcc_lo
	s_cbranch_execz .LBB46_14
; %bb.13:
	ds_read_b32 v2, v5
	s_waitcnt lgkmcnt(0)
	ds_bpermute_b32 v11, v1, v2
	s_waitcnt lgkmcnt(0)
	v_add_f32_e32 v2, v2, v11
	ds_bpermute_b32 v11, v3, v2
	s_waitcnt lgkmcnt(0)
	v_add_f32_e32 v2, v2, v11
	;; [unrolled: 3-line block ×5, first 2 shown]
.LBB46_14:
	s_or_b32 exec_lo, exec_lo, s0
	ds_bpermute_b32 v11, v1, v7
	s_waitcnt lgkmcnt(0)
	s_barrier
	buffer_gl0_inv
	v_add_f32_e32 v7, v7, v11
	ds_bpermute_b32 v11, v3, v7
	s_waitcnt lgkmcnt(0)
	v_add_f32_e32 v7, v7, v11
	ds_bpermute_b32 v11, v4, v7
	s_waitcnt lgkmcnt(0)
	;; [unrolled: 3-line block ×4, first 2 shown]
	v_add_f32_e32 v7, v7, v11
	ds_write_b32 v10, v7
	s_waitcnt lgkmcnt(0)
	s_barrier
	buffer_gl0_inv
	s_and_saveexec_b32 s0, vcc_lo
	s_cbranch_execz .LBB46_16
; %bb.15:
	ds_read_b32 v7, v5
	s_waitcnt lgkmcnt(0)
	ds_bpermute_b32 v11, v1, v7
	s_waitcnt lgkmcnt(0)
	v_add_f32_e32 v7, v7, v11
	ds_bpermute_b32 v11, v3, v7
	s_waitcnt lgkmcnt(0)
	v_add_f32_e32 v7, v7, v11
	;; [unrolled: 3-line block ×5, first 2 shown]
.LBB46_16:
	s_or_b32 exec_lo, exec_lo, s0
	ds_bpermute_b32 v11, v1, v6
	s_waitcnt lgkmcnt(0)
	s_barrier
	buffer_gl0_inv
	v_add_f32_e32 v6, v6, v11
	ds_bpermute_b32 v11, v3, v6
	s_waitcnt lgkmcnt(0)
	v_add_f32_e32 v6, v6, v11
	ds_bpermute_b32 v11, v4, v6
	s_waitcnt lgkmcnt(0)
	;; [unrolled: 3-line block ×4, first 2 shown]
	v_add_f32_e32 v6, v6, v11
	ds_write_b32 v10, v6
	s_waitcnt lgkmcnt(0)
	s_barrier
	buffer_gl0_inv
	s_and_saveexec_b32 s0, vcc_lo
	s_cbranch_execz .LBB46_18
; %bb.17:
	ds_read_b32 v5, v5
	s_waitcnt lgkmcnt(0)
	ds_bpermute_b32 v1, v1, v5
	s_waitcnt lgkmcnt(0)
	v_add_f32_e32 v1, v5, v1
	ds_bpermute_b32 v3, v3, v1
	s_waitcnt lgkmcnt(0)
	v_add_f32_e32 v1, v1, v3
	;; [unrolled: 3-line block ×5, first 2 shown]
.LBB46_18:
	s_or_b32 exec_lo, exec_lo, s0
	s_barrier
	buffer_gl0_inv
	s_mov_b32 s0, exec_lo
	v_cmpx_gt_u32_e32 3, v0
	s_cbranch_execz .LBB46_20
; %bb.19:
	s_load_dwordx2 s[0:1], s[4:5], 0x38
	v_mad_u64_u32 v[3:4], null, s18, v0, s[6:7]
	v_cmp_eq_u32_e32 vcc_lo, 1, v0
	s_mul_hi_i32 s3, s22, s10
	s_mul_i32 s2, s22, s10
	s_mul_i32 s4, s26, s7
	s_lshl_b64 s[2:3], s[2:3], 2
	v_cndmask_b32_e32 v5, v2, v7, vcc_lo
	v_ashrrev_i32_e32 v4, 31, v3
	s_ashr_i32 s5, s4, 31
	v_cmp_eq_u32_e32 vcc_lo, 2, v0
	v_lshlrev_b64 v[1:2], 2, v[3:4]
	v_cndmask_b32_e32 v3, v5, v6, vcc_lo
	s_waitcnt lgkmcnt(0)
	s_add_u32 s2, s0, s2
	s_addc_u32 s3, s1, s3
	s_lshl_b64 s[0:1], s[4:5], 2
	s_add_u32 s0, s2, s0
	s_addc_u32 s1, s3, s1
	v_add_co_u32 v0, vcc_lo, s0, v1
	v_add_co_ci_u32_e64 v1, null, s1, v2, vcc_lo
	global_store_dword v[0:1], v3, off
.LBB46_20:
	s_endpgm
	.section	.rodata,"a",@progbits
	.p2align	6, 0x0
	.amdhsa_kernel _ZL13mul_mat_vec_fIffLi3ELi224ELb0ELb0EEvPKT_PKfPKi31ggml_cuda_mm_fusion_args_devicePfi15HIP_vector_typeIjLj3EEiiiSA_iiiSA_iiii
		.amdhsa_group_segment_fixed_size 0
		.amdhsa_private_segment_fixed_size 0
		.amdhsa_kernarg_size 144
		.amdhsa_user_sgpr_count 6
		.amdhsa_user_sgpr_private_segment_buffer 1
		.amdhsa_user_sgpr_dispatch_ptr 0
		.amdhsa_user_sgpr_queue_ptr 0
		.amdhsa_user_sgpr_kernarg_segment_ptr 1
		.amdhsa_user_sgpr_dispatch_id 0
		.amdhsa_user_sgpr_flat_scratch_init 0
		.amdhsa_user_sgpr_private_segment_size 0
		.amdhsa_wavefront_size32 1
		.amdhsa_uses_dynamic_stack 0
		.amdhsa_system_sgpr_private_segment_wavefront_offset 0
		.amdhsa_system_sgpr_workgroup_id_x 1
		.amdhsa_system_sgpr_workgroup_id_y 1
		.amdhsa_system_sgpr_workgroup_id_z 1
		.amdhsa_system_sgpr_workgroup_info 0
		.amdhsa_system_vgpr_workitem_id 0
		.amdhsa_next_free_vgpr 18
		.amdhsa_next_free_sgpr 36
		.amdhsa_reserve_vcc 1
		.amdhsa_reserve_flat_scratch 0
		.amdhsa_float_round_mode_32 0
		.amdhsa_float_round_mode_16_64 0
		.amdhsa_float_denorm_mode_32 3
		.amdhsa_float_denorm_mode_16_64 3
		.amdhsa_dx10_clamp 1
		.amdhsa_ieee_mode 1
		.amdhsa_fp16_overflow 0
		.amdhsa_workgroup_processor_mode 1
		.amdhsa_memory_ordered 1
		.amdhsa_forward_progress 1
		.amdhsa_shared_vgpr_count 0
		.amdhsa_exception_fp_ieee_invalid_op 0
		.amdhsa_exception_fp_denorm_src 0
		.amdhsa_exception_fp_ieee_div_zero 0
		.amdhsa_exception_fp_ieee_overflow 0
		.amdhsa_exception_fp_ieee_underflow 0
		.amdhsa_exception_fp_ieee_inexact 0
		.amdhsa_exception_int_div_zero 0
	.end_amdhsa_kernel
	.section	.text._ZL13mul_mat_vec_fIffLi3ELi224ELb0ELb0EEvPKT_PKfPKi31ggml_cuda_mm_fusion_args_devicePfi15HIP_vector_typeIjLj3EEiiiSA_iiiSA_iiii,"axG",@progbits,_ZL13mul_mat_vec_fIffLi3ELi224ELb0ELb0EEvPKT_PKfPKi31ggml_cuda_mm_fusion_args_devicePfi15HIP_vector_typeIjLj3EEiiiSA_iiiSA_iiii,comdat
.Lfunc_end46:
	.size	_ZL13mul_mat_vec_fIffLi3ELi224ELb0ELb0EEvPKT_PKfPKi31ggml_cuda_mm_fusion_args_devicePfi15HIP_vector_typeIjLj3EEiiiSA_iiiSA_iiii, .Lfunc_end46-_ZL13mul_mat_vec_fIffLi3ELi224ELb0ELb0EEvPKT_PKfPKi31ggml_cuda_mm_fusion_args_devicePfi15HIP_vector_typeIjLj3EEiiiSA_iiiSA_iiii
                                        ; -- End function
	.set _ZL13mul_mat_vec_fIffLi3ELi224ELb0ELb0EEvPKT_PKfPKi31ggml_cuda_mm_fusion_args_devicePfi15HIP_vector_typeIjLj3EEiiiSA_iiiSA_iiii.num_vgpr, 18
	.set _ZL13mul_mat_vec_fIffLi3ELi224ELb0ELb0EEvPKT_PKfPKi31ggml_cuda_mm_fusion_args_devicePfi15HIP_vector_typeIjLj3EEiiiSA_iiiSA_iiii.num_agpr, 0
	.set _ZL13mul_mat_vec_fIffLi3ELi224ELb0ELb0EEvPKT_PKfPKi31ggml_cuda_mm_fusion_args_devicePfi15HIP_vector_typeIjLj3EEiiiSA_iiiSA_iiii.numbered_sgpr, 36
	.set _ZL13mul_mat_vec_fIffLi3ELi224ELb0ELb0EEvPKT_PKfPKi31ggml_cuda_mm_fusion_args_devicePfi15HIP_vector_typeIjLj3EEiiiSA_iiiSA_iiii.num_named_barrier, 0
	.set _ZL13mul_mat_vec_fIffLi3ELi224ELb0ELb0EEvPKT_PKfPKi31ggml_cuda_mm_fusion_args_devicePfi15HIP_vector_typeIjLj3EEiiiSA_iiiSA_iiii.private_seg_size, 0
	.set _ZL13mul_mat_vec_fIffLi3ELi224ELb0ELb0EEvPKT_PKfPKi31ggml_cuda_mm_fusion_args_devicePfi15HIP_vector_typeIjLj3EEiiiSA_iiiSA_iiii.uses_vcc, 1
	.set _ZL13mul_mat_vec_fIffLi3ELi224ELb0ELb0EEvPKT_PKfPKi31ggml_cuda_mm_fusion_args_devicePfi15HIP_vector_typeIjLj3EEiiiSA_iiiSA_iiii.uses_flat_scratch, 0
	.set _ZL13mul_mat_vec_fIffLi3ELi224ELb0ELb0EEvPKT_PKfPKi31ggml_cuda_mm_fusion_args_devicePfi15HIP_vector_typeIjLj3EEiiiSA_iiiSA_iiii.has_dyn_sized_stack, 0
	.set _ZL13mul_mat_vec_fIffLi3ELi224ELb0ELb0EEvPKT_PKfPKi31ggml_cuda_mm_fusion_args_devicePfi15HIP_vector_typeIjLj3EEiiiSA_iiiSA_iiii.has_recursion, 0
	.set _ZL13mul_mat_vec_fIffLi3ELi224ELb0ELb0EEvPKT_PKfPKi31ggml_cuda_mm_fusion_args_devicePfi15HIP_vector_typeIjLj3EEiiiSA_iiiSA_iiii.has_indirect_call, 0
	.section	.AMDGPU.csdata,"",@progbits
; Kernel info:
; codeLenInByte = 1644
; TotalNumSgprs: 38
; NumVgprs: 18
; ScratchSize: 0
; MemoryBound: 0
; FloatMode: 240
; IeeeMode: 1
; LDSByteSize: 0 bytes/workgroup (compile time only)
; SGPRBlocks: 0
; VGPRBlocks: 2
; NumSGPRsForWavesPerEU: 38
; NumVGPRsForWavesPerEU: 18
; Occupancy: 16
; WaveLimiterHint : 0
; COMPUTE_PGM_RSRC2:SCRATCH_EN: 0
; COMPUTE_PGM_RSRC2:USER_SGPR: 6
; COMPUTE_PGM_RSRC2:TRAP_HANDLER: 0
; COMPUTE_PGM_RSRC2:TGID_X_EN: 1
; COMPUTE_PGM_RSRC2:TGID_Y_EN: 1
; COMPUTE_PGM_RSRC2:TGID_Z_EN: 1
; COMPUTE_PGM_RSRC2:TIDIG_COMP_CNT: 0
	.section	.text._ZL13mul_mat_vec_fIffLi3ELi256ELb0ELb0EEvPKT_PKfPKi31ggml_cuda_mm_fusion_args_devicePfi15HIP_vector_typeIjLj3EEiiiSA_iiiSA_iiii,"axG",@progbits,_ZL13mul_mat_vec_fIffLi3ELi256ELb0ELb0EEvPKT_PKfPKi31ggml_cuda_mm_fusion_args_devicePfi15HIP_vector_typeIjLj3EEiiiSA_iiiSA_iiii,comdat
	.globl	_ZL13mul_mat_vec_fIffLi3ELi256ELb0ELb0EEvPKT_PKfPKi31ggml_cuda_mm_fusion_args_devicePfi15HIP_vector_typeIjLj3EEiiiSA_iiiSA_iiii ; -- Begin function _ZL13mul_mat_vec_fIffLi3ELi256ELb0ELb0EEvPKT_PKfPKi31ggml_cuda_mm_fusion_args_devicePfi15HIP_vector_typeIjLj3EEiiiSA_iiiSA_iiii
	.p2align	8
	.type	_ZL13mul_mat_vec_fIffLi3ELi256ELb0ELb0EEvPKT_PKfPKi31ggml_cuda_mm_fusion_args_devicePfi15HIP_vector_typeIjLj3EEiiiSA_iiiSA_iiii,@function
_ZL13mul_mat_vec_fIffLi3ELi256ELb0ELb0EEvPKT_PKfPKi31ggml_cuda_mm_fusion_args_devicePfi15HIP_vector_typeIjLj3EEiiiSA_iiiSA_iiii: ; @_ZL13mul_mat_vec_fIffLi3ELi256ELb0ELb0EEvPKT_PKfPKi31ggml_cuda_mm_fusion_args_devicePfi15HIP_vector_typeIjLj3EEiiiSA_iiiSA_iiii
; %bb.0:
	s_clause 0x2
	s_load_dwordx2 s[0:1], s[4:5], 0x10
	s_load_dwordx8 s[12:19], s[4:5], 0x40
	s_load_dwordx4 s[20:23], s[4:5], 0x80
	s_waitcnt lgkmcnt(0)
	s_cmp_eq_u64 s[0:1], 0
	s_cselect_b32 s10, -1, 0
	s_cmp_lg_u64 s[0:1], 0
	s_cselect_b32 s9, -1, 0
	s_and_b32 vcc_lo, exec_lo, s10
	s_cbranch_vccnz .LBB47_2
; %bb.1:
	s_mul_i32 s2, s23, s8
	s_mov_b32 s3, 0
	s_add_i32 s2, s2, s7
	s_lshl_b64 s[24:25], s[2:3], 2
	s_add_u32 s0, s0, s24
	s_addc_u32 s1, s1, s25
	s_load_dword s19, s[0:1], 0x0
	s_cbranch_execz .LBB47_3
	s_branch .LBB47_4
.LBB47_2:
                                        ; implicit-def: $sgpr19
.LBB47_3:
	s_load_dwordx2 s[0:1], s[4:5], 0x5c
	s_waitcnt lgkmcnt(0)
	s_mul_hi_u32 s0, s0, s7
	s_add_i32 s0, s7, s0
	s_lshr_b32 s19, s0, s1
.LBB47_4:
	s_load_dwordx4 s[24:27], s[4:5], 0x68
	s_andn2_b32 vcc_lo, exec_lo, s9
	s_mov_b32 s23, s7
	s_cbranch_vccnz .LBB47_6
; %bb.5:
	s_mul_hi_u32 s0, s13, s7
	s_add_i32 s0, s7, s0
	s_lshr_b32 s0, s0, s14
	s_mul_i32 s0, s0, s15
	s_sub_i32 s23, s7, s0
.LBB47_6:
	s_load_dword s9, s[4:5], 0x78
	v_cmp_gt_u32_e32 vcc_lo, 32, v0
	v_lshl_add_u32 v5, v0, 2, 0
	s_and_saveexec_b32 s0, vcc_lo
; %bb.7:
	v_mov_b32_e32 v1, 0
	ds_write_b32 v5, v1
; %bb.8:
	s_or_b32 exec_lo, exec_lo, s0
	v_mov_b32_e32 v6, 0
	v_mov_b32_e32 v7, 0
	;; [unrolled: 1-line block ×3, first 2 shown]
	s_and_b32 s0, exec_lo, s10
	s_mov_b32 s11, 0
	s_cselect_b32 s10, s8, 0
	s_mov_b32 s13, exec_lo
	s_waitcnt lgkmcnt(0)
	s_barrier
	buffer_gl0_inv
	v_cmpx_gt_i32_e64 s12, v0
	s_cbranch_execz .LBB47_12
; %bb.9:
	s_load_dwordx4 s[0:3], s[4:5], 0x0
	s_mul_hi_u32 s27, s27, s10
	s_mul_hi_i32 s15, s21, s10
	s_mul_i32 s14, s21, s10
	s_mul_i32 s24, s19, s24
	;; [unrolled: 1-line block ×4, first 2 shown]
	s_add_i32 s16, s10, s27
	s_lshl_b64 s[34:35], s[14:15], 2
	s_ashr_i32 s25, s24, 31
	s_ashr_i32 s29, s28, 31
	;; [unrolled: 1-line block ×3, first 2 shown]
	s_lshr_b32 s9, s16, s9
	v_lshlrev_b32_e32 v1, 3, v0
	s_mul_hi_i32 s21, s9, s20
	s_mul_i32 s20, s9, s20
	s_mov_b32 s8, s17
	v_mov_b32_e32 v8, 0
	v_mov_b32_e32 v9, v0
	v_mov_b32_e32 v7, 0
	s_waitcnt lgkmcnt(0)
	s_add_u32 s14, s2, s34
	s_addc_u32 s15, s3, s35
	s_lshl_b64 s[30:31], s[30:31], 2
	s_add_u32 s14, s14, s30
	s_addc_u32 s15, s15, s31
	s_lshl_b64 s[24:25], s[24:25], 2
	s_ashr_i32 s9, s17, 31
	s_add_i32 s16, s17, s17
	s_lshl_b64 s[20:21], s[20:21], 2
	s_lshl_b64 s[28:29], s[28:29], 2
	s_add_u32 s0, s0, s24
	s_addc_u32 s1, s1, s25
	s_add_u32 s0, s0, s28
	s_addc_u32 s1, s1, s29
	;; [unrolled: 2-line block ×3, first 2 shown]
	v_add_co_u32 v2, s0, s0, v1
	s_lshl_b64 s[8:9], s[8:9], 3
	v_add_co_ci_u32_e64 v3, null, s1, 0, s0
	s_add_u32 s0, s2, s30
	s_addc_u32 s1, s3, s31
	s_add_u32 s0, s0, s34
	s_addc_u32 s1, s1, s35
	v_add_co_u32 v4, s0, s0, v1
	v_add_co_ci_u32_e64 v6, null, s1, 0, s0
	v_add_co_u32 v1, s0, v2, 4
	v_add_co_ci_u32_e64 v2, null, 0, v3, s0
	;; [unrolled: 2-line block ×3, first 2 shown]
	v_mov_b32_e32 v6, 0
	s_inst_prefetch 0x1
	.p2align	6
.LBB47_10:                              ; =>This Inner Loop Header: Depth=1
	v_add_nc_u32_e32 v10, s16, v9
	v_add_co_u32 v12, s0, v3, s8
	v_add_co_ci_u32_e64 v13, null, s9, v4, s0
	v_ashrrev_i32_e32 v11, 31, v10
	v_add_nc_u32_e32 v9, 0x100, v9
	v_lshlrev_b64 v[10:11], 3, v[10:11]
	v_add_co_u32 v10, s0, s14, v10
	v_add_co_ci_u32_e64 v11, null, s15, v11, s0
	global_load_dwordx2 v[14:15], v[1:2], off offset:-4
	s_clause 0x1
	global_load_dwordx2 v[16:17], v[3:4], off offset:-4
	global_load_dwordx2 v[12:13], v[12:13], off offset:-4
	global_load_dwordx2 v[10:11], v[10:11], off
	v_add_co_u32 v1, s0, 0x800, v1
	v_add_co_ci_u32_e64 v2, null, 0, v2, s0
	v_add_co_u32 v3, s0, 0x800, v3
	v_add_co_ci_u32_e64 v4, null, 0, v4, s0
	v_cmp_le_i32_e64 s0, s12, v9
	s_or_b32 s11, s0, s11
	s_waitcnt vmcnt(2)
	v_fmac_f32_e32 v8, v14, v16
	s_waitcnt vmcnt(1)
	v_fmac_f32_e32 v7, v14, v12
	;; [unrolled: 2-line block ×3, first 2 shown]
	v_fmac_f32_e32 v8, v15, v17
	v_fmac_f32_e32 v7, v15, v13
	;; [unrolled: 1-line block ×3, first 2 shown]
	s_andn2_b32 exec_lo, exec_lo, s11
	s_cbranch_execnz .LBB47_10
; %bb.11:
	s_inst_prefetch 0x2
	s_or_b32 exec_lo, exec_lo, s11
.LBB47_12:
	s_or_b32 exec_lo, exec_lo, s13
	v_mbcnt_lo_u32_b32 v2, -1, 0
	v_xor_b32_e32 v1, 16, v2
	v_xor_b32_e32 v3, 8, v2
	v_cmp_gt_i32_e64 s0, 32, v1
	v_cndmask_b32_e64 v1, v2, v1, s0
	v_cmp_gt_i32_e64 s0, 32, v3
	v_lshlrev_b32_e32 v1, 2, v1
	v_cndmask_b32_e64 v3, v2, v3, s0
	ds_bpermute_b32 v4, v1, v8
	v_lshlrev_b32_e32 v3, 2, v3
	s_waitcnt lgkmcnt(0)
	v_add_f32_e32 v8, v8, v4
	v_xor_b32_e32 v4, 4, v2
	ds_bpermute_b32 v9, v3, v8
	v_cmp_gt_i32_e64 s0, 32, v4
	v_cndmask_b32_e64 v4, v2, v4, s0
	v_lshlrev_b32_e32 v4, 2, v4
	s_waitcnt lgkmcnt(0)
	v_add_f32_e32 v9, v8, v9
	v_xor_b32_e32 v8, 2, v2
	ds_bpermute_b32 v10, v4, v9
	v_cmp_gt_i32_e64 s0, 32, v8
	v_cndmask_b32_e64 v8, v2, v8, s0
	;; [unrolled: 7-line block ×3, first 2 shown]
	v_lshlrev_b32_e32 v9, 2, v2
	s_waitcnt lgkmcnt(0)
	v_add_f32_e32 v2, v10, v11
	v_lshrrev_b32_e32 v10, 3, v0
	ds_bpermute_b32 v11, v9, v2
	v_and_b32_e32 v10, 0x7c, v10
	v_add_nc_u32_e32 v10, 0, v10
	s_waitcnt lgkmcnt(0)
	v_add_f32_e32 v2, v2, v11
	ds_write_b32 v10, v2
	s_waitcnt lgkmcnt(0)
	s_barrier
	buffer_gl0_inv
	s_and_saveexec_b32 s0, vcc_lo
	s_cbranch_execz .LBB47_14
; %bb.13:
	ds_read_b32 v2, v5
	s_waitcnt lgkmcnt(0)
	ds_bpermute_b32 v11, v1, v2
	s_waitcnt lgkmcnt(0)
	v_add_f32_e32 v2, v2, v11
	ds_bpermute_b32 v11, v3, v2
	s_waitcnt lgkmcnt(0)
	v_add_f32_e32 v2, v2, v11
	;; [unrolled: 3-line block ×5, first 2 shown]
.LBB47_14:
	s_or_b32 exec_lo, exec_lo, s0
	ds_bpermute_b32 v11, v1, v7
	s_waitcnt lgkmcnt(0)
	s_barrier
	buffer_gl0_inv
	v_add_f32_e32 v7, v7, v11
	ds_bpermute_b32 v11, v3, v7
	s_waitcnt lgkmcnt(0)
	v_add_f32_e32 v7, v7, v11
	ds_bpermute_b32 v11, v4, v7
	s_waitcnt lgkmcnt(0)
	;; [unrolled: 3-line block ×4, first 2 shown]
	v_add_f32_e32 v7, v7, v11
	ds_write_b32 v10, v7
	s_waitcnt lgkmcnt(0)
	s_barrier
	buffer_gl0_inv
	s_and_saveexec_b32 s0, vcc_lo
	s_cbranch_execz .LBB47_16
; %bb.15:
	ds_read_b32 v7, v5
	s_waitcnt lgkmcnt(0)
	ds_bpermute_b32 v11, v1, v7
	s_waitcnt lgkmcnt(0)
	v_add_f32_e32 v7, v7, v11
	ds_bpermute_b32 v11, v3, v7
	s_waitcnt lgkmcnt(0)
	v_add_f32_e32 v7, v7, v11
	;; [unrolled: 3-line block ×5, first 2 shown]
.LBB47_16:
	s_or_b32 exec_lo, exec_lo, s0
	ds_bpermute_b32 v11, v1, v6
	s_waitcnt lgkmcnt(0)
	s_barrier
	buffer_gl0_inv
	v_add_f32_e32 v6, v6, v11
	ds_bpermute_b32 v11, v3, v6
	s_waitcnt lgkmcnt(0)
	v_add_f32_e32 v6, v6, v11
	ds_bpermute_b32 v11, v4, v6
	s_waitcnt lgkmcnt(0)
	;; [unrolled: 3-line block ×4, first 2 shown]
	v_add_f32_e32 v6, v6, v11
	ds_write_b32 v10, v6
	s_waitcnt lgkmcnt(0)
	s_barrier
	buffer_gl0_inv
	s_and_saveexec_b32 s0, vcc_lo
	s_cbranch_execz .LBB47_18
; %bb.17:
	ds_read_b32 v5, v5
	s_waitcnt lgkmcnt(0)
	ds_bpermute_b32 v1, v1, v5
	s_waitcnt lgkmcnt(0)
	v_add_f32_e32 v1, v5, v1
	ds_bpermute_b32 v3, v3, v1
	s_waitcnt lgkmcnt(0)
	v_add_f32_e32 v1, v1, v3
	;; [unrolled: 3-line block ×5, first 2 shown]
.LBB47_18:
	s_or_b32 exec_lo, exec_lo, s0
	s_barrier
	buffer_gl0_inv
	s_mov_b32 s0, exec_lo
	v_cmpx_gt_u32_e32 3, v0
	s_cbranch_execz .LBB47_20
; %bb.19:
	s_load_dwordx2 s[0:1], s[4:5], 0x38
	v_mad_u64_u32 v[3:4], null, s18, v0, s[6:7]
	v_cmp_eq_u32_e32 vcc_lo, 1, v0
	s_mul_hi_i32 s3, s22, s10
	s_mul_i32 s2, s22, s10
	s_mul_i32 s4, s26, s7
	s_lshl_b64 s[2:3], s[2:3], 2
	v_cndmask_b32_e32 v5, v2, v7, vcc_lo
	v_ashrrev_i32_e32 v4, 31, v3
	s_ashr_i32 s5, s4, 31
	v_cmp_eq_u32_e32 vcc_lo, 2, v0
	v_lshlrev_b64 v[1:2], 2, v[3:4]
	v_cndmask_b32_e32 v3, v5, v6, vcc_lo
	s_waitcnt lgkmcnt(0)
	s_add_u32 s2, s0, s2
	s_addc_u32 s3, s1, s3
	s_lshl_b64 s[0:1], s[4:5], 2
	s_add_u32 s0, s2, s0
	s_addc_u32 s1, s3, s1
	v_add_co_u32 v0, vcc_lo, s0, v1
	v_add_co_ci_u32_e64 v1, null, s1, v2, vcc_lo
	global_store_dword v[0:1], v3, off
.LBB47_20:
	s_endpgm
	.section	.rodata,"a",@progbits
	.p2align	6, 0x0
	.amdhsa_kernel _ZL13mul_mat_vec_fIffLi3ELi256ELb0ELb0EEvPKT_PKfPKi31ggml_cuda_mm_fusion_args_devicePfi15HIP_vector_typeIjLj3EEiiiSA_iiiSA_iiii
		.amdhsa_group_segment_fixed_size 0
		.amdhsa_private_segment_fixed_size 0
		.amdhsa_kernarg_size 144
		.amdhsa_user_sgpr_count 6
		.amdhsa_user_sgpr_private_segment_buffer 1
		.amdhsa_user_sgpr_dispatch_ptr 0
		.amdhsa_user_sgpr_queue_ptr 0
		.amdhsa_user_sgpr_kernarg_segment_ptr 1
		.amdhsa_user_sgpr_dispatch_id 0
		.amdhsa_user_sgpr_flat_scratch_init 0
		.amdhsa_user_sgpr_private_segment_size 0
		.amdhsa_wavefront_size32 1
		.amdhsa_uses_dynamic_stack 0
		.amdhsa_system_sgpr_private_segment_wavefront_offset 0
		.amdhsa_system_sgpr_workgroup_id_x 1
		.amdhsa_system_sgpr_workgroup_id_y 1
		.amdhsa_system_sgpr_workgroup_id_z 1
		.amdhsa_system_sgpr_workgroup_info 0
		.amdhsa_system_vgpr_workitem_id 0
		.amdhsa_next_free_vgpr 18
		.amdhsa_next_free_sgpr 36
		.amdhsa_reserve_vcc 1
		.amdhsa_reserve_flat_scratch 0
		.amdhsa_float_round_mode_32 0
		.amdhsa_float_round_mode_16_64 0
		.amdhsa_float_denorm_mode_32 3
		.amdhsa_float_denorm_mode_16_64 3
		.amdhsa_dx10_clamp 1
		.amdhsa_ieee_mode 1
		.amdhsa_fp16_overflow 0
		.amdhsa_workgroup_processor_mode 1
		.amdhsa_memory_ordered 1
		.amdhsa_forward_progress 1
		.amdhsa_shared_vgpr_count 0
		.amdhsa_exception_fp_ieee_invalid_op 0
		.amdhsa_exception_fp_denorm_src 0
		.amdhsa_exception_fp_ieee_div_zero 0
		.amdhsa_exception_fp_ieee_overflow 0
		.amdhsa_exception_fp_ieee_underflow 0
		.amdhsa_exception_fp_ieee_inexact 0
		.amdhsa_exception_int_div_zero 0
	.end_amdhsa_kernel
	.section	.text._ZL13mul_mat_vec_fIffLi3ELi256ELb0ELb0EEvPKT_PKfPKi31ggml_cuda_mm_fusion_args_devicePfi15HIP_vector_typeIjLj3EEiiiSA_iiiSA_iiii,"axG",@progbits,_ZL13mul_mat_vec_fIffLi3ELi256ELb0ELb0EEvPKT_PKfPKi31ggml_cuda_mm_fusion_args_devicePfi15HIP_vector_typeIjLj3EEiiiSA_iiiSA_iiii,comdat
.Lfunc_end47:
	.size	_ZL13mul_mat_vec_fIffLi3ELi256ELb0ELb0EEvPKT_PKfPKi31ggml_cuda_mm_fusion_args_devicePfi15HIP_vector_typeIjLj3EEiiiSA_iiiSA_iiii, .Lfunc_end47-_ZL13mul_mat_vec_fIffLi3ELi256ELb0ELb0EEvPKT_PKfPKi31ggml_cuda_mm_fusion_args_devicePfi15HIP_vector_typeIjLj3EEiiiSA_iiiSA_iiii
                                        ; -- End function
	.set _ZL13mul_mat_vec_fIffLi3ELi256ELb0ELb0EEvPKT_PKfPKi31ggml_cuda_mm_fusion_args_devicePfi15HIP_vector_typeIjLj3EEiiiSA_iiiSA_iiii.num_vgpr, 18
	.set _ZL13mul_mat_vec_fIffLi3ELi256ELb0ELb0EEvPKT_PKfPKi31ggml_cuda_mm_fusion_args_devicePfi15HIP_vector_typeIjLj3EEiiiSA_iiiSA_iiii.num_agpr, 0
	.set _ZL13mul_mat_vec_fIffLi3ELi256ELb0ELb0EEvPKT_PKfPKi31ggml_cuda_mm_fusion_args_devicePfi15HIP_vector_typeIjLj3EEiiiSA_iiiSA_iiii.numbered_sgpr, 36
	.set _ZL13mul_mat_vec_fIffLi3ELi256ELb0ELb0EEvPKT_PKfPKi31ggml_cuda_mm_fusion_args_devicePfi15HIP_vector_typeIjLj3EEiiiSA_iiiSA_iiii.num_named_barrier, 0
	.set _ZL13mul_mat_vec_fIffLi3ELi256ELb0ELb0EEvPKT_PKfPKi31ggml_cuda_mm_fusion_args_devicePfi15HIP_vector_typeIjLj3EEiiiSA_iiiSA_iiii.private_seg_size, 0
	.set _ZL13mul_mat_vec_fIffLi3ELi256ELb0ELb0EEvPKT_PKfPKi31ggml_cuda_mm_fusion_args_devicePfi15HIP_vector_typeIjLj3EEiiiSA_iiiSA_iiii.uses_vcc, 1
	.set _ZL13mul_mat_vec_fIffLi3ELi256ELb0ELb0EEvPKT_PKfPKi31ggml_cuda_mm_fusion_args_devicePfi15HIP_vector_typeIjLj3EEiiiSA_iiiSA_iiii.uses_flat_scratch, 0
	.set _ZL13mul_mat_vec_fIffLi3ELi256ELb0ELb0EEvPKT_PKfPKi31ggml_cuda_mm_fusion_args_devicePfi15HIP_vector_typeIjLj3EEiiiSA_iiiSA_iiii.has_dyn_sized_stack, 0
	.set _ZL13mul_mat_vec_fIffLi3ELi256ELb0ELb0EEvPKT_PKfPKi31ggml_cuda_mm_fusion_args_devicePfi15HIP_vector_typeIjLj3EEiiiSA_iiiSA_iiii.has_recursion, 0
	.set _ZL13mul_mat_vec_fIffLi3ELi256ELb0ELb0EEvPKT_PKfPKi31ggml_cuda_mm_fusion_args_devicePfi15HIP_vector_typeIjLj3EEiiiSA_iiiSA_iiii.has_indirect_call, 0
	.section	.AMDGPU.csdata,"",@progbits
; Kernel info:
; codeLenInByte = 1644
; TotalNumSgprs: 38
; NumVgprs: 18
; ScratchSize: 0
; MemoryBound: 0
; FloatMode: 240
; IeeeMode: 1
; LDSByteSize: 0 bytes/workgroup (compile time only)
; SGPRBlocks: 0
; VGPRBlocks: 2
; NumSGPRsForWavesPerEU: 38
; NumVGPRsForWavesPerEU: 18
; Occupancy: 16
; WaveLimiterHint : 0
; COMPUTE_PGM_RSRC2:SCRATCH_EN: 0
; COMPUTE_PGM_RSRC2:USER_SGPR: 6
; COMPUTE_PGM_RSRC2:TRAP_HANDLER: 0
; COMPUTE_PGM_RSRC2:TGID_X_EN: 1
; COMPUTE_PGM_RSRC2:TGID_Y_EN: 1
; COMPUTE_PGM_RSRC2:TGID_Z_EN: 1
; COMPUTE_PGM_RSRC2:TIDIG_COMP_CNT: 0
	.section	.text._ZL13mul_mat_vec_fIffLi4ELi32ELb0ELb0EEvPKT_PKfPKi31ggml_cuda_mm_fusion_args_devicePfi15HIP_vector_typeIjLj3EEiiiSA_iiiSA_iiii,"axG",@progbits,_ZL13mul_mat_vec_fIffLi4ELi32ELb0ELb0EEvPKT_PKfPKi31ggml_cuda_mm_fusion_args_devicePfi15HIP_vector_typeIjLj3EEiiiSA_iiiSA_iiii,comdat
	.globl	_ZL13mul_mat_vec_fIffLi4ELi32ELb0ELb0EEvPKT_PKfPKi31ggml_cuda_mm_fusion_args_devicePfi15HIP_vector_typeIjLj3EEiiiSA_iiiSA_iiii ; -- Begin function _ZL13mul_mat_vec_fIffLi4ELi32ELb0ELb0EEvPKT_PKfPKi31ggml_cuda_mm_fusion_args_devicePfi15HIP_vector_typeIjLj3EEiiiSA_iiiSA_iiii
	.p2align	8
	.type	_ZL13mul_mat_vec_fIffLi4ELi32ELb0ELb0EEvPKT_PKfPKi31ggml_cuda_mm_fusion_args_devicePfi15HIP_vector_typeIjLj3EEiiiSA_iiiSA_iiii,@function
_ZL13mul_mat_vec_fIffLi4ELi32ELb0ELb0EEvPKT_PKfPKi31ggml_cuda_mm_fusion_args_devicePfi15HIP_vector_typeIjLj3EEiiiSA_iiiSA_iiii: ; @_ZL13mul_mat_vec_fIffLi4ELi32ELb0ELb0EEvPKT_PKfPKi31ggml_cuda_mm_fusion_args_devicePfi15HIP_vector_typeIjLj3EEiiiSA_iiiSA_iiii
; %bb.0:
	s_clause 0x2
	s_load_dwordx2 s[20:21], s[4:5], 0x10
	s_load_dwordx8 s[12:19], s[4:5], 0x40
	s_load_dwordx4 s[0:3], s[4:5], 0x80
	s_waitcnt lgkmcnt(0)
	s_cmp_eq_u64 s[20:21], 0
	s_cselect_b32 s9, -1, 0
	s_cmp_lg_u64 s[20:21], 0
	s_cselect_b32 s25, -1, 0
	s_and_b32 vcc_lo, exec_lo, s9
	s_cbranch_vccnz .LBB48_2
; %bb.1:
	s_mul_i32 s3, s3, s8
	s_mov_b32 s11, 0
	s_add_i32 s10, s3, s7
	s_lshl_b64 s[22:23], s[10:11], 2
	s_add_u32 s20, s20, s22
	s_addc_u32 s21, s21, s23
	s_load_dword s24, s[20:21], 0x0
	s_load_dwordx4 s[20:23], s[4:5], 0x68
	s_cbranch_execz .LBB48_3
	s_branch .LBB48_4
.LBB48_2:
                                        ; implicit-def: $sgpr24
	s_load_dwordx4 s[20:23], s[4:5], 0x68
.LBB48_3:
	s_load_dwordx2 s[10:11], s[4:5], 0x5c
	s_waitcnt lgkmcnt(0)
	s_mul_hi_u32 s3, s10, s7
	s_add_i32 s3, s7, s3
	s_lshr_b32 s24, s3, s11
.LBB48_4:
	s_load_dword s19, s[4:5], 0x78
	s_andn2_b32 vcc_lo, exec_lo, s25
	s_mov_b32 s25, s7
	s_cbranch_vccnz .LBB48_6
; %bb.5:
	s_mul_hi_u32 s3, s13, s7
	s_add_i32 s3, s7, s3
	s_lshr_b32 s3, s3, s14
	s_mul_i32 s3, s3, s15
	s_sub_i32 s25, s7, s3
.LBB48_6:
	v_mov_b32_e32 v6, 0
	v_mov_b32_e32 v7, 0
	v_mov_b32_e32 v8, 0
	v_mov_b32_e32 v5, 0
	s_and_b32 s3, exec_lo, s9
	s_mov_b32 s14, 0
	s_cselect_b32 s3, s8, 0
	s_mov_b32 s13, exec_lo
	v_cmpx_gt_i32_e64 s12, v0
	s_cbranch_execz .LBB48_10
; %bb.7:
	s_load_dwordx4 s[8:11], s[4:5], 0x0
	s_waitcnt lgkmcnt(0)
	s_mul_hi_u32 s15, s23, s3
	s_mul_hi_i32 s27, s1, s3
	s_mul_i32 s26, s1, s3
	s_mul_i32 s20, s24, s20
	;; [unrolled: 1-line block ×4, first 2 shown]
	s_add_i32 s1, s3, s15
	s_lshl_b64 s[26:27], s[26:27], 2
	s_ashr_i32 s21, s20, 31
	s_ashr_i32 s25, s24, 31
	;; [unrolled: 1-line block ×3, first 2 shown]
	s_lshr_b32 s15, s1, s19
	v_lshlrev_b32_e32 v1, 3, v0
	s_mul_hi_i32 s1, s15, s0
	s_mul_i32 s0, s15, s0
	s_mov_b32 s30, s17
	v_mov_b32_e32 v5, 0
	v_mov_b32_e32 v9, v0
	;; [unrolled: 1-line block ×3, first 2 shown]
	s_add_u32 s16, s10, s26
	s_addc_u32 s19, s11, s27
	s_lshl_b64 s[28:29], s[28:29], 2
	v_mov_b32_e32 v7, 0
	s_add_u32 s15, s16, s28
	s_addc_u32 s16, s19, s29
	s_lshl_b64 s[20:21], s[20:21], 2
	s_ashr_i32 s31, s17, 31
	s_add_i32 s19, s17, s17
	s_lshl_b64 s[0:1], s[0:1], 2
	s_lshl_b64 s[24:25], s[24:25], 2
	s_add_u32 s8, s8, s20
	s_addc_u32 s9, s9, s21
	s_add_u32 s8, s8, s24
	s_addc_u32 s9, s9, s25
	;; [unrolled: 2-line block ×3, first 2 shown]
	v_add_co_u32 v2, s0, s0, v1
	v_add_co_ci_u32_e64 v3, null, s1, 0, s0
	s_lshl_b64 s[0:1], s[30:31], 3
	s_add_u32 s8, s10, s28
	s_addc_u32 s9, s11, s29
	s_add_u32 s8, s8, s26
	s_addc_u32 s9, s9, s27
	v_add_co_u32 v4, s8, s8, v1
	v_add_co_ci_u32_e64 v6, null, s9, 0, s8
	v_add_co_u32 v1, vcc_lo, v2, 4
	v_add_co_ci_u32_e64 v2, null, 0, v3, vcc_lo
	v_add_co_u32 v3, vcc_lo, v4, 4
	v_add_co_ci_u32_e64 v4, null, 0, v6, vcc_lo
	v_mov_b32_e32 v6, 0
	s_mul_i32 s8, s17, 3
.LBB48_8:                               ; =>This Inner Loop Header: Depth=1
	v_add_nc_u32_e32 v10, s19, v9
	v_add_nc_u32_e32 v14, s8, v9
	v_add_co_u32 v12, vcc_lo, v3, s0
	v_add_co_ci_u32_e64 v13, null, s1, v4, vcc_lo
	v_ashrrev_i32_e32 v11, 31, v10
	v_ashrrev_i32_e32 v15, 31, v14
	v_add_nc_u32_e32 v9, 32, v9
	v_lshlrev_b64 v[10:11], 3, v[10:11]
	v_lshlrev_b64 v[14:15], 3, v[14:15]
	v_add_co_u32 v10, vcc_lo, s15, v10
	v_add_co_ci_u32_e64 v11, null, s16, v11, vcc_lo
	v_add_co_u32 v14, vcc_lo, s15, v14
	v_add_co_ci_u32_e64 v15, null, s16, v15, vcc_lo
	global_load_dwordx2 v[16:17], v[1:2], off offset:-4
	s_clause 0x1
	global_load_dwordx2 v[18:19], v[3:4], off offset:-4
	global_load_dwordx2 v[12:13], v[12:13], off offset:-4
	s_clause 0x1
	global_load_dwordx2 v[10:11], v[10:11], off
	global_load_dwordx2 v[14:15], v[14:15], off
	v_add_co_u32 v1, vcc_lo, 0x100, v1
	v_add_co_ci_u32_e64 v2, null, 0, v2, vcc_lo
	v_add_co_u32 v3, vcc_lo, 0x100, v3
	v_add_co_ci_u32_e64 v4, null, 0, v4, vcc_lo
	v_cmp_le_i32_e32 vcc_lo, s12, v9
	s_or_b32 s14, vcc_lo, s14
	s_waitcnt vmcnt(3)
	v_fmac_f32_e32 v5, v16, v18
	s_waitcnt vmcnt(2)
	v_fmac_f32_e32 v8, v16, v12
	s_waitcnt vmcnt(1)
	v_fmac_f32_e32 v7, v16, v10
	s_waitcnt vmcnt(0)
	v_fmac_f32_e32 v6, v16, v14
	v_fmac_f32_e32 v5, v17, v19
	v_fmac_f32_e32 v8, v17, v13
	;; [unrolled: 1-line block ×4, first 2 shown]
	s_andn2_b32 exec_lo, exec_lo, s14
	s_cbranch_execnz .LBB48_8
; %bb.9:
	s_or_b32 exec_lo, exec_lo, s14
.LBB48_10:
	s_or_b32 exec_lo, exec_lo, s13
	v_mbcnt_lo_u32_b32 v1, -1, 0
	s_mov_b32 s0, exec_lo
	v_xor_b32_e32 v2, 16, v1
	v_xor_b32_e32 v10, 8, v1
	v_cmp_gt_i32_e32 vcc_lo, 32, v2
	v_cndmask_b32_e32 v2, v1, v2, vcc_lo
	v_cmp_gt_i32_e32 vcc_lo, 32, v10
	v_lshlrev_b32_e32 v2, 2, v2
	v_cndmask_b32_e32 v10, v1, v10, vcc_lo
	ds_bpermute_b32 v3, v2, v5
	ds_bpermute_b32 v4, v2, v8
	;; [unrolled: 1-line block ×4, first 2 shown]
	v_lshlrev_b32_e32 v10, 2, v10
	s_waitcnt lgkmcnt(0)
	v_add_f32_e32 v3, v5, v3
	v_add_f32_e32 v4, v8, v4
	;; [unrolled: 1-line block ×4, first 2 shown]
	ds_bpermute_b32 v6, v10, v3
	ds_bpermute_b32 v7, v10, v4
	ds_bpermute_b32 v8, v10, v5
	ds_bpermute_b32 v9, v10, v2
	v_xor_b32_e32 v10, 4, v1
	v_cmp_gt_i32_e32 vcc_lo, 32, v10
	v_cndmask_b32_e32 v10, v1, v10, vcc_lo
	v_lshlrev_b32_e32 v10, 2, v10
	s_waitcnt lgkmcnt(3)
	v_add_f32_e32 v3, v3, v6
	s_waitcnt lgkmcnt(2)
	v_add_f32_e32 v4, v4, v7
	s_waitcnt lgkmcnt(1)
	v_add_f32_e32 v5, v5, v8
	s_waitcnt lgkmcnt(0)
	v_add_f32_e32 v2, v2, v9
	ds_bpermute_b32 v6, v10, v3
	ds_bpermute_b32 v7, v10, v4
	ds_bpermute_b32 v8, v10, v5
	ds_bpermute_b32 v9, v10, v2
	v_xor_b32_e32 v10, 2, v1
	v_cmp_gt_i32_e32 vcc_lo, 32, v10
	v_cndmask_b32_e32 v10, v1, v10, vcc_lo
	v_lshlrev_b32_e32 v10, 2, v10
	s_waitcnt lgkmcnt(3)
	v_add_f32_e32 v3, v3, v6
	s_waitcnt lgkmcnt(2)
	v_add_f32_e32 v4, v4, v7
	s_waitcnt lgkmcnt(1)
	v_add_f32_e32 v5, v5, v8
	s_waitcnt lgkmcnt(0)
	v_add_f32_e32 v2, v2, v9
	;; [unrolled: 16-line block ×3, first 2 shown]
	ds_bpermute_b32 v7, v10, v3
	ds_bpermute_b32 v8, v10, v4
	;; [unrolled: 1-line block ×4, first 2 shown]
	v_cmpx_gt_u32_e32 4, v0
	s_cbranch_execz .LBB48_12
; %bb.11:
	s_load_dwordx2 s[0:1], s[4:5], 0x38
	v_mad_u64_u32 v[9:10], null, s18, v0, s[6:7]
	s_waitcnt lgkmcnt(0)
	v_add_f32_e32 v3, v3, v7
	v_add_f32_e32 v4, v4, v8
	v_cmp_eq_u32_e32 vcc_lo, 1, v0
	v_add_f32_e32 v1, v1, v5
	v_add_f32_e32 v5, v2, v6
	s_mul_hi_i32 s5, s2, s3
	v_ashrrev_i32_e32 v10, 31, v9
	v_cndmask_b32_e32 v2, v3, v4, vcc_lo
	v_cmp_eq_u32_e32 vcc_lo, 2, v0
	s_mul_i32 s4, s2, s3
	s_mul_i32 s2, s22, s7
	s_lshl_b64 s[4:5], s[4:5], 2
	s_ashr_i32 s3, s2, 31
	v_cndmask_b32_e32 v3, v2, v1, vcc_lo
	v_lshlrev_b64 v[1:2], 2, v[9:10]
	v_cmp_eq_u32_e32 vcc_lo, 3, v0
	s_add_u32 s4, s0, s4
	s_addc_u32 s5, s1, s5
	s_lshl_b64 s[0:1], s[2:3], 2
	v_cndmask_b32_e32 v3, v3, v5, vcc_lo
	s_add_u32 s0, s4, s0
	s_addc_u32 s1, s5, s1
	v_add_co_u32 v0, vcc_lo, s0, v1
	v_add_co_ci_u32_e64 v1, null, s1, v2, vcc_lo
	global_store_dword v[0:1], v3, off
.LBB48_12:
	s_endpgm
	.section	.rodata,"a",@progbits
	.p2align	6, 0x0
	.amdhsa_kernel _ZL13mul_mat_vec_fIffLi4ELi32ELb0ELb0EEvPKT_PKfPKi31ggml_cuda_mm_fusion_args_devicePfi15HIP_vector_typeIjLj3EEiiiSA_iiiSA_iiii
		.amdhsa_group_segment_fixed_size 0
		.amdhsa_private_segment_fixed_size 0
		.amdhsa_kernarg_size 144
		.amdhsa_user_sgpr_count 6
		.amdhsa_user_sgpr_private_segment_buffer 1
		.amdhsa_user_sgpr_dispatch_ptr 0
		.amdhsa_user_sgpr_queue_ptr 0
		.amdhsa_user_sgpr_kernarg_segment_ptr 1
		.amdhsa_user_sgpr_dispatch_id 0
		.amdhsa_user_sgpr_flat_scratch_init 0
		.amdhsa_user_sgpr_private_segment_size 0
		.amdhsa_wavefront_size32 1
		.amdhsa_uses_dynamic_stack 0
		.amdhsa_system_sgpr_private_segment_wavefront_offset 0
		.amdhsa_system_sgpr_workgroup_id_x 1
		.amdhsa_system_sgpr_workgroup_id_y 1
		.amdhsa_system_sgpr_workgroup_id_z 1
		.amdhsa_system_sgpr_workgroup_info 0
		.amdhsa_system_vgpr_workitem_id 0
		.amdhsa_next_free_vgpr 20
		.amdhsa_next_free_sgpr 32
		.amdhsa_reserve_vcc 1
		.amdhsa_reserve_flat_scratch 0
		.amdhsa_float_round_mode_32 0
		.amdhsa_float_round_mode_16_64 0
		.amdhsa_float_denorm_mode_32 3
		.amdhsa_float_denorm_mode_16_64 3
		.amdhsa_dx10_clamp 1
		.amdhsa_ieee_mode 1
		.amdhsa_fp16_overflow 0
		.amdhsa_workgroup_processor_mode 1
		.amdhsa_memory_ordered 1
		.amdhsa_forward_progress 1
		.amdhsa_shared_vgpr_count 0
		.amdhsa_exception_fp_ieee_invalid_op 0
		.amdhsa_exception_fp_denorm_src 0
		.amdhsa_exception_fp_ieee_div_zero 0
		.amdhsa_exception_fp_ieee_overflow 0
		.amdhsa_exception_fp_ieee_underflow 0
		.amdhsa_exception_fp_ieee_inexact 0
		.amdhsa_exception_int_div_zero 0
	.end_amdhsa_kernel
	.section	.text._ZL13mul_mat_vec_fIffLi4ELi32ELb0ELb0EEvPKT_PKfPKi31ggml_cuda_mm_fusion_args_devicePfi15HIP_vector_typeIjLj3EEiiiSA_iiiSA_iiii,"axG",@progbits,_ZL13mul_mat_vec_fIffLi4ELi32ELb0ELb0EEvPKT_PKfPKi31ggml_cuda_mm_fusion_args_devicePfi15HIP_vector_typeIjLj3EEiiiSA_iiiSA_iiii,comdat
.Lfunc_end48:
	.size	_ZL13mul_mat_vec_fIffLi4ELi32ELb0ELb0EEvPKT_PKfPKi31ggml_cuda_mm_fusion_args_devicePfi15HIP_vector_typeIjLj3EEiiiSA_iiiSA_iiii, .Lfunc_end48-_ZL13mul_mat_vec_fIffLi4ELi32ELb0ELb0EEvPKT_PKfPKi31ggml_cuda_mm_fusion_args_devicePfi15HIP_vector_typeIjLj3EEiiiSA_iiiSA_iiii
                                        ; -- End function
	.set _ZL13mul_mat_vec_fIffLi4ELi32ELb0ELb0EEvPKT_PKfPKi31ggml_cuda_mm_fusion_args_devicePfi15HIP_vector_typeIjLj3EEiiiSA_iiiSA_iiii.num_vgpr, 20
	.set _ZL13mul_mat_vec_fIffLi4ELi32ELb0ELb0EEvPKT_PKfPKi31ggml_cuda_mm_fusion_args_devicePfi15HIP_vector_typeIjLj3EEiiiSA_iiiSA_iiii.num_agpr, 0
	.set _ZL13mul_mat_vec_fIffLi4ELi32ELb0ELb0EEvPKT_PKfPKi31ggml_cuda_mm_fusion_args_devicePfi15HIP_vector_typeIjLj3EEiiiSA_iiiSA_iiii.numbered_sgpr, 32
	.set _ZL13mul_mat_vec_fIffLi4ELi32ELb0ELb0EEvPKT_PKfPKi31ggml_cuda_mm_fusion_args_devicePfi15HIP_vector_typeIjLj3EEiiiSA_iiiSA_iiii.num_named_barrier, 0
	.set _ZL13mul_mat_vec_fIffLi4ELi32ELb0ELb0EEvPKT_PKfPKi31ggml_cuda_mm_fusion_args_devicePfi15HIP_vector_typeIjLj3EEiiiSA_iiiSA_iiii.private_seg_size, 0
	.set _ZL13mul_mat_vec_fIffLi4ELi32ELb0ELb0EEvPKT_PKfPKi31ggml_cuda_mm_fusion_args_devicePfi15HIP_vector_typeIjLj3EEiiiSA_iiiSA_iiii.uses_vcc, 1
	.set _ZL13mul_mat_vec_fIffLi4ELi32ELb0ELb0EEvPKT_PKfPKi31ggml_cuda_mm_fusion_args_devicePfi15HIP_vector_typeIjLj3EEiiiSA_iiiSA_iiii.uses_flat_scratch, 0
	.set _ZL13mul_mat_vec_fIffLi4ELi32ELb0ELb0EEvPKT_PKfPKi31ggml_cuda_mm_fusion_args_devicePfi15HIP_vector_typeIjLj3EEiiiSA_iiiSA_iiii.has_dyn_sized_stack, 0
	.set _ZL13mul_mat_vec_fIffLi4ELi32ELb0ELb0EEvPKT_PKfPKi31ggml_cuda_mm_fusion_args_devicePfi15HIP_vector_typeIjLj3EEiiiSA_iiiSA_iiii.has_recursion, 0
	.set _ZL13mul_mat_vec_fIffLi4ELi32ELb0ELb0EEvPKT_PKfPKi31ggml_cuda_mm_fusion_args_devicePfi15HIP_vector_typeIjLj3EEiiiSA_iiiSA_iiii.has_indirect_call, 0
	.section	.AMDGPU.csdata,"",@progbits
; Kernel info:
; codeLenInByte = 1228
; TotalNumSgprs: 34
; NumVgprs: 20
; ScratchSize: 0
; MemoryBound: 0
; FloatMode: 240
; IeeeMode: 1
; LDSByteSize: 0 bytes/workgroup (compile time only)
; SGPRBlocks: 0
; VGPRBlocks: 2
; NumSGPRsForWavesPerEU: 34
; NumVGPRsForWavesPerEU: 20
; Occupancy: 16
; WaveLimiterHint : 0
; COMPUTE_PGM_RSRC2:SCRATCH_EN: 0
; COMPUTE_PGM_RSRC2:USER_SGPR: 6
; COMPUTE_PGM_RSRC2:TRAP_HANDLER: 0
; COMPUTE_PGM_RSRC2:TGID_X_EN: 1
; COMPUTE_PGM_RSRC2:TGID_Y_EN: 1
; COMPUTE_PGM_RSRC2:TGID_Z_EN: 1
; COMPUTE_PGM_RSRC2:TIDIG_COMP_CNT: 0
	.section	.text._ZL13mul_mat_vec_fIffLi4ELi64ELb0ELb0EEvPKT_PKfPKi31ggml_cuda_mm_fusion_args_devicePfi15HIP_vector_typeIjLj3EEiiiSA_iiiSA_iiii,"axG",@progbits,_ZL13mul_mat_vec_fIffLi4ELi64ELb0ELb0EEvPKT_PKfPKi31ggml_cuda_mm_fusion_args_devicePfi15HIP_vector_typeIjLj3EEiiiSA_iiiSA_iiii,comdat
	.globl	_ZL13mul_mat_vec_fIffLi4ELi64ELb0ELb0EEvPKT_PKfPKi31ggml_cuda_mm_fusion_args_devicePfi15HIP_vector_typeIjLj3EEiiiSA_iiiSA_iiii ; -- Begin function _ZL13mul_mat_vec_fIffLi4ELi64ELb0ELb0EEvPKT_PKfPKi31ggml_cuda_mm_fusion_args_devicePfi15HIP_vector_typeIjLj3EEiiiSA_iiiSA_iiii
	.p2align	8
	.type	_ZL13mul_mat_vec_fIffLi4ELi64ELb0ELb0EEvPKT_PKfPKi31ggml_cuda_mm_fusion_args_devicePfi15HIP_vector_typeIjLj3EEiiiSA_iiiSA_iiii,@function
_ZL13mul_mat_vec_fIffLi4ELi64ELb0ELb0EEvPKT_PKfPKi31ggml_cuda_mm_fusion_args_devicePfi15HIP_vector_typeIjLj3EEiiiSA_iiiSA_iiii: ; @_ZL13mul_mat_vec_fIffLi4ELi64ELb0ELb0EEvPKT_PKfPKi31ggml_cuda_mm_fusion_args_devicePfi15HIP_vector_typeIjLj3EEiiiSA_iiiSA_iiii
; %bb.0:
	s_clause 0x2
	s_load_dwordx2 s[0:1], s[4:5], 0x10
	s_load_dwordx8 s[12:19], s[4:5], 0x40
	s_load_dwordx4 s[20:23], s[4:5], 0x80
	s_waitcnt lgkmcnt(0)
	s_cmp_eq_u64 s[0:1], 0
	s_cselect_b32 s10, -1, 0
	s_cmp_lg_u64 s[0:1], 0
	s_cselect_b32 s9, -1, 0
	s_and_b32 vcc_lo, exec_lo, s10
	s_cbranch_vccnz .LBB49_2
; %bb.1:
	s_mul_i32 s2, s23, s8
	s_mov_b32 s3, 0
	s_add_i32 s2, s2, s7
	s_lshl_b64 s[24:25], s[2:3], 2
	s_add_u32 s0, s0, s24
	s_addc_u32 s1, s1, s25
	s_load_dword s19, s[0:1], 0x0
	s_cbranch_execz .LBB49_3
	s_branch .LBB49_4
.LBB49_2:
                                        ; implicit-def: $sgpr19
.LBB49_3:
	s_load_dwordx2 s[0:1], s[4:5], 0x5c
	s_waitcnt lgkmcnt(0)
	s_mul_hi_u32 s0, s0, s7
	s_add_i32 s0, s7, s0
	s_lshr_b32 s19, s0, s1
.LBB49_4:
	s_load_dwordx4 s[24:27], s[4:5], 0x68
	s_andn2_b32 vcc_lo, exec_lo, s9
	s_mov_b32 s23, s7
	s_cbranch_vccnz .LBB49_6
; %bb.5:
	s_mul_hi_u32 s0, s13, s7
	s_add_i32 s0, s7, s0
	s_lshr_b32 s0, s0, s14
	s_mul_i32 s0, s0, s15
	s_sub_i32 s23, s7, s0
.LBB49_6:
	s_load_dword s9, s[4:5], 0x78
	v_cmp_gt_u32_e32 vcc_lo, 32, v0
	v_lshl_add_u32 v5, v0, 2, 0
	s_and_saveexec_b32 s0, vcc_lo
; %bb.7:
	v_mov_b32_e32 v1, 0
	ds_write_b32 v5, v1
; %bb.8:
	s_or_b32 exec_lo, exec_lo, s0
	v_mov_b32_e32 v6, 0
	v_mov_b32_e32 v7, 0
	;; [unrolled: 1-line block ×4, first 2 shown]
	s_and_b32 s0, exec_lo, s10
	s_mov_b32 s11, 0
	s_cselect_b32 s10, s8, 0
	s_mov_b32 s13, exec_lo
	s_waitcnt lgkmcnt(0)
	s_barrier
	buffer_gl0_inv
	v_cmpx_gt_i32_e64 s12, v0
	s_cbranch_execz .LBB49_12
; %bb.9:
	s_load_dwordx4 s[0:3], s[4:5], 0x0
	s_mul_hi_u32 s27, s27, s10
	s_mul_hi_i32 s15, s21, s10
	s_mul_i32 s14, s21, s10
	s_mul_i32 s24, s19, s24
	s_mul_i32 s28, s16, s6
	s_mul_i32 s30, s23, s25
	s_add_i32 s16, s10, s27
	s_lshl_b64 s[34:35], s[14:15], 2
	s_ashr_i32 s25, s24, 31
	s_ashr_i32 s29, s28, 31
	;; [unrolled: 1-line block ×3, first 2 shown]
	s_lshr_b32 s9, s16, s9
	v_lshlrev_b32_e32 v1, 3, v0
	s_mul_hi_i32 s21, s9, s20
	s_mul_i32 s20, s9, s20
	s_mov_b32 s8, s17
	v_mov_b32_e32 v9, 0
	v_mov_b32_e32 v10, v0
	;; [unrolled: 1-line block ×3, first 2 shown]
	s_waitcnt lgkmcnt(0)
	s_add_u32 s14, s2, s34
	s_addc_u32 s15, s3, s35
	s_lshl_b64 s[30:31], s[30:31], 2
	v_mov_b32_e32 v7, 0
	s_add_u32 s14, s14, s30
	s_addc_u32 s15, s15, s31
	s_lshl_b64 s[24:25], s[24:25], 2
	s_ashr_i32 s9, s17, 31
	s_add_i32 s16, s17, s17
	s_lshl_b64 s[20:21], s[20:21], 2
	s_lshl_b64 s[28:29], s[28:29], 2
	s_add_u32 s0, s0, s24
	s_addc_u32 s1, s1, s25
	s_add_u32 s0, s0, s28
	s_addc_u32 s1, s1, s29
	;; [unrolled: 2-line block ×3, first 2 shown]
	v_add_co_u32 v2, s0, s0, v1
	s_lshl_b64 s[8:9], s[8:9], 3
	v_add_co_ci_u32_e64 v3, null, s1, 0, s0
	s_add_u32 s0, s2, s30
	s_addc_u32 s1, s3, s31
	s_add_u32 s0, s0, s34
	s_addc_u32 s1, s1, s35
	v_add_co_u32 v4, s0, s0, v1
	v_add_co_ci_u32_e64 v6, null, s1, 0, s0
	v_add_co_u32 v1, s0, v2, 4
	v_add_co_ci_u32_e64 v2, null, 0, v3, s0
	;; [unrolled: 2-line block ×3, first 2 shown]
	v_mov_b32_e32 v6, 0
	s_mul_i32 s1, s17, 3
.LBB49_10:                              ; =>This Inner Loop Header: Depth=1
	v_add_nc_u32_e32 v11, s16, v10
	v_add_nc_u32_e32 v15, s1, v10
	v_add_co_u32 v13, s0, v3, s8
	v_add_co_ci_u32_e64 v14, null, s9, v4, s0
	v_ashrrev_i32_e32 v12, 31, v11
	v_ashrrev_i32_e32 v16, 31, v15
	v_add_nc_u32_e32 v10, 64, v10
	v_lshlrev_b64 v[11:12], 3, v[11:12]
	v_lshlrev_b64 v[15:16], 3, v[15:16]
	v_add_co_u32 v11, s0, s14, v11
	v_add_co_ci_u32_e64 v12, null, s15, v12, s0
	v_add_co_u32 v15, s0, s14, v15
	v_add_co_ci_u32_e64 v16, null, s15, v16, s0
	global_load_dwordx2 v[17:18], v[1:2], off offset:-4
	s_clause 0x1
	global_load_dwordx2 v[19:20], v[3:4], off offset:-4
	global_load_dwordx2 v[13:14], v[13:14], off offset:-4
	s_clause 0x1
	global_load_dwordx2 v[11:12], v[11:12], off
	global_load_dwordx2 v[15:16], v[15:16], off
	v_add_co_u32 v1, s0, 0x200, v1
	v_add_co_ci_u32_e64 v2, null, 0, v2, s0
	v_add_co_u32 v3, s0, 0x200, v3
	v_add_co_ci_u32_e64 v4, null, 0, v4, s0
	v_cmp_le_i32_e64 s0, s12, v10
	s_or_b32 s11, s0, s11
	s_waitcnt vmcnt(3)
	v_fmac_f32_e32 v9, v17, v19
	s_waitcnt vmcnt(2)
	v_fmac_f32_e32 v8, v17, v13
	;; [unrolled: 2-line block ×4, first 2 shown]
	v_fmac_f32_e32 v9, v18, v20
	v_fmac_f32_e32 v8, v18, v14
	v_fmac_f32_e32 v7, v18, v12
	v_fmac_f32_e32 v6, v18, v16
	s_andn2_b32 exec_lo, exec_lo, s11
	s_cbranch_execnz .LBB49_10
; %bb.11:
	s_or_b32 exec_lo, exec_lo, s11
.LBB49_12:
	s_or_b32 exec_lo, exec_lo, s13
	v_mbcnt_lo_u32_b32 v2, -1, 0
	v_xor_b32_e32 v1, 16, v2
	v_xor_b32_e32 v3, 8, v2
	v_cmp_gt_i32_e64 s0, 32, v1
	v_cndmask_b32_e64 v1, v2, v1, s0
	v_cmp_gt_i32_e64 s0, 32, v3
	v_lshlrev_b32_e32 v1, 2, v1
	v_cndmask_b32_e64 v3, v2, v3, s0
	ds_bpermute_b32 v4, v1, v9
	v_lshlrev_b32_e32 v3, 2, v3
	s_waitcnt lgkmcnt(0)
	v_add_f32_e32 v9, v9, v4
	v_xor_b32_e32 v4, 4, v2
	ds_bpermute_b32 v10, v3, v9
	v_cmp_gt_i32_e64 s0, 32, v4
	v_cndmask_b32_e64 v4, v2, v4, s0
	v_lshlrev_b32_e32 v4, 2, v4
	s_waitcnt lgkmcnt(0)
	v_add_f32_e32 v10, v9, v10
	v_xor_b32_e32 v9, 2, v2
	ds_bpermute_b32 v11, v4, v10
	v_cmp_gt_i32_e64 s0, 32, v9
	v_cndmask_b32_e64 v9, v2, v9, s0
	;; [unrolled: 7-line block ×3, first 2 shown]
	v_lshlrev_b32_e32 v10, 2, v2
	s_waitcnt lgkmcnt(0)
	v_add_f32_e32 v2, v11, v12
	v_lshrrev_b32_e32 v11, 3, v0
	ds_bpermute_b32 v12, v10, v2
	v_and_b32_e32 v11, 0x7c, v11
	v_add_nc_u32_e32 v11, 0, v11
	s_waitcnt lgkmcnt(0)
	v_add_f32_e32 v2, v2, v12
	ds_write_b32 v11, v2
	s_waitcnt lgkmcnt(0)
	s_barrier
	buffer_gl0_inv
	s_and_saveexec_b32 s0, vcc_lo
	s_cbranch_execz .LBB49_14
; %bb.13:
	ds_read_b32 v2, v5
	s_waitcnt lgkmcnt(0)
	ds_bpermute_b32 v12, v1, v2
	s_waitcnt lgkmcnt(0)
	v_add_f32_e32 v2, v2, v12
	ds_bpermute_b32 v12, v3, v2
	s_waitcnt lgkmcnt(0)
	v_add_f32_e32 v2, v2, v12
	ds_bpermute_b32 v12, v4, v2
	s_waitcnt lgkmcnt(0)
	v_add_f32_e32 v2, v2, v12
	ds_bpermute_b32 v12, v9, v2
	s_waitcnt lgkmcnt(0)
	v_add_f32_e32 v2, v2, v12
	ds_bpermute_b32 v12, v10, v2
	s_waitcnt lgkmcnt(0)
	v_add_f32_e32 v2, v2, v12
.LBB49_14:
	s_or_b32 exec_lo, exec_lo, s0
	ds_bpermute_b32 v12, v1, v8
	s_waitcnt lgkmcnt(0)
	s_barrier
	buffer_gl0_inv
	v_add_f32_e32 v8, v8, v12
	ds_bpermute_b32 v12, v3, v8
	s_waitcnt lgkmcnt(0)
	v_add_f32_e32 v8, v8, v12
	ds_bpermute_b32 v12, v4, v8
	s_waitcnt lgkmcnt(0)
	v_add_f32_e32 v8, v8, v12
	ds_bpermute_b32 v12, v9, v8
	s_waitcnt lgkmcnt(0)
	v_add_f32_e32 v8, v8, v12
	ds_bpermute_b32 v12, v10, v8
	s_waitcnt lgkmcnt(0)
	v_add_f32_e32 v8, v8, v12
	ds_write_b32 v11, v8
	s_waitcnt lgkmcnt(0)
	s_barrier
	buffer_gl0_inv
	s_and_saveexec_b32 s0, vcc_lo
	s_cbranch_execz .LBB49_16
; %bb.15:
	ds_read_b32 v8, v5
	s_waitcnt lgkmcnt(0)
	ds_bpermute_b32 v12, v1, v8
	s_waitcnt lgkmcnt(0)
	v_add_f32_e32 v8, v8, v12
	ds_bpermute_b32 v12, v3, v8
	s_waitcnt lgkmcnt(0)
	v_add_f32_e32 v8, v8, v12
	ds_bpermute_b32 v12, v4, v8
	s_waitcnt lgkmcnt(0)
	v_add_f32_e32 v8, v8, v12
	ds_bpermute_b32 v12, v9, v8
	s_waitcnt lgkmcnt(0)
	v_add_f32_e32 v8, v8, v12
	ds_bpermute_b32 v12, v10, v8
	s_waitcnt lgkmcnt(0)
	v_add_f32_e32 v8, v8, v12
.LBB49_16:
	s_or_b32 exec_lo, exec_lo, s0
	ds_bpermute_b32 v12, v1, v7
	s_waitcnt lgkmcnt(0)
	s_barrier
	buffer_gl0_inv
	v_add_f32_e32 v7, v7, v12
	ds_bpermute_b32 v12, v3, v7
	s_waitcnt lgkmcnt(0)
	v_add_f32_e32 v7, v7, v12
	ds_bpermute_b32 v12, v4, v7
	s_waitcnt lgkmcnt(0)
	v_add_f32_e32 v7, v7, v12
	ds_bpermute_b32 v12, v9, v7
	s_waitcnt lgkmcnt(0)
	v_add_f32_e32 v7, v7, v12
	ds_bpermute_b32 v12, v10, v7
	;; [unrolled: 43-line block ×3, first 2 shown]
	s_waitcnt lgkmcnt(0)
	v_add_f32_e32 v6, v6, v12
	ds_write_b32 v11, v6
	s_waitcnt lgkmcnt(0)
	s_barrier
	buffer_gl0_inv
	s_and_saveexec_b32 s0, vcc_lo
	s_cbranch_execz .LBB49_20
; %bb.19:
	ds_read_b32 v5, v5
	s_waitcnt lgkmcnt(0)
	ds_bpermute_b32 v1, v1, v5
	s_waitcnt lgkmcnt(0)
	v_add_f32_e32 v1, v5, v1
	ds_bpermute_b32 v3, v3, v1
	s_waitcnt lgkmcnt(0)
	v_add_f32_e32 v1, v1, v3
	;; [unrolled: 3-line block ×5, first 2 shown]
.LBB49_20:
	s_or_b32 exec_lo, exec_lo, s0
	s_barrier
	buffer_gl0_inv
	s_mov_b32 s0, exec_lo
	v_cmpx_gt_u32_e32 4, v0
	s_cbranch_execz .LBB49_22
; %bb.21:
	s_load_dwordx2 s[0:1], s[4:5], 0x38
	v_mad_u64_u32 v[3:4], null, s18, v0, s[6:7]
	v_cmp_eq_u32_e32 vcc_lo, 1, v0
	s_mul_hi_i32 s3, s22, s10
	s_mul_i32 s2, s22, s10
	s_mul_i32 s4, s26, s7
	s_lshl_b64 s[2:3], s[2:3], 2
	v_cndmask_b32_e32 v1, v2, v8, vcc_lo
	v_ashrrev_i32_e32 v4, 31, v3
	v_cmp_eq_u32_e32 vcc_lo, 2, v0
	s_ashr_i32 s5, s4, 31
	v_cndmask_b32_e32 v5, v1, v7, vcc_lo
	v_lshlrev_b64 v[1:2], 2, v[3:4]
	v_cmp_eq_u32_e32 vcc_lo, 3, v0
	s_waitcnt lgkmcnt(0)
	s_add_u32 s2, s0, s2
	s_addc_u32 s3, s1, s3
	s_lshl_b64 s[0:1], s[4:5], 2
	v_cndmask_b32_e32 v3, v5, v6, vcc_lo
	s_add_u32 s0, s2, s0
	s_addc_u32 s1, s3, s1
	v_add_co_u32 v0, vcc_lo, s0, v1
	v_add_co_ci_u32_e64 v1, null, s1, v2, vcc_lo
	global_store_dword v[0:1], v3, off
.LBB49_22:
	s_endpgm
	.section	.rodata,"a",@progbits
	.p2align	6, 0x0
	.amdhsa_kernel _ZL13mul_mat_vec_fIffLi4ELi64ELb0ELb0EEvPKT_PKfPKi31ggml_cuda_mm_fusion_args_devicePfi15HIP_vector_typeIjLj3EEiiiSA_iiiSA_iiii
		.amdhsa_group_segment_fixed_size 0
		.amdhsa_private_segment_fixed_size 0
		.amdhsa_kernarg_size 144
		.amdhsa_user_sgpr_count 6
		.amdhsa_user_sgpr_private_segment_buffer 1
		.amdhsa_user_sgpr_dispatch_ptr 0
		.amdhsa_user_sgpr_queue_ptr 0
		.amdhsa_user_sgpr_kernarg_segment_ptr 1
		.amdhsa_user_sgpr_dispatch_id 0
		.amdhsa_user_sgpr_flat_scratch_init 0
		.amdhsa_user_sgpr_private_segment_size 0
		.amdhsa_wavefront_size32 1
		.amdhsa_uses_dynamic_stack 0
		.amdhsa_system_sgpr_private_segment_wavefront_offset 0
		.amdhsa_system_sgpr_workgroup_id_x 1
		.amdhsa_system_sgpr_workgroup_id_y 1
		.amdhsa_system_sgpr_workgroup_id_z 1
		.amdhsa_system_sgpr_workgroup_info 0
		.amdhsa_system_vgpr_workitem_id 0
		.amdhsa_next_free_vgpr 21
		.amdhsa_next_free_sgpr 36
		.amdhsa_reserve_vcc 1
		.amdhsa_reserve_flat_scratch 0
		.amdhsa_float_round_mode_32 0
		.amdhsa_float_round_mode_16_64 0
		.amdhsa_float_denorm_mode_32 3
		.amdhsa_float_denorm_mode_16_64 3
		.amdhsa_dx10_clamp 1
		.amdhsa_ieee_mode 1
		.amdhsa_fp16_overflow 0
		.amdhsa_workgroup_processor_mode 1
		.amdhsa_memory_ordered 1
		.amdhsa_forward_progress 1
		.amdhsa_shared_vgpr_count 0
		.amdhsa_exception_fp_ieee_invalid_op 0
		.amdhsa_exception_fp_denorm_src 0
		.amdhsa_exception_fp_ieee_div_zero 0
		.amdhsa_exception_fp_ieee_overflow 0
		.amdhsa_exception_fp_ieee_underflow 0
		.amdhsa_exception_fp_ieee_inexact 0
		.amdhsa_exception_int_div_zero 0
	.end_amdhsa_kernel
	.section	.text._ZL13mul_mat_vec_fIffLi4ELi64ELb0ELb0EEvPKT_PKfPKi31ggml_cuda_mm_fusion_args_devicePfi15HIP_vector_typeIjLj3EEiiiSA_iiiSA_iiii,"axG",@progbits,_ZL13mul_mat_vec_fIffLi4ELi64ELb0ELb0EEvPKT_PKfPKi31ggml_cuda_mm_fusion_args_devicePfi15HIP_vector_typeIjLj3EEiiiSA_iiiSA_iiii,comdat
.Lfunc_end49:
	.size	_ZL13mul_mat_vec_fIffLi4ELi64ELb0ELb0EEvPKT_PKfPKi31ggml_cuda_mm_fusion_args_devicePfi15HIP_vector_typeIjLj3EEiiiSA_iiiSA_iiii, .Lfunc_end49-_ZL13mul_mat_vec_fIffLi4ELi64ELb0ELb0EEvPKT_PKfPKi31ggml_cuda_mm_fusion_args_devicePfi15HIP_vector_typeIjLj3EEiiiSA_iiiSA_iiii
                                        ; -- End function
	.set _ZL13mul_mat_vec_fIffLi4ELi64ELb0ELb0EEvPKT_PKfPKi31ggml_cuda_mm_fusion_args_devicePfi15HIP_vector_typeIjLj3EEiiiSA_iiiSA_iiii.num_vgpr, 21
	.set _ZL13mul_mat_vec_fIffLi4ELi64ELb0ELb0EEvPKT_PKfPKi31ggml_cuda_mm_fusion_args_devicePfi15HIP_vector_typeIjLj3EEiiiSA_iiiSA_iiii.num_agpr, 0
	.set _ZL13mul_mat_vec_fIffLi4ELi64ELb0ELb0EEvPKT_PKfPKi31ggml_cuda_mm_fusion_args_devicePfi15HIP_vector_typeIjLj3EEiiiSA_iiiSA_iiii.numbered_sgpr, 36
	.set _ZL13mul_mat_vec_fIffLi4ELi64ELb0ELb0EEvPKT_PKfPKi31ggml_cuda_mm_fusion_args_devicePfi15HIP_vector_typeIjLj3EEiiiSA_iiiSA_iiii.num_named_barrier, 0
	.set _ZL13mul_mat_vec_fIffLi4ELi64ELb0ELb0EEvPKT_PKfPKi31ggml_cuda_mm_fusion_args_devicePfi15HIP_vector_typeIjLj3EEiiiSA_iiiSA_iiii.private_seg_size, 0
	.set _ZL13mul_mat_vec_fIffLi4ELi64ELb0ELb0EEvPKT_PKfPKi31ggml_cuda_mm_fusion_args_devicePfi15HIP_vector_typeIjLj3EEiiiSA_iiiSA_iiii.uses_vcc, 1
	.set _ZL13mul_mat_vec_fIffLi4ELi64ELb0ELb0EEvPKT_PKfPKi31ggml_cuda_mm_fusion_args_devicePfi15HIP_vector_typeIjLj3EEiiiSA_iiiSA_iiii.uses_flat_scratch, 0
	.set _ZL13mul_mat_vec_fIffLi4ELi64ELb0ELb0EEvPKT_PKfPKi31ggml_cuda_mm_fusion_args_devicePfi15HIP_vector_typeIjLj3EEiiiSA_iiiSA_iiii.has_dyn_sized_stack, 0
	.set _ZL13mul_mat_vec_fIffLi4ELi64ELb0ELb0EEvPKT_PKfPKi31ggml_cuda_mm_fusion_args_devicePfi15HIP_vector_typeIjLj3EEiiiSA_iiiSA_iiii.has_recursion, 0
	.set _ZL13mul_mat_vec_fIffLi4ELi64ELb0ELb0EEvPKT_PKfPKi31ggml_cuda_mm_fusion_args_devicePfi15HIP_vector_typeIjLj3EEiiiSA_iiiSA_iiii.has_indirect_call, 0
	.section	.AMDGPU.csdata,"",@progbits
; Kernel info:
; codeLenInByte = 1916
; TotalNumSgprs: 38
; NumVgprs: 21
; ScratchSize: 0
; MemoryBound: 0
; FloatMode: 240
; IeeeMode: 1
; LDSByteSize: 0 bytes/workgroup (compile time only)
; SGPRBlocks: 0
; VGPRBlocks: 2
; NumSGPRsForWavesPerEU: 38
; NumVGPRsForWavesPerEU: 21
; Occupancy: 16
; WaveLimiterHint : 0
; COMPUTE_PGM_RSRC2:SCRATCH_EN: 0
; COMPUTE_PGM_RSRC2:USER_SGPR: 6
; COMPUTE_PGM_RSRC2:TRAP_HANDLER: 0
; COMPUTE_PGM_RSRC2:TGID_X_EN: 1
; COMPUTE_PGM_RSRC2:TGID_Y_EN: 1
; COMPUTE_PGM_RSRC2:TGID_Z_EN: 1
; COMPUTE_PGM_RSRC2:TIDIG_COMP_CNT: 0
	.section	.text._ZL13mul_mat_vec_fIffLi4ELi96ELb0ELb0EEvPKT_PKfPKi31ggml_cuda_mm_fusion_args_devicePfi15HIP_vector_typeIjLj3EEiiiSA_iiiSA_iiii,"axG",@progbits,_ZL13mul_mat_vec_fIffLi4ELi96ELb0ELb0EEvPKT_PKfPKi31ggml_cuda_mm_fusion_args_devicePfi15HIP_vector_typeIjLj3EEiiiSA_iiiSA_iiii,comdat
	.globl	_ZL13mul_mat_vec_fIffLi4ELi96ELb0ELb0EEvPKT_PKfPKi31ggml_cuda_mm_fusion_args_devicePfi15HIP_vector_typeIjLj3EEiiiSA_iiiSA_iiii ; -- Begin function _ZL13mul_mat_vec_fIffLi4ELi96ELb0ELb0EEvPKT_PKfPKi31ggml_cuda_mm_fusion_args_devicePfi15HIP_vector_typeIjLj3EEiiiSA_iiiSA_iiii
	.p2align	8
	.type	_ZL13mul_mat_vec_fIffLi4ELi96ELb0ELb0EEvPKT_PKfPKi31ggml_cuda_mm_fusion_args_devicePfi15HIP_vector_typeIjLj3EEiiiSA_iiiSA_iiii,@function
_ZL13mul_mat_vec_fIffLi4ELi96ELb0ELb0EEvPKT_PKfPKi31ggml_cuda_mm_fusion_args_devicePfi15HIP_vector_typeIjLj3EEiiiSA_iiiSA_iiii: ; @_ZL13mul_mat_vec_fIffLi4ELi96ELb0ELb0EEvPKT_PKfPKi31ggml_cuda_mm_fusion_args_devicePfi15HIP_vector_typeIjLj3EEiiiSA_iiiSA_iiii
; %bb.0:
	s_clause 0x2
	s_load_dwordx2 s[0:1], s[4:5], 0x10
	s_load_dwordx8 s[12:19], s[4:5], 0x40
	s_load_dwordx4 s[20:23], s[4:5], 0x80
	s_waitcnt lgkmcnt(0)
	s_cmp_eq_u64 s[0:1], 0
	s_cselect_b32 s10, -1, 0
	s_cmp_lg_u64 s[0:1], 0
	s_cselect_b32 s9, -1, 0
	s_and_b32 vcc_lo, exec_lo, s10
	s_cbranch_vccnz .LBB50_2
; %bb.1:
	s_mul_i32 s2, s23, s8
	s_mov_b32 s3, 0
	s_add_i32 s2, s2, s7
	s_lshl_b64 s[24:25], s[2:3], 2
	s_add_u32 s0, s0, s24
	s_addc_u32 s1, s1, s25
	s_load_dword s19, s[0:1], 0x0
	s_cbranch_execz .LBB50_3
	s_branch .LBB50_4
.LBB50_2:
                                        ; implicit-def: $sgpr19
.LBB50_3:
	s_load_dwordx2 s[0:1], s[4:5], 0x5c
	s_waitcnt lgkmcnt(0)
	s_mul_hi_u32 s0, s0, s7
	s_add_i32 s0, s7, s0
	s_lshr_b32 s19, s0, s1
.LBB50_4:
	s_load_dwordx4 s[24:27], s[4:5], 0x68
	s_andn2_b32 vcc_lo, exec_lo, s9
	s_mov_b32 s23, s7
	s_cbranch_vccnz .LBB50_6
; %bb.5:
	s_mul_hi_u32 s0, s13, s7
	s_add_i32 s0, s7, s0
	s_lshr_b32 s0, s0, s14
	s_mul_i32 s0, s0, s15
	s_sub_i32 s23, s7, s0
.LBB50_6:
	s_load_dword s9, s[4:5], 0x78
	v_cmp_gt_u32_e32 vcc_lo, 32, v0
	v_lshl_add_u32 v5, v0, 2, 0
	s_and_saveexec_b32 s0, vcc_lo
; %bb.7:
	v_mov_b32_e32 v1, 0
	ds_write_b32 v5, v1
; %bb.8:
	s_or_b32 exec_lo, exec_lo, s0
	v_mov_b32_e32 v6, 0
	v_mov_b32_e32 v7, 0
	;; [unrolled: 1-line block ×4, first 2 shown]
	s_and_b32 s0, exec_lo, s10
	s_mov_b32 s11, 0
	s_cselect_b32 s10, s8, 0
	s_mov_b32 s13, exec_lo
	s_waitcnt lgkmcnt(0)
	s_barrier
	buffer_gl0_inv
	v_cmpx_gt_i32_e64 s12, v0
	s_cbranch_execz .LBB50_12
; %bb.9:
	s_load_dwordx4 s[0:3], s[4:5], 0x0
	s_mul_hi_u32 s27, s27, s10
	s_mul_hi_i32 s15, s21, s10
	s_mul_i32 s14, s21, s10
	s_mul_i32 s24, s19, s24
	;; [unrolled: 1-line block ×4, first 2 shown]
	s_add_i32 s16, s10, s27
	s_lshl_b64 s[34:35], s[14:15], 2
	s_ashr_i32 s25, s24, 31
	s_ashr_i32 s29, s28, 31
	;; [unrolled: 1-line block ×3, first 2 shown]
	s_lshr_b32 s9, s16, s9
	v_lshlrev_b32_e32 v1, 3, v0
	s_mul_hi_i32 s21, s9, s20
	s_mul_i32 s20, s9, s20
	s_mov_b32 s8, s17
	v_mov_b32_e32 v9, 0
	v_mov_b32_e32 v10, v0
	;; [unrolled: 1-line block ×3, first 2 shown]
	s_waitcnt lgkmcnt(0)
	s_add_u32 s14, s2, s34
	s_addc_u32 s15, s3, s35
	s_lshl_b64 s[30:31], s[30:31], 2
	v_mov_b32_e32 v7, 0
	s_add_u32 s14, s14, s30
	s_addc_u32 s15, s15, s31
	s_lshl_b64 s[24:25], s[24:25], 2
	s_ashr_i32 s9, s17, 31
	s_add_i32 s16, s17, s17
	s_lshl_b64 s[20:21], s[20:21], 2
	s_lshl_b64 s[28:29], s[28:29], 2
	s_add_u32 s0, s0, s24
	s_addc_u32 s1, s1, s25
	s_add_u32 s0, s0, s28
	s_addc_u32 s1, s1, s29
	;; [unrolled: 2-line block ×3, first 2 shown]
	v_add_co_u32 v2, s0, s0, v1
	s_lshl_b64 s[8:9], s[8:9], 3
	v_add_co_ci_u32_e64 v3, null, s1, 0, s0
	s_add_u32 s0, s2, s30
	s_addc_u32 s1, s3, s31
	s_add_u32 s0, s0, s34
	s_addc_u32 s1, s1, s35
	v_add_co_u32 v4, s0, s0, v1
	v_add_co_ci_u32_e64 v6, null, s1, 0, s0
	v_add_co_u32 v1, s0, v2, 4
	v_add_co_ci_u32_e64 v2, null, 0, v3, s0
	;; [unrolled: 2-line block ×3, first 2 shown]
	v_mov_b32_e32 v6, 0
	s_mul_i32 s1, s17, 3
.LBB50_10:                              ; =>This Inner Loop Header: Depth=1
	v_add_nc_u32_e32 v11, s16, v10
	v_add_nc_u32_e32 v15, s1, v10
	v_add_co_u32 v13, s0, v3, s8
	v_add_co_ci_u32_e64 v14, null, s9, v4, s0
	v_ashrrev_i32_e32 v12, 31, v11
	v_ashrrev_i32_e32 v16, 31, v15
	v_add_nc_u32_e32 v10, 0x60, v10
	v_lshlrev_b64 v[11:12], 3, v[11:12]
	v_lshlrev_b64 v[15:16], 3, v[15:16]
	v_add_co_u32 v11, s0, s14, v11
	v_add_co_ci_u32_e64 v12, null, s15, v12, s0
	v_add_co_u32 v15, s0, s14, v15
	v_add_co_ci_u32_e64 v16, null, s15, v16, s0
	global_load_dwordx2 v[17:18], v[1:2], off offset:-4
	s_clause 0x1
	global_load_dwordx2 v[19:20], v[3:4], off offset:-4
	global_load_dwordx2 v[13:14], v[13:14], off offset:-4
	s_clause 0x1
	global_load_dwordx2 v[11:12], v[11:12], off
	global_load_dwordx2 v[15:16], v[15:16], off
	v_add_co_u32 v1, s0, 0x300, v1
	v_add_co_ci_u32_e64 v2, null, 0, v2, s0
	v_add_co_u32 v3, s0, 0x300, v3
	v_add_co_ci_u32_e64 v4, null, 0, v4, s0
	v_cmp_le_i32_e64 s0, s12, v10
	s_or_b32 s11, s0, s11
	s_waitcnt vmcnt(3)
	v_fmac_f32_e32 v9, v17, v19
	s_waitcnt vmcnt(2)
	v_fmac_f32_e32 v8, v17, v13
	;; [unrolled: 2-line block ×4, first 2 shown]
	v_fmac_f32_e32 v9, v18, v20
	v_fmac_f32_e32 v8, v18, v14
	;; [unrolled: 1-line block ×4, first 2 shown]
	s_andn2_b32 exec_lo, exec_lo, s11
	s_cbranch_execnz .LBB50_10
; %bb.11:
	s_or_b32 exec_lo, exec_lo, s11
.LBB50_12:
	s_or_b32 exec_lo, exec_lo, s13
	v_mbcnt_lo_u32_b32 v2, -1, 0
	v_xor_b32_e32 v1, 16, v2
	v_xor_b32_e32 v3, 8, v2
	v_cmp_gt_i32_e64 s0, 32, v1
	v_cndmask_b32_e64 v1, v2, v1, s0
	v_cmp_gt_i32_e64 s0, 32, v3
	v_lshlrev_b32_e32 v1, 2, v1
	v_cndmask_b32_e64 v3, v2, v3, s0
	ds_bpermute_b32 v4, v1, v9
	v_lshlrev_b32_e32 v3, 2, v3
	s_waitcnt lgkmcnt(0)
	v_add_f32_e32 v9, v9, v4
	v_xor_b32_e32 v4, 4, v2
	ds_bpermute_b32 v10, v3, v9
	v_cmp_gt_i32_e64 s0, 32, v4
	v_cndmask_b32_e64 v4, v2, v4, s0
	v_lshlrev_b32_e32 v4, 2, v4
	s_waitcnt lgkmcnt(0)
	v_add_f32_e32 v10, v9, v10
	v_xor_b32_e32 v9, 2, v2
	ds_bpermute_b32 v11, v4, v10
	v_cmp_gt_i32_e64 s0, 32, v9
	v_cndmask_b32_e64 v9, v2, v9, s0
	;; [unrolled: 7-line block ×3, first 2 shown]
	v_lshlrev_b32_e32 v10, 2, v2
	s_waitcnt lgkmcnt(0)
	v_add_f32_e32 v2, v11, v12
	v_lshrrev_b32_e32 v11, 3, v0
	ds_bpermute_b32 v12, v10, v2
	v_and_b32_e32 v11, 0x7c, v11
	v_add_nc_u32_e32 v11, 0, v11
	s_waitcnt lgkmcnt(0)
	v_add_f32_e32 v2, v2, v12
	ds_write_b32 v11, v2
	s_waitcnt lgkmcnt(0)
	s_barrier
	buffer_gl0_inv
	s_and_saveexec_b32 s0, vcc_lo
	s_cbranch_execz .LBB50_14
; %bb.13:
	ds_read_b32 v2, v5
	s_waitcnt lgkmcnt(0)
	ds_bpermute_b32 v12, v1, v2
	s_waitcnt lgkmcnt(0)
	v_add_f32_e32 v2, v2, v12
	ds_bpermute_b32 v12, v3, v2
	s_waitcnt lgkmcnt(0)
	v_add_f32_e32 v2, v2, v12
	ds_bpermute_b32 v12, v4, v2
	s_waitcnt lgkmcnt(0)
	v_add_f32_e32 v2, v2, v12
	ds_bpermute_b32 v12, v9, v2
	s_waitcnt lgkmcnt(0)
	v_add_f32_e32 v2, v2, v12
	ds_bpermute_b32 v12, v10, v2
	s_waitcnt lgkmcnt(0)
	v_add_f32_e32 v2, v2, v12
.LBB50_14:
	s_or_b32 exec_lo, exec_lo, s0
	ds_bpermute_b32 v12, v1, v8
	s_waitcnt lgkmcnt(0)
	s_barrier
	buffer_gl0_inv
	v_add_f32_e32 v8, v8, v12
	ds_bpermute_b32 v12, v3, v8
	s_waitcnt lgkmcnt(0)
	v_add_f32_e32 v8, v8, v12
	ds_bpermute_b32 v12, v4, v8
	s_waitcnt lgkmcnt(0)
	v_add_f32_e32 v8, v8, v12
	ds_bpermute_b32 v12, v9, v8
	s_waitcnt lgkmcnt(0)
	v_add_f32_e32 v8, v8, v12
	ds_bpermute_b32 v12, v10, v8
	s_waitcnt lgkmcnt(0)
	v_add_f32_e32 v8, v8, v12
	ds_write_b32 v11, v8
	s_waitcnt lgkmcnt(0)
	s_barrier
	buffer_gl0_inv
	s_and_saveexec_b32 s0, vcc_lo
	s_cbranch_execz .LBB50_16
; %bb.15:
	ds_read_b32 v8, v5
	s_waitcnt lgkmcnt(0)
	ds_bpermute_b32 v12, v1, v8
	s_waitcnt lgkmcnt(0)
	v_add_f32_e32 v8, v8, v12
	ds_bpermute_b32 v12, v3, v8
	s_waitcnt lgkmcnt(0)
	v_add_f32_e32 v8, v8, v12
	ds_bpermute_b32 v12, v4, v8
	s_waitcnt lgkmcnt(0)
	v_add_f32_e32 v8, v8, v12
	ds_bpermute_b32 v12, v9, v8
	s_waitcnt lgkmcnt(0)
	v_add_f32_e32 v8, v8, v12
	ds_bpermute_b32 v12, v10, v8
	s_waitcnt lgkmcnt(0)
	v_add_f32_e32 v8, v8, v12
.LBB50_16:
	s_or_b32 exec_lo, exec_lo, s0
	ds_bpermute_b32 v12, v1, v7
	s_waitcnt lgkmcnt(0)
	s_barrier
	buffer_gl0_inv
	v_add_f32_e32 v7, v7, v12
	ds_bpermute_b32 v12, v3, v7
	s_waitcnt lgkmcnt(0)
	v_add_f32_e32 v7, v7, v12
	ds_bpermute_b32 v12, v4, v7
	s_waitcnt lgkmcnt(0)
	v_add_f32_e32 v7, v7, v12
	ds_bpermute_b32 v12, v9, v7
	s_waitcnt lgkmcnt(0)
	v_add_f32_e32 v7, v7, v12
	ds_bpermute_b32 v12, v10, v7
	;; [unrolled: 43-line block ×3, first 2 shown]
	s_waitcnt lgkmcnt(0)
	v_add_f32_e32 v6, v6, v12
	ds_write_b32 v11, v6
	s_waitcnt lgkmcnt(0)
	s_barrier
	buffer_gl0_inv
	s_and_saveexec_b32 s0, vcc_lo
	s_cbranch_execz .LBB50_20
; %bb.19:
	ds_read_b32 v5, v5
	s_waitcnt lgkmcnt(0)
	ds_bpermute_b32 v1, v1, v5
	s_waitcnt lgkmcnt(0)
	v_add_f32_e32 v1, v5, v1
	ds_bpermute_b32 v3, v3, v1
	s_waitcnt lgkmcnt(0)
	v_add_f32_e32 v1, v1, v3
	;; [unrolled: 3-line block ×5, first 2 shown]
.LBB50_20:
	s_or_b32 exec_lo, exec_lo, s0
	s_barrier
	buffer_gl0_inv
	s_mov_b32 s0, exec_lo
	v_cmpx_gt_u32_e32 4, v0
	s_cbranch_execz .LBB50_22
; %bb.21:
	s_load_dwordx2 s[0:1], s[4:5], 0x38
	v_mad_u64_u32 v[3:4], null, s18, v0, s[6:7]
	v_cmp_eq_u32_e32 vcc_lo, 1, v0
	s_mul_hi_i32 s3, s22, s10
	s_mul_i32 s2, s22, s10
	s_mul_i32 s4, s26, s7
	s_lshl_b64 s[2:3], s[2:3], 2
	v_cndmask_b32_e32 v1, v2, v8, vcc_lo
	v_ashrrev_i32_e32 v4, 31, v3
	v_cmp_eq_u32_e32 vcc_lo, 2, v0
	s_ashr_i32 s5, s4, 31
	v_cndmask_b32_e32 v5, v1, v7, vcc_lo
	v_lshlrev_b64 v[1:2], 2, v[3:4]
	v_cmp_eq_u32_e32 vcc_lo, 3, v0
	s_waitcnt lgkmcnt(0)
	s_add_u32 s2, s0, s2
	s_addc_u32 s3, s1, s3
	s_lshl_b64 s[0:1], s[4:5], 2
	v_cndmask_b32_e32 v3, v5, v6, vcc_lo
	s_add_u32 s0, s2, s0
	s_addc_u32 s1, s3, s1
	v_add_co_u32 v0, vcc_lo, s0, v1
	v_add_co_ci_u32_e64 v1, null, s1, v2, vcc_lo
	global_store_dword v[0:1], v3, off
.LBB50_22:
	s_endpgm
	.section	.rodata,"a",@progbits
	.p2align	6, 0x0
	.amdhsa_kernel _ZL13mul_mat_vec_fIffLi4ELi96ELb0ELb0EEvPKT_PKfPKi31ggml_cuda_mm_fusion_args_devicePfi15HIP_vector_typeIjLj3EEiiiSA_iiiSA_iiii
		.amdhsa_group_segment_fixed_size 0
		.amdhsa_private_segment_fixed_size 0
		.amdhsa_kernarg_size 144
		.amdhsa_user_sgpr_count 6
		.amdhsa_user_sgpr_private_segment_buffer 1
		.amdhsa_user_sgpr_dispatch_ptr 0
		.amdhsa_user_sgpr_queue_ptr 0
		.amdhsa_user_sgpr_kernarg_segment_ptr 1
		.amdhsa_user_sgpr_dispatch_id 0
		.amdhsa_user_sgpr_flat_scratch_init 0
		.amdhsa_user_sgpr_private_segment_size 0
		.amdhsa_wavefront_size32 1
		.amdhsa_uses_dynamic_stack 0
		.amdhsa_system_sgpr_private_segment_wavefront_offset 0
		.amdhsa_system_sgpr_workgroup_id_x 1
		.amdhsa_system_sgpr_workgroup_id_y 1
		.amdhsa_system_sgpr_workgroup_id_z 1
		.amdhsa_system_sgpr_workgroup_info 0
		.amdhsa_system_vgpr_workitem_id 0
		.amdhsa_next_free_vgpr 21
		.amdhsa_next_free_sgpr 36
		.amdhsa_reserve_vcc 1
		.amdhsa_reserve_flat_scratch 0
		.amdhsa_float_round_mode_32 0
		.amdhsa_float_round_mode_16_64 0
		.amdhsa_float_denorm_mode_32 3
		.amdhsa_float_denorm_mode_16_64 3
		.amdhsa_dx10_clamp 1
		.amdhsa_ieee_mode 1
		.amdhsa_fp16_overflow 0
		.amdhsa_workgroup_processor_mode 1
		.amdhsa_memory_ordered 1
		.amdhsa_forward_progress 1
		.amdhsa_shared_vgpr_count 0
		.amdhsa_exception_fp_ieee_invalid_op 0
		.amdhsa_exception_fp_denorm_src 0
		.amdhsa_exception_fp_ieee_div_zero 0
		.amdhsa_exception_fp_ieee_overflow 0
		.amdhsa_exception_fp_ieee_underflow 0
		.amdhsa_exception_fp_ieee_inexact 0
		.amdhsa_exception_int_div_zero 0
	.end_amdhsa_kernel
	.section	.text._ZL13mul_mat_vec_fIffLi4ELi96ELb0ELb0EEvPKT_PKfPKi31ggml_cuda_mm_fusion_args_devicePfi15HIP_vector_typeIjLj3EEiiiSA_iiiSA_iiii,"axG",@progbits,_ZL13mul_mat_vec_fIffLi4ELi96ELb0ELb0EEvPKT_PKfPKi31ggml_cuda_mm_fusion_args_devicePfi15HIP_vector_typeIjLj3EEiiiSA_iiiSA_iiii,comdat
.Lfunc_end50:
	.size	_ZL13mul_mat_vec_fIffLi4ELi96ELb0ELb0EEvPKT_PKfPKi31ggml_cuda_mm_fusion_args_devicePfi15HIP_vector_typeIjLj3EEiiiSA_iiiSA_iiii, .Lfunc_end50-_ZL13mul_mat_vec_fIffLi4ELi96ELb0ELb0EEvPKT_PKfPKi31ggml_cuda_mm_fusion_args_devicePfi15HIP_vector_typeIjLj3EEiiiSA_iiiSA_iiii
                                        ; -- End function
	.set _ZL13mul_mat_vec_fIffLi4ELi96ELb0ELb0EEvPKT_PKfPKi31ggml_cuda_mm_fusion_args_devicePfi15HIP_vector_typeIjLj3EEiiiSA_iiiSA_iiii.num_vgpr, 21
	.set _ZL13mul_mat_vec_fIffLi4ELi96ELb0ELb0EEvPKT_PKfPKi31ggml_cuda_mm_fusion_args_devicePfi15HIP_vector_typeIjLj3EEiiiSA_iiiSA_iiii.num_agpr, 0
	.set _ZL13mul_mat_vec_fIffLi4ELi96ELb0ELb0EEvPKT_PKfPKi31ggml_cuda_mm_fusion_args_devicePfi15HIP_vector_typeIjLj3EEiiiSA_iiiSA_iiii.numbered_sgpr, 36
	.set _ZL13mul_mat_vec_fIffLi4ELi96ELb0ELb0EEvPKT_PKfPKi31ggml_cuda_mm_fusion_args_devicePfi15HIP_vector_typeIjLj3EEiiiSA_iiiSA_iiii.num_named_barrier, 0
	.set _ZL13mul_mat_vec_fIffLi4ELi96ELb0ELb0EEvPKT_PKfPKi31ggml_cuda_mm_fusion_args_devicePfi15HIP_vector_typeIjLj3EEiiiSA_iiiSA_iiii.private_seg_size, 0
	.set _ZL13mul_mat_vec_fIffLi4ELi96ELb0ELb0EEvPKT_PKfPKi31ggml_cuda_mm_fusion_args_devicePfi15HIP_vector_typeIjLj3EEiiiSA_iiiSA_iiii.uses_vcc, 1
	.set _ZL13mul_mat_vec_fIffLi4ELi96ELb0ELb0EEvPKT_PKfPKi31ggml_cuda_mm_fusion_args_devicePfi15HIP_vector_typeIjLj3EEiiiSA_iiiSA_iiii.uses_flat_scratch, 0
	.set _ZL13mul_mat_vec_fIffLi4ELi96ELb0ELb0EEvPKT_PKfPKi31ggml_cuda_mm_fusion_args_devicePfi15HIP_vector_typeIjLj3EEiiiSA_iiiSA_iiii.has_dyn_sized_stack, 0
	.set _ZL13mul_mat_vec_fIffLi4ELi96ELb0ELb0EEvPKT_PKfPKi31ggml_cuda_mm_fusion_args_devicePfi15HIP_vector_typeIjLj3EEiiiSA_iiiSA_iiii.has_recursion, 0
	.set _ZL13mul_mat_vec_fIffLi4ELi96ELb0ELb0EEvPKT_PKfPKi31ggml_cuda_mm_fusion_args_devicePfi15HIP_vector_typeIjLj3EEiiiSA_iiiSA_iiii.has_indirect_call, 0
	.section	.AMDGPU.csdata,"",@progbits
; Kernel info:
; codeLenInByte = 1920
; TotalNumSgprs: 38
; NumVgprs: 21
; ScratchSize: 0
; MemoryBound: 0
; FloatMode: 240
; IeeeMode: 1
; LDSByteSize: 0 bytes/workgroup (compile time only)
; SGPRBlocks: 0
; VGPRBlocks: 2
; NumSGPRsForWavesPerEU: 38
; NumVGPRsForWavesPerEU: 21
; Occupancy: 16
; WaveLimiterHint : 0
; COMPUTE_PGM_RSRC2:SCRATCH_EN: 0
; COMPUTE_PGM_RSRC2:USER_SGPR: 6
; COMPUTE_PGM_RSRC2:TRAP_HANDLER: 0
; COMPUTE_PGM_RSRC2:TGID_X_EN: 1
; COMPUTE_PGM_RSRC2:TGID_Y_EN: 1
; COMPUTE_PGM_RSRC2:TGID_Z_EN: 1
; COMPUTE_PGM_RSRC2:TIDIG_COMP_CNT: 0
	.section	.text._ZL13mul_mat_vec_fIffLi4ELi128ELb0ELb0EEvPKT_PKfPKi31ggml_cuda_mm_fusion_args_devicePfi15HIP_vector_typeIjLj3EEiiiSA_iiiSA_iiii,"axG",@progbits,_ZL13mul_mat_vec_fIffLi4ELi128ELb0ELb0EEvPKT_PKfPKi31ggml_cuda_mm_fusion_args_devicePfi15HIP_vector_typeIjLj3EEiiiSA_iiiSA_iiii,comdat
	.globl	_ZL13mul_mat_vec_fIffLi4ELi128ELb0ELb0EEvPKT_PKfPKi31ggml_cuda_mm_fusion_args_devicePfi15HIP_vector_typeIjLj3EEiiiSA_iiiSA_iiii ; -- Begin function _ZL13mul_mat_vec_fIffLi4ELi128ELb0ELb0EEvPKT_PKfPKi31ggml_cuda_mm_fusion_args_devicePfi15HIP_vector_typeIjLj3EEiiiSA_iiiSA_iiii
	.p2align	8
	.type	_ZL13mul_mat_vec_fIffLi4ELi128ELb0ELb0EEvPKT_PKfPKi31ggml_cuda_mm_fusion_args_devicePfi15HIP_vector_typeIjLj3EEiiiSA_iiiSA_iiii,@function
_ZL13mul_mat_vec_fIffLi4ELi128ELb0ELb0EEvPKT_PKfPKi31ggml_cuda_mm_fusion_args_devicePfi15HIP_vector_typeIjLj3EEiiiSA_iiiSA_iiii: ; @_ZL13mul_mat_vec_fIffLi4ELi128ELb0ELb0EEvPKT_PKfPKi31ggml_cuda_mm_fusion_args_devicePfi15HIP_vector_typeIjLj3EEiiiSA_iiiSA_iiii
; %bb.0:
	s_clause 0x2
	s_load_dwordx2 s[0:1], s[4:5], 0x10
	s_load_dwordx8 s[12:19], s[4:5], 0x40
	s_load_dwordx4 s[20:23], s[4:5], 0x80
	s_waitcnt lgkmcnt(0)
	s_cmp_eq_u64 s[0:1], 0
	s_cselect_b32 s10, -1, 0
	s_cmp_lg_u64 s[0:1], 0
	s_cselect_b32 s9, -1, 0
	s_and_b32 vcc_lo, exec_lo, s10
	s_cbranch_vccnz .LBB51_2
; %bb.1:
	s_mul_i32 s2, s23, s8
	s_mov_b32 s3, 0
	s_add_i32 s2, s2, s7
	s_lshl_b64 s[24:25], s[2:3], 2
	s_add_u32 s0, s0, s24
	s_addc_u32 s1, s1, s25
	s_load_dword s19, s[0:1], 0x0
	s_cbranch_execz .LBB51_3
	s_branch .LBB51_4
.LBB51_2:
                                        ; implicit-def: $sgpr19
.LBB51_3:
	s_load_dwordx2 s[0:1], s[4:5], 0x5c
	s_waitcnt lgkmcnt(0)
	s_mul_hi_u32 s0, s0, s7
	s_add_i32 s0, s7, s0
	s_lshr_b32 s19, s0, s1
.LBB51_4:
	s_load_dwordx4 s[24:27], s[4:5], 0x68
	s_andn2_b32 vcc_lo, exec_lo, s9
	s_mov_b32 s23, s7
	s_cbranch_vccnz .LBB51_6
; %bb.5:
	s_mul_hi_u32 s0, s13, s7
	s_add_i32 s0, s7, s0
	s_lshr_b32 s0, s0, s14
	s_mul_i32 s0, s0, s15
	s_sub_i32 s23, s7, s0
.LBB51_6:
	s_load_dword s9, s[4:5], 0x78
	v_cmp_gt_u32_e32 vcc_lo, 32, v0
	v_lshl_add_u32 v5, v0, 2, 0
	s_and_saveexec_b32 s0, vcc_lo
; %bb.7:
	v_mov_b32_e32 v1, 0
	ds_write_b32 v5, v1
; %bb.8:
	s_or_b32 exec_lo, exec_lo, s0
	v_mov_b32_e32 v6, 0
	v_mov_b32_e32 v7, 0
	;; [unrolled: 1-line block ×4, first 2 shown]
	s_and_b32 s0, exec_lo, s10
	s_mov_b32 s11, 0
	s_cselect_b32 s10, s8, 0
	s_mov_b32 s13, exec_lo
	s_waitcnt lgkmcnt(0)
	s_barrier
	buffer_gl0_inv
	v_cmpx_gt_i32_e64 s12, v0
	s_cbranch_execz .LBB51_12
; %bb.9:
	s_load_dwordx4 s[0:3], s[4:5], 0x0
	s_mul_hi_u32 s27, s27, s10
	s_mul_hi_i32 s15, s21, s10
	s_mul_i32 s14, s21, s10
	s_mul_i32 s24, s19, s24
	;; [unrolled: 1-line block ×4, first 2 shown]
	s_add_i32 s16, s10, s27
	s_lshl_b64 s[34:35], s[14:15], 2
	s_ashr_i32 s25, s24, 31
	s_ashr_i32 s29, s28, 31
	;; [unrolled: 1-line block ×3, first 2 shown]
	s_lshr_b32 s9, s16, s9
	v_lshlrev_b32_e32 v1, 3, v0
	s_mul_hi_i32 s21, s9, s20
	s_mul_i32 s20, s9, s20
	s_mov_b32 s8, s17
	v_mov_b32_e32 v9, 0
	v_mov_b32_e32 v10, v0
	;; [unrolled: 1-line block ×3, first 2 shown]
	s_waitcnt lgkmcnt(0)
	s_add_u32 s14, s2, s34
	s_addc_u32 s15, s3, s35
	s_lshl_b64 s[30:31], s[30:31], 2
	v_mov_b32_e32 v7, 0
	s_add_u32 s14, s14, s30
	s_addc_u32 s15, s15, s31
	s_lshl_b64 s[24:25], s[24:25], 2
	s_ashr_i32 s9, s17, 31
	s_add_i32 s16, s17, s17
	s_lshl_b64 s[20:21], s[20:21], 2
	s_lshl_b64 s[28:29], s[28:29], 2
	s_add_u32 s0, s0, s24
	s_addc_u32 s1, s1, s25
	s_add_u32 s0, s0, s28
	s_addc_u32 s1, s1, s29
	;; [unrolled: 2-line block ×3, first 2 shown]
	v_add_co_u32 v2, s0, s0, v1
	s_lshl_b64 s[8:9], s[8:9], 3
	v_add_co_ci_u32_e64 v3, null, s1, 0, s0
	s_add_u32 s0, s2, s30
	s_addc_u32 s1, s3, s31
	s_add_u32 s0, s0, s34
	s_addc_u32 s1, s1, s35
	v_add_co_u32 v4, s0, s0, v1
	v_add_co_ci_u32_e64 v6, null, s1, 0, s0
	v_add_co_u32 v1, s0, v2, 4
	v_add_co_ci_u32_e64 v2, null, 0, v3, s0
	;; [unrolled: 2-line block ×3, first 2 shown]
	v_mov_b32_e32 v6, 0
	s_mul_i32 s1, s17, 3
.LBB51_10:                              ; =>This Inner Loop Header: Depth=1
	v_add_nc_u32_e32 v11, s16, v10
	v_add_nc_u32_e32 v15, s1, v10
	v_add_co_u32 v13, s0, v3, s8
	v_add_co_ci_u32_e64 v14, null, s9, v4, s0
	v_ashrrev_i32_e32 v12, 31, v11
	v_ashrrev_i32_e32 v16, 31, v15
	v_add_nc_u32_e32 v10, 0x80, v10
	v_lshlrev_b64 v[11:12], 3, v[11:12]
	v_lshlrev_b64 v[15:16], 3, v[15:16]
	v_add_co_u32 v11, s0, s14, v11
	v_add_co_ci_u32_e64 v12, null, s15, v12, s0
	v_add_co_u32 v15, s0, s14, v15
	v_add_co_ci_u32_e64 v16, null, s15, v16, s0
	global_load_dwordx2 v[17:18], v[1:2], off offset:-4
	s_clause 0x1
	global_load_dwordx2 v[19:20], v[3:4], off offset:-4
	global_load_dwordx2 v[13:14], v[13:14], off offset:-4
	s_clause 0x1
	global_load_dwordx2 v[11:12], v[11:12], off
	global_load_dwordx2 v[15:16], v[15:16], off
	v_add_co_u32 v1, s0, 0x400, v1
	v_add_co_ci_u32_e64 v2, null, 0, v2, s0
	v_add_co_u32 v3, s0, 0x400, v3
	v_add_co_ci_u32_e64 v4, null, 0, v4, s0
	v_cmp_le_i32_e64 s0, s12, v10
	s_or_b32 s11, s0, s11
	s_waitcnt vmcnt(3)
	v_fmac_f32_e32 v9, v17, v19
	s_waitcnt vmcnt(2)
	v_fmac_f32_e32 v8, v17, v13
	;; [unrolled: 2-line block ×4, first 2 shown]
	v_fmac_f32_e32 v9, v18, v20
	v_fmac_f32_e32 v8, v18, v14
	;; [unrolled: 1-line block ×4, first 2 shown]
	s_andn2_b32 exec_lo, exec_lo, s11
	s_cbranch_execnz .LBB51_10
; %bb.11:
	s_or_b32 exec_lo, exec_lo, s11
.LBB51_12:
	s_or_b32 exec_lo, exec_lo, s13
	v_mbcnt_lo_u32_b32 v2, -1, 0
	v_xor_b32_e32 v1, 16, v2
	v_xor_b32_e32 v3, 8, v2
	v_cmp_gt_i32_e64 s0, 32, v1
	v_cndmask_b32_e64 v1, v2, v1, s0
	v_cmp_gt_i32_e64 s0, 32, v3
	v_lshlrev_b32_e32 v1, 2, v1
	v_cndmask_b32_e64 v3, v2, v3, s0
	ds_bpermute_b32 v4, v1, v9
	v_lshlrev_b32_e32 v3, 2, v3
	s_waitcnt lgkmcnt(0)
	v_add_f32_e32 v9, v9, v4
	v_xor_b32_e32 v4, 4, v2
	ds_bpermute_b32 v10, v3, v9
	v_cmp_gt_i32_e64 s0, 32, v4
	v_cndmask_b32_e64 v4, v2, v4, s0
	v_lshlrev_b32_e32 v4, 2, v4
	s_waitcnt lgkmcnt(0)
	v_add_f32_e32 v10, v9, v10
	v_xor_b32_e32 v9, 2, v2
	ds_bpermute_b32 v11, v4, v10
	v_cmp_gt_i32_e64 s0, 32, v9
	v_cndmask_b32_e64 v9, v2, v9, s0
	;; [unrolled: 7-line block ×3, first 2 shown]
	v_lshlrev_b32_e32 v10, 2, v2
	s_waitcnt lgkmcnt(0)
	v_add_f32_e32 v2, v11, v12
	v_lshrrev_b32_e32 v11, 3, v0
	ds_bpermute_b32 v12, v10, v2
	v_and_b32_e32 v11, 0x7c, v11
	v_add_nc_u32_e32 v11, 0, v11
	s_waitcnt lgkmcnt(0)
	v_add_f32_e32 v2, v2, v12
	ds_write_b32 v11, v2
	s_waitcnt lgkmcnt(0)
	s_barrier
	buffer_gl0_inv
	s_and_saveexec_b32 s0, vcc_lo
	s_cbranch_execz .LBB51_14
; %bb.13:
	ds_read_b32 v2, v5
	s_waitcnt lgkmcnt(0)
	ds_bpermute_b32 v12, v1, v2
	s_waitcnt lgkmcnt(0)
	v_add_f32_e32 v2, v2, v12
	ds_bpermute_b32 v12, v3, v2
	s_waitcnt lgkmcnt(0)
	v_add_f32_e32 v2, v2, v12
	ds_bpermute_b32 v12, v4, v2
	s_waitcnt lgkmcnt(0)
	v_add_f32_e32 v2, v2, v12
	ds_bpermute_b32 v12, v9, v2
	s_waitcnt lgkmcnt(0)
	v_add_f32_e32 v2, v2, v12
	ds_bpermute_b32 v12, v10, v2
	s_waitcnt lgkmcnt(0)
	v_add_f32_e32 v2, v2, v12
.LBB51_14:
	s_or_b32 exec_lo, exec_lo, s0
	ds_bpermute_b32 v12, v1, v8
	s_waitcnt lgkmcnt(0)
	s_barrier
	buffer_gl0_inv
	v_add_f32_e32 v8, v8, v12
	ds_bpermute_b32 v12, v3, v8
	s_waitcnt lgkmcnt(0)
	v_add_f32_e32 v8, v8, v12
	ds_bpermute_b32 v12, v4, v8
	s_waitcnt lgkmcnt(0)
	v_add_f32_e32 v8, v8, v12
	ds_bpermute_b32 v12, v9, v8
	s_waitcnt lgkmcnt(0)
	v_add_f32_e32 v8, v8, v12
	ds_bpermute_b32 v12, v10, v8
	s_waitcnt lgkmcnt(0)
	v_add_f32_e32 v8, v8, v12
	ds_write_b32 v11, v8
	s_waitcnt lgkmcnt(0)
	s_barrier
	buffer_gl0_inv
	s_and_saveexec_b32 s0, vcc_lo
	s_cbranch_execz .LBB51_16
; %bb.15:
	ds_read_b32 v8, v5
	s_waitcnt lgkmcnt(0)
	ds_bpermute_b32 v12, v1, v8
	s_waitcnt lgkmcnt(0)
	v_add_f32_e32 v8, v8, v12
	ds_bpermute_b32 v12, v3, v8
	s_waitcnt lgkmcnt(0)
	v_add_f32_e32 v8, v8, v12
	ds_bpermute_b32 v12, v4, v8
	s_waitcnt lgkmcnt(0)
	v_add_f32_e32 v8, v8, v12
	ds_bpermute_b32 v12, v9, v8
	s_waitcnt lgkmcnt(0)
	v_add_f32_e32 v8, v8, v12
	ds_bpermute_b32 v12, v10, v8
	s_waitcnt lgkmcnt(0)
	v_add_f32_e32 v8, v8, v12
.LBB51_16:
	s_or_b32 exec_lo, exec_lo, s0
	ds_bpermute_b32 v12, v1, v7
	s_waitcnt lgkmcnt(0)
	s_barrier
	buffer_gl0_inv
	v_add_f32_e32 v7, v7, v12
	ds_bpermute_b32 v12, v3, v7
	s_waitcnt lgkmcnt(0)
	v_add_f32_e32 v7, v7, v12
	ds_bpermute_b32 v12, v4, v7
	s_waitcnt lgkmcnt(0)
	v_add_f32_e32 v7, v7, v12
	ds_bpermute_b32 v12, v9, v7
	s_waitcnt lgkmcnt(0)
	v_add_f32_e32 v7, v7, v12
	ds_bpermute_b32 v12, v10, v7
	;; [unrolled: 43-line block ×3, first 2 shown]
	s_waitcnt lgkmcnt(0)
	v_add_f32_e32 v6, v6, v12
	ds_write_b32 v11, v6
	s_waitcnt lgkmcnt(0)
	s_barrier
	buffer_gl0_inv
	s_and_saveexec_b32 s0, vcc_lo
	s_cbranch_execz .LBB51_20
; %bb.19:
	ds_read_b32 v5, v5
	s_waitcnt lgkmcnt(0)
	ds_bpermute_b32 v1, v1, v5
	s_waitcnt lgkmcnt(0)
	v_add_f32_e32 v1, v5, v1
	ds_bpermute_b32 v3, v3, v1
	s_waitcnt lgkmcnt(0)
	v_add_f32_e32 v1, v1, v3
	;; [unrolled: 3-line block ×5, first 2 shown]
.LBB51_20:
	s_or_b32 exec_lo, exec_lo, s0
	s_barrier
	buffer_gl0_inv
	s_mov_b32 s0, exec_lo
	v_cmpx_gt_u32_e32 4, v0
	s_cbranch_execz .LBB51_22
; %bb.21:
	s_load_dwordx2 s[0:1], s[4:5], 0x38
	v_mad_u64_u32 v[3:4], null, s18, v0, s[6:7]
	v_cmp_eq_u32_e32 vcc_lo, 1, v0
	s_mul_hi_i32 s3, s22, s10
	s_mul_i32 s2, s22, s10
	s_mul_i32 s4, s26, s7
	s_lshl_b64 s[2:3], s[2:3], 2
	v_cndmask_b32_e32 v1, v2, v8, vcc_lo
	v_ashrrev_i32_e32 v4, 31, v3
	v_cmp_eq_u32_e32 vcc_lo, 2, v0
	s_ashr_i32 s5, s4, 31
	v_cndmask_b32_e32 v5, v1, v7, vcc_lo
	v_lshlrev_b64 v[1:2], 2, v[3:4]
	v_cmp_eq_u32_e32 vcc_lo, 3, v0
	s_waitcnt lgkmcnt(0)
	s_add_u32 s2, s0, s2
	s_addc_u32 s3, s1, s3
	s_lshl_b64 s[0:1], s[4:5], 2
	v_cndmask_b32_e32 v3, v5, v6, vcc_lo
	s_add_u32 s0, s2, s0
	s_addc_u32 s1, s3, s1
	v_add_co_u32 v0, vcc_lo, s0, v1
	v_add_co_ci_u32_e64 v1, null, s1, v2, vcc_lo
	global_store_dword v[0:1], v3, off
.LBB51_22:
	s_endpgm
	.section	.rodata,"a",@progbits
	.p2align	6, 0x0
	.amdhsa_kernel _ZL13mul_mat_vec_fIffLi4ELi128ELb0ELb0EEvPKT_PKfPKi31ggml_cuda_mm_fusion_args_devicePfi15HIP_vector_typeIjLj3EEiiiSA_iiiSA_iiii
		.amdhsa_group_segment_fixed_size 0
		.amdhsa_private_segment_fixed_size 0
		.amdhsa_kernarg_size 144
		.amdhsa_user_sgpr_count 6
		.amdhsa_user_sgpr_private_segment_buffer 1
		.amdhsa_user_sgpr_dispatch_ptr 0
		.amdhsa_user_sgpr_queue_ptr 0
		.amdhsa_user_sgpr_kernarg_segment_ptr 1
		.amdhsa_user_sgpr_dispatch_id 0
		.amdhsa_user_sgpr_flat_scratch_init 0
		.amdhsa_user_sgpr_private_segment_size 0
		.amdhsa_wavefront_size32 1
		.amdhsa_uses_dynamic_stack 0
		.amdhsa_system_sgpr_private_segment_wavefront_offset 0
		.amdhsa_system_sgpr_workgroup_id_x 1
		.amdhsa_system_sgpr_workgroup_id_y 1
		.amdhsa_system_sgpr_workgroup_id_z 1
		.amdhsa_system_sgpr_workgroup_info 0
		.amdhsa_system_vgpr_workitem_id 0
		.amdhsa_next_free_vgpr 21
		.amdhsa_next_free_sgpr 36
		.amdhsa_reserve_vcc 1
		.amdhsa_reserve_flat_scratch 0
		.amdhsa_float_round_mode_32 0
		.amdhsa_float_round_mode_16_64 0
		.amdhsa_float_denorm_mode_32 3
		.amdhsa_float_denorm_mode_16_64 3
		.amdhsa_dx10_clamp 1
		.amdhsa_ieee_mode 1
		.amdhsa_fp16_overflow 0
		.amdhsa_workgroup_processor_mode 1
		.amdhsa_memory_ordered 1
		.amdhsa_forward_progress 1
		.amdhsa_shared_vgpr_count 0
		.amdhsa_exception_fp_ieee_invalid_op 0
		.amdhsa_exception_fp_denorm_src 0
		.amdhsa_exception_fp_ieee_div_zero 0
		.amdhsa_exception_fp_ieee_overflow 0
		.amdhsa_exception_fp_ieee_underflow 0
		.amdhsa_exception_fp_ieee_inexact 0
		.amdhsa_exception_int_div_zero 0
	.end_amdhsa_kernel
	.section	.text._ZL13mul_mat_vec_fIffLi4ELi128ELb0ELb0EEvPKT_PKfPKi31ggml_cuda_mm_fusion_args_devicePfi15HIP_vector_typeIjLj3EEiiiSA_iiiSA_iiii,"axG",@progbits,_ZL13mul_mat_vec_fIffLi4ELi128ELb0ELb0EEvPKT_PKfPKi31ggml_cuda_mm_fusion_args_devicePfi15HIP_vector_typeIjLj3EEiiiSA_iiiSA_iiii,comdat
.Lfunc_end51:
	.size	_ZL13mul_mat_vec_fIffLi4ELi128ELb0ELb0EEvPKT_PKfPKi31ggml_cuda_mm_fusion_args_devicePfi15HIP_vector_typeIjLj3EEiiiSA_iiiSA_iiii, .Lfunc_end51-_ZL13mul_mat_vec_fIffLi4ELi128ELb0ELb0EEvPKT_PKfPKi31ggml_cuda_mm_fusion_args_devicePfi15HIP_vector_typeIjLj3EEiiiSA_iiiSA_iiii
                                        ; -- End function
	.set _ZL13mul_mat_vec_fIffLi4ELi128ELb0ELb0EEvPKT_PKfPKi31ggml_cuda_mm_fusion_args_devicePfi15HIP_vector_typeIjLj3EEiiiSA_iiiSA_iiii.num_vgpr, 21
	.set _ZL13mul_mat_vec_fIffLi4ELi128ELb0ELb0EEvPKT_PKfPKi31ggml_cuda_mm_fusion_args_devicePfi15HIP_vector_typeIjLj3EEiiiSA_iiiSA_iiii.num_agpr, 0
	.set _ZL13mul_mat_vec_fIffLi4ELi128ELb0ELb0EEvPKT_PKfPKi31ggml_cuda_mm_fusion_args_devicePfi15HIP_vector_typeIjLj3EEiiiSA_iiiSA_iiii.numbered_sgpr, 36
	.set _ZL13mul_mat_vec_fIffLi4ELi128ELb0ELb0EEvPKT_PKfPKi31ggml_cuda_mm_fusion_args_devicePfi15HIP_vector_typeIjLj3EEiiiSA_iiiSA_iiii.num_named_barrier, 0
	.set _ZL13mul_mat_vec_fIffLi4ELi128ELb0ELb0EEvPKT_PKfPKi31ggml_cuda_mm_fusion_args_devicePfi15HIP_vector_typeIjLj3EEiiiSA_iiiSA_iiii.private_seg_size, 0
	.set _ZL13mul_mat_vec_fIffLi4ELi128ELb0ELb0EEvPKT_PKfPKi31ggml_cuda_mm_fusion_args_devicePfi15HIP_vector_typeIjLj3EEiiiSA_iiiSA_iiii.uses_vcc, 1
	.set _ZL13mul_mat_vec_fIffLi4ELi128ELb0ELb0EEvPKT_PKfPKi31ggml_cuda_mm_fusion_args_devicePfi15HIP_vector_typeIjLj3EEiiiSA_iiiSA_iiii.uses_flat_scratch, 0
	.set _ZL13mul_mat_vec_fIffLi4ELi128ELb0ELb0EEvPKT_PKfPKi31ggml_cuda_mm_fusion_args_devicePfi15HIP_vector_typeIjLj3EEiiiSA_iiiSA_iiii.has_dyn_sized_stack, 0
	.set _ZL13mul_mat_vec_fIffLi4ELi128ELb0ELb0EEvPKT_PKfPKi31ggml_cuda_mm_fusion_args_devicePfi15HIP_vector_typeIjLj3EEiiiSA_iiiSA_iiii.has_recursion, 0
	.set _ZL13mul_mat_vec_fIffLi4ELi128ELb0ELb0EEvPKT_PKfPKi31ggml_cuda_mm_fusion_args_devicePfi15HIP_vector_typeIjLj3EEiiiSA_iiiSA_iiii.has_indirect_call, 0
	.section	.AMDGPU.csdata,"",@progbits
; Kernel info:
; codeLenInByte = 1920
; TotalNumSgprs: 38
; NumVgprs: 21
; ScratchSize: 0
; MemoryBound: 0
; FloatMode: 240
; IeeeMode: 1
; LDSByteSize: 0 bytes/workgroup (compile time only)
; SGPRBlocks: 0
; VGPRBlocks: 2
; NumSGPRsForWavesPerEU: 38
; NumVGPRsForWavesPerEU: 21
; Occupancy: 16
; WaveLimiterHint : 0
; COMPUTE_PGM_RSRC2:SCRATCH_EN: 0
; COMPUTE_PGM_RSRC2:USER_SGPR: 6
; COMPUTE_PGM_RSRC2:TRAP_HANDLER: 0
; COMPUTE_PGM_RSRC2:TGID_X_EN: 1
; COMPUTE_PGM_RSRC2:TGID_Y_EN: 1
; COMPUTE_PGM_RSRC2:TGID_Z_EN: 1
; COMPUTE_PGM_RSRC2:TIDIG_COMP_CNT: 0
	.section	.text._ZL13mul_mat_vec_fIffLi4ELi160ELb0ELb0EEvPKT_PKfPKi31ggml_cuda_mm_fusion_args_devicePfi15HIP_vector_typeIjLj3EEiiiSA_iiiSA_iiii,"axG",@progbits,_ZL13mul_mat_vec_fIffLi4ELi160ELb0ELb0EEvPKT_PKfPKi31ggml_cuda_mm_fusion_args_devicePfi15HIP_vector_typeIjLj3EEiiiSA_iiiSA_iiii,comdat
	.globl	_ZL13mul_mat_vec_fIffLi4ELi160ELb0ELb0EEvPKT_PKfPKi31ggml_cuda_mm_fusion_args_devicePfi15HIP_vector_typeIjLj3EEiiiSA_iiiSA_iiii ; -- Begin function _ZL13mul_mat_vec_fIffLi4ELi160ELb0ELb0EEvPKT_PKfPKi31ggml_cuda_mm_fusion_args_devicePfi15HIP_vector_typeIjLj3EEiiiSA_iiiSA_iiii
	.p2align	8
	.type	_ZL13mul_mat_vec_fIffLi4ELi160ELb0ELb0EEvPKT_PKfPKi31ggml_cuda_mm_fusion_args_devicePfi15HIP_vector_typeIjLj3EEiiiSA_iiiSA_iiii,@function
_ZL13mul_mat_vec_fIffLi4ELi160ELb0ELb0EEvPKT_PKfPKi31ggml_cuda_mm_fusion_args_devicePfi15HIP_vector_typeIjLj3EEiiiSA_iiiSA_iiii: ; @_ZL13mul_mat_vec_fIffLi4ELi160ELb0ELb0EEvPKT_PKfPKi31ggml_cuda_mm_fusion_args_devicePfi15HIP_vector_typeIjLj3EEiiiSA_iiiSA_iiii
; %bb.0:
	s_clause 0x2
	s_load_dwordx2 s[0:1], s[4:5], 0x10
	s_load_dwordx8 s[12:19], s[4:5], 0x40
	s_load_dwordx4 s[20:23], s[4:5], 0x80
	s_waitcnt lgkmcnt(0)
	s_cmp_eq_u64 s[0:1], 0
	s_cselect_b32 s10, -1, 0
	s_cmp_lg_u64 s[0:1], 0
	s_cselect_b32 s9, -1, 0
	s_and_b32 vcc_lo, exec_lo, s10
	s_cbranch_vccnz .LBB52_2
; %bb.1:
	s_mul_i32 s2, s23, s8
	s_mov_b32 s3, 0
	s_add_i32 s2, s2, s7
	s_lshl_b64 s[24:25], s[2:3], 2
	s_add_u32 s0, s0, s24
	s_addc_u32 s1, s1, s25
	s_load_dword s19, s[0:1], 0x0
	s_cbranch_execz .LBB52_3
	s_branch .LBB52_4
.LBB52_2:
                                        ; implicit-def: $sgpr19
.LBB52_3:
	s_load_dwordx2 s[0:1], s[4:5], 0x5c
	s_waitcnt lgkmcnt(0)
	s_mul_hi_u32 s0, s0, s7
	s_add_i32 s0, s7, s0
	s_lshr_b32 s19, s0, s1
.LBB52_4:
	s_load_dwordx4 s[24:27], s[4:5], 0x68
	s_andn2_b32 vcc_lo, exec_lo, s9
	s_mov_b32 s23, s7
	s_cbranch_vccnz .LBB52_6
; %bb.5:
	s_mul_hi_u32 s0, s13, s7
	s_add_i32 s0, s7, s0
	s_lshr_b32 s0, s0, s14
	s_mul_i32 s0, s0, s15
	s_sub_i32 s23, s7, s0
.LBB52_6:
	s_load_dword s9, s[4:5], 0x78
	v_cmp_gt_u32_e32 vcc_lo, 32, v0
	v_lshl_add_u32 v5, v0, 2, 0
	s_and_saveexec_b32 s0, vcc_lo
; %bb.7:
	v_mov_b32_e32 v1, 0
	ds_write_b32 v5, v1
; %bb.8:
	s_or_b32 exec_lo, exec_lo, s0
	v_mov_b32_e32 v6, 0
	v_mov_b32_e32 v7, 0
	v_mov_b32_e32 v8, 0
	v_mov_b32_e32 v9, 0
	s_and_b32 s0, exec_lo, s10
	s_mov_b32 s11, 0
	s_cselect_b32 s10, s8, 0
	s_mov_b32 s13, exec_lo
	s_waitcnt lgkmcnt(0)
	s_barrier
	buffer_gl0_inv
	v_cmpx_gt_i32_e64 s12, v0
	s_cbranch_execz .LBB52_12
; %bb.9:
	s_load_dwordx4 s[0:3], s[4:5], 0x0
	s_mul_hi_u32 s27, s27, s10
	s_mul_hi_i32 s15, s21, s10
	s_mul_i32 s14, s21, s10
	s_mul_i32 s24, s19, s24
	;; [unrolled: 1-line block ×4, first 2 shown]
	s_add_i32 s16, s10, s27
	s_lshl_b64 s[34:35], s[14:15], 2
	s_ashr_i32 s25, s24, 31
	s_ashr_i32 s29, s28, 31
	;; [unrolled: 1-line block ×3, first 2 shown]
	s_lshr_b32 s9, s16, s9
	v_lshlrev_b32_e32 v1, 3, v0
	s_mul_hi_i32 s21, s9, s20
	s_mul_i32 s20, s9, s20
	s_mov_b32 s8, s17
	v_mov_b32_e32 v9, 0
	v_mov_b32_e32 v10, v0
	;; [unrolled: 1-line block ×3, first 2 shown]
	s_waitcnt lgkmcnt(0)
	s_add_u32 s14, s2, s34
	s_addc_u32 s15, s3, s35
	s_lshl_b64 s[30:31], s[30:31], 2
	v_mov_b32_e32 v7, 0
	s_add_u32 s14, s14, s30
	s_addc_u32 s15, s15, s31
	s_lshl_b64 s[24:25], s[24:25], 2
	s_ashr_i32 s9, s17, 31
	s_add_i32 s16, s17, s17
	s_lshl_b64 s[20:21], s[20:21], 2
	s_lshl_b64 s[28:29], s[28:29], 2
	s_add_u32 s0, s0, s24
	s_addc_u32 s1, s1, s25
	s_add_u32 s0, s0, s28
	s_addc_u32 s1, s1, s29
	;; [unrolled: 2-line block ×3, first 2 shown]
	v_add_co_u32 v2, s0, s0, v1
	s_lshl_b64 s[8:9], s[8:9], 3
	v_add_co_ci_u32_e64 v3, null, s1, 0, s0
	s_add_u32 s0, s2, s30
	s_addc_u32 s1, s3, s31
	s_add_u32 s0, s0, s34
	s_addc_u32 s1, s1, s35
	v_add_co_u32 v4, s0, s0, v1
	v_add_co_ci_u32_e64 v6, null, s1, 0, s0
	v_add_co_u32 v1, s0, v2, 4
	v_add_co_ci_u32_e64 v2, null, 0, v3, s0
	;; [unrolled: 2-line block ×3, first 2 shown]
	v_mov_b32_e32 v6, 0
	s_mul_i32 s1, s17, 3
.LBB52_10:                              ; =>This Inner Loop Header: Depth=1
	v_add_nc_u32_e32 v11, s16, v10
	v_add_nc_u32_e32 v15, s1, v10
	v_add_co_u32 v13, s0, v3, s8
	v_add_co_ci_u32_e64 v14, null, s9, v4, s0
	v_ashrrev_i32_e32 v12, 31, v11
	v_ashrrev_i32_e32 v16, 31, v15
	v_add_nc_u32_e32 v10, 0xa0, v10
	v_lshlrev_b64 v[11:12], 3, v[11:12]
	v_lshlrev_b64 v[15:16], 3, v[15:16]
	v_add_co_u32 v11, s0, s14, v11
	v_add_co_ci_u32_e64 v12, null, s15, v12, s0
	v_add_co_u32 v15, s0, s14, v15
	v_add_co_ci_u32_e64 v16, null, s15, v16, s0
	global_load_dwordx2 v[17:18], v[1:2], off offset:-4
	s_clause 0x1
	global_load_dwordx2 v[19:20], v[3:4], off offset:-4
	global_load_dwordx2 v[13:14], v[13:14], off offset:-4
	s_clause 0x1
	global_load_dwordx2 v[11:12], v[11:12], off
	global_load_dwordx2 v[15:16], v[15:16], off
	v_add_co_u32 v1, s0, 0x500, v1
	v_add_co_ci_u32_e64 v2, null, 0, v2, s0
	v_add_co_u32 v3, s0, 0x500, v3
	v_add_co_ci_u32_e64 v4, null, 0, v4, s0
	v_cmp_le_i32_e64 s0, s12, v10
	s_or_b32 s11, s0, s11
	s_waitcnt vmcnt(3)
	v_fmac_f32_e32 v9, v17, v19
	s_waitcnt vmcnt(2)
	v_fmac_f32_e32 v8, v17, v13
	;; [unrolled: 2-line block ×4, first 2 shown]
	v_fmac_f32_e32 v9, v18, v20
	v_fmac_f32_e32 v8, v18, v14
	;; [unrolled: 1-line block ×4, first 2 shown]
	s_andn2_b32 exec_lo, exec_lo, s11
	s_cbranch_execnz .LBB52_10
; %bb.11:
	s_or_b32 exec_lo, exec_lo, s11
.LBB52_12:
	s_or_b32 exec_lo, exec_lo, s13
	v_mbcnt_lo_u32_b32 v2, -1, 0
	v_xor_b32_e32 v1, 16, v2
	v_xor_b32_e32 v3, 8, v2
	v_cmp_gt_i32_e64 s0, 32, v1
	v_cndmask_b32_e64 v1, v2, v1, s0
	v_cmp_gt_i32_e64 s0, 32, v3
	v_lshlrev_b32_e32 v1, 2, v1
	v_cndmask_b32_e64 v3, v2, v3, s0
	ds_bpermute_b32 v4, v1, v9
	v_lshlrev_b32_e32 v3, 2, v3
	s_waitcnt lgkmcnt(0)
	v_add_f32_e32 v9, v9, v4
	v_xor_b32_e32 v4, 4, v2
	ds_bpermute_b32 v10, v3, v9
	v_cmp_gt_i32_e64 s0, 32, v4
	v_cndmask_b32_e64 v4, v2, v4, s0
	v_lshlrev_b32_e32 v4, 2, v4
	s_waitcnt lgkmcnt(0)
	v_add_f32_e32 v10, v9, v10
	v_xor_b32_e32 v9, 2, v2
	ds_bpermute_b32 v11, v4, v10
	v_cmp_gt_i32_e64 s0, 32, v9
	v_cndmask_b32_e64 v9, v2, v9, s0
	;; [unrolled: 7-line block ×3, first 2 shown]
	v_lshlrev_b32_e32 v10, 2, v2
	s_waitcnt lgkmcnt(0)
	v_add_f32_e32 v2, v11, v12
	v_lshrrev_b32_e32 v11, 3, v0
	ds_bpermute_b32 v12, v10, v2
	v_and_b32_e32 v11, 0x7c, v11
	v_add_nc_u32_e32 v11, 0, v11
	s_waitcnt lgkmcnt(0)
	v_add_f32_e32 v2, v2, v12
	ds_write_b32 v11, v2
	s_waitcnt lgkmcnt(0)
	s_barrier
	buffer_gl0_inv
	s_and_saveexec_b32 s0, vcc_lo
	s_cbranch_execz .LBB52_14
; %bb.13:
	ds_read_b32 v2, v5
	s_waitcnt lgkmcnt(0)
	ds_bpermute_b32 v12, v1, v2
	s_waitcnt lgkmcnt(0)
	v_add_f32_e32 v2, v2, v12
	ds_bpermute_b32 v12, v3, v2
	s_waitcnt lgkmcnt(0)
	v_add_f32_e32 v2, v2, v12
	ds_bpermute_b32 v12, v4, v2
	s_waitcnt lgkmcnt(0)
	v_add_f32_e32 v2, v2, v12
	ds_bpermute_b32 v12, v9, v2
	s_waitcnt lgkmcnt(0)
	v_add_f32_e32 v2, v2, v12
	ds_bpermute_b32 v12, v10, v2
	s_waitcnt lgkmcnt(0)
	v_add_f32_e32 v2, v2, v12
.LBB52_14:
	s_or_b32 exec_lo, exec_lo, s0
	ds_bpermute_b32 v12, v1, v8
	s_waitcnt lgkmcnt(0)
	s_barrier
	buffer_gl0_inv
	v_add_f32_e32 v8, v8, v12
	ds_bpermute_b32 v12, v3, v8
	s_waitcnt lgkmcnt(0)
	v_add_f32_e32 v8, v8, v12
	ds_bpermute_b32 v12, v4, v8
	s_waitcnt lgkmcnt(0)
	v_add_f32_e32 v8, v8, v12
	ds_bpermute_b32 v12, v9, v8
	s_waitcnt lgkmcnt(0)
	v_add_f32_e32 v8, v8, v12
	ds_bpermute_b32 v12, v10, v8
	s_waitcnt lgkmcnt(0)
	v_add_f32_e32 v8, v8, v12
	ds_write_b32 v11, v8
	s_waitcnt lgkmcnt(0)
	s_barrier
	buffer_gl0_inv
	s_and_saveexec_b32 s0, vcc_lo
	s_cbranch_execz .LBB52_16
; %bb.15:
	ds_read_b32 v8, v5
	s_waitcnt lgkmcnt(0)
	ds_bpermute_b32 v12, v1, v8
	s_waitcnt lgkmcnt(0)
	v_add_f32_e32 v8, v8, v12
	ds_bpermute_b32 v12, v3, v8
	s_waitcnt lgkmcnt(0)
	v_add_f32_e32 v8, v8, v12
	ds_bpermute_b32 v12, v4, v8
	s_waitcnt lgkmcnt(0)
	v_add_f32_e32 v8, v8, v12
	ds_bpermute_b32 v12, v9, v8
	s_waitcnt lgkmcnt(0)
	v_add_f32_e32 v8, v8, v12
	ds_bpermute_b32 v12, v10, v8
	s_waitcnt lgkmcnt(0)
	v_add_f32_e32 v8, v8, v12
.LBB52_16:
	s_or_b32 exec_lo, exec_lo, s0
	ds_bpermute_b32 v12, v1, v7
	s_waitcnt lgkmcnt(0)
	s_barrier
	buffer_gl0_inv
	v_add_f32_e32 v7, v7, v12
	ds_bpermute_b32 v12, v3, v7
	s_waitcnt lgkmcnt(0)
	v_add_f32_e32 v7, v7, v12
	ds_bpermute_b32 v12, v4, v7
	s_waitcnt lgkmcnt(0)
	v_add_f32_e32 v7, v7, v12
	ds_bpermute_b32 v12, v9, v7
	s_waitcnt lgkmcnt(0)
	v_add_f32_e32 v7, v7, v12
	ds_bpermute_b32 v12, v10, v7
	;; [unrolled: 43-line block ×3, first 2 shown]
	s_waitcnt lgkmcnt(0)
	v_add_f32_e32 v6, v6, v12
	ds_write_b32 v11, v6
	s_waitcnt lgkmcnt(0)
	s_barrier
	buffer_gl0_inv
	s_and_saveexec_b32 s0, vcc_lo
	s_cbranch_execz .LBB52_20
; %bb.19:
	ds_read_b32 v5, v5
	s_waitcnt lgkmcnt(0)
	ds_bpermute_b32 v1, v1, v5
	s_waitcnt lgkmcnt(0)
	v_add_f32_e32 v1, v5, v1
	ds_bpermute_b32 v3, v3, v1
	s_waitcnt lgkmcnt(0)
	v_add_f32_e32 v1, v1, v3
	;; [unrolled: 3-line block ×5, first 2 shown]
.LBB52_20:
	s_or_b32 exec_lo, exec_lo, s0
	s_barrier
	buffer_gl0_inv
	s_mov_b32 s0, exec_lo
	v_cmpx_gt_u32_e32 4, v0
	s_cbranch_execz .LBB52_22
; %bb.21:
	s_load_dwordx2 s[0:1], s[4:5], 0x38
	v_mad_u64_u32 v[3:4], null, s18, v0, s[6:7]
	v_cmp_eq_u32_e32 vcc_lo, 1, v0
	s_mul_hi_i32 s3, s22, s10
	s_mul_i32 s2, s22, s10
	s_mul_i32 s4, s26, s7
	s_lshl_b64 s[2:3], s[2:3], 2
	v_cndmask_b32_e32 v1, v2, v8, vcc_lo
	v_ashrrev_i32_e32 v4, 31, v3
	v_cmp_eq_u32_e32 vcc_lo, 2, v0
	s_ashr_i32 s5, s4, 31
	v_cndmask_b32_e32 v5, v1, v7, vcc_lo
	v_lshlrev_b64 v[1:2], 2, v[3:4]
	v_cmp_eq_u32_e32 vcc_lo, 3, v0
	s_waitcnt lgkmcnt(0)
	s_add_u32 s2, s0, s2
	s_addc_u32 s3, s1, s3
	s_lshl_b64 s[0:1], s[4:5], 2
	v_cndmask_b32_e32 v3, v5, v6, vcc_lo
	s_add_u32 s0, s2, s0
	s_addc_u32 s1, s3, s1
	v_add_co_u32 v0, vcc_lo, s0, v1
	v_add_co_ci_u32_e64 v1, null, s1, v2, vcc_lo
	global_store_dword v[0:1], v3, off
.LBB52_22:
	s_endpgm
	.section	.rodata,"a",@progbits
	.p2align	6, 0x0
	.amdhsa_kernel _ZL13mul_mat_vec_fIffLi4ELi160ELb0ELb0EEvPKT_PKfPKi31ggml_cuda_mm_fusion_args_devicePfi15HIP_vector_typeIjLj3EEiiiSA_iiiSA_iiii
		.amdhsa_group_segment_fixed_size 0
		.amdhsa_private_segment_fixed_size 0
		.amdhsa_kernarg_size 144
		.amdhsa_user_sgpr_count 6
		.amdhsa_user_sgpr_private_segment_buffer 1
		.amdhsa_user_sgpr_dispatch_ptr 0
		.amdhsa_user_sgpr_queue_ptr 0
		.amdhsa_user_sgpr_kernarg_segment_ptr 1
		.amdhsa_user_sgpr_dispatch_id 0
		.amdhsa_user_sgpr_flat_scratch_init 0
		.amdhsa_user_sgpr_private_segment_size 0
		.amdhsa_wavefront_size32 1
		.amdhsa_uses_dynamic_stack 0
		.amdhsa_system_sgpr_private_segment_wavefront_offset 0
		.amdhsa_system_sgpr_workgroup_id_x 1
		.amdhsa_system_sgpr_workgroup_id_y 1
		.amdhsa_system_sgpr_workgroup_id_z 1
		.amdhsa_system_sgpr_workgroup_info 0
		.amdhsa_system_vgpr_workitem_id 0
		.amdhsa_next_free_vgpr 21
		.amdhsa_next_free_sgpr 36
		.amdhsa_reserve_vcc 1
		.amdhsa_reserve_flat_scratch 0
		.amdhsa_float_round_mode_32 0
		.amdhsa_float_round_mode_16_64 0
		.amdhsa_float_denorm_mode_32 3
		.amdhsa_float_denorm_mode_16_64 3
		.amdhsa_dx10_clamp 1
		.amdhsa_ieee_mode 1
		.amdhsa_fp16_overflow 0
		.amdhsa_workgroup_processor_mode 1
		.amdhsa_memory_ordered 1
		.amdhsa_forward_progress 1
		.amdhsa_shared_vgpr_count 0
		.amdhsa_exception_fp_ieee_invalid_op 0
		.amdhsa_exception_fp_denorm_src 0
		.amdhsa_exception_fp_ieee_div_zero 0
		.amdhsa_exception_fp_ieee_overflow 0
		.amdhsa_exception_fp_ieee_underflow 0
		.amdhsa_exception_fp_ieee_inexact 0
		.amdhsa_exception_int_div_zero 0
	.end_amdhsa_kernel
	.section	.text._ZL13mul_mat_vec_fIffLi4ELi160ELb0ELb0EEvPKT_PKfPKi31ggml_cuda_mm_fusion_args_devicePfi15HIP_vector_typeIjLj3EEiiiSA_iiiSA_iiii,"axG",@progbits,_ZL13mul_mat_vec_fIffLi4ELi160ELb0ELb0EEvPKT_PKfPKi31ggml_cuda_mm_fusion_args_devicePfi15HIP_vector_typeIjLj3EEiiiSA_iiiSA_iiii,comdat
.Lfunc_end52:
	.size	_ZL13mul_mat_vec_fIffLi4ELi160ELb0ELb0EEvPKT_PKfPKi31ggml_cuda_mm_fusion_args_devicePfi15HIP_vector_typeIjLj3EEiiiSA_iiiSA_iiii, .Lfunc_end52-_ZL13mul_mat_vec_fIffLi4ELi160ELb0ELb0EEvPKT_PKfPKi31ggml_cuda_mm_fusion_args_devicePfi15HIP_vector_typeIjLj3EEiiiSA_iiiSA_iiii
                                        ; -- End function
	.set _ZL13mul_mat_vec_fIffLi4ELi160ELb0ELb0EEvPKT_PKfPKi31ggml_cuda_mm_fusion_args_devicePfi15HIP_vector_typeIjLj3EEiiiSA_iiiSA_iiii.num_vgpr, 21
	.set _ZL13mul_mat_vec_fIffLi4ELi160ELb0ELb0EEvPKT_PKfPKi31ggml_cuda_mm_fusion_args_devicePfi15HIP_vector_typeIjLj3EEiiiSA_iiiSA_iiii.num_agpr, 0
	.set _ZL13mul_mat_vec_fIffLi4ELi160ELb0ELb0EEvPKT_PKfPKi31ggml_cuda_mm_fusion_args_devicePfi15HIP_vector_typeIjLj3EEiiiSA_iiiSA_iiii.numbered_sgpr, 36
	.set _ZL13mul_mat_vec_fIffLi4ELi160ELb0ELb0EEvPKT_PKfPKi31ggml_cuda_mm_fusion_args_devicePfi15HIP_vector_typeIjLj3EEiiiSA_iiiSA_iiii.num_named_barrier, 0
	.set _ZL13mul_mat_vec_fIffLi4ELi160ELb0ELb0EEvPKT_PKfPKi31ggml_cuda_mm_fusion_args_devicePfi15HIP_vector_typeIjLj3EEiiiSA_iiiSA_iiii.private_seg_size, 0
	.set _ZL13mul_mat_vec_fIffLi4ELi160ELb0ELb0EEvPKT_PKfPKi31ggml_cuda_mm_fusion_args_devicePfi15HIP_vector_typeIjLj3EEiiiSA_iiiSA_iiii.uses_vcc, 1
	.set _ZL13mul_mat_vec_fIffLi4ELi160ELb0ELb0EEvPKT_PKfPKi31ggml_cuda_mm_fusion_args_devicePfi15HIP_vector_typeIjLj3EEiiiSA_iiiSA_iiii.uses_flat_scratch, 0
	.set _ZL13mul_mat_vec_fIffLi4ELi160ELb0ELb0EEvPKT_PKfPKi31ggml_cuda_mm_fusion_args_devicePfi15HIP_vector_typeIjLj3EEiiiSA_iiiSA_iiii.has_dyn_sized_stack, 0
	.set _ZL13mul_mat_vec_fIffLi4ELi160ELb0ELb0EEvPKT_PKfPKi31ggml_cuda_mm_fusion_args_devicePfi15HIP_vector_typeIjLj3EEiiiSA_iiiSA_iiii.has_recursion, 0
	.set _ZL13mul_mat_vec_fIffLi4ELi160ELb0ELb0EEvPKT_PKfPKi31ggml_cuda_mm_fusion_args_devicePfi15HIP_vector_typeIjLj3EEiiiSA_iiiSA_iiii.has_indirect_call, 0
	.section	.AMDGPU.csdata,"",@progbits
; Kernel info:
; codeLenInByte = 1920
; TotalNumSgprs: 38
; NumVgprs: 21
; ScratchSize: 0
; MemoryBound: 0
; FloatMode: 240
; IeeeMode: 1
; LDSByteSize: 0 bytes/workgroup (compile time only)
; SGPRBlocks: 0
; VGPRBlocks: 2
; NumSGPRsForWavesPerEU: 38
; NumVGPRsForWavesPerEU: 21
; Occupancy: 16
; WaveLimiterHint : 0
; COMPUTE_PGM_RSRC2:SCRATCH_EN: 0
; COMPUTE_PGM_RSRC2:USER_SGPR: 6
; COMPUTE_PGM_RSRC2:TRAP_HANDLER: 0
; COMPUTE_PGM_RSRC2:TGID_X_EN: 1
; COMPUTE_PGM_RSRC2:TGID_Y_EN: 1
; COMPUTE_PGM_RSRC2:TGID_Z_EN: 1
; COMPUTE_PGM_RSRC2:TIDIG_COMP_CNT: 0
	.section	.text._ZL13mul_mat_vec_fIffLi4ELi192ELb0ELb0EEvPKT_PKfPKi31ggml_cuda_mm_fusion_args_devicePfi15HIP_vector_typeIjLj3EEiiiSA_iiiSA_iiii,"axG",@progbits,_ZL13mul_mat_vec_fIffLi4ELi192ELb0ELb0EEvPKT_PKfPKi31ggml_cuda_mm_fusion_args_devicePfi15HIP_vector_typeIjLj3EEiiiSA_iiiSA_iiii,comdat
	.globl	_ZL13mul_mat_vec_fIffLi4ELi192ELb0ELb0EEvPKT_PKfPKi31ggml_cuda_mm_fusion_args_devicePfi15HIP_vector_typeIjLj3EEiiiSA_iiiSA_iiii ; -- Begin function _ZL13mul_mat_vec_fIffLi4ELi192ELb0ELb0EEvPKT_PKfPKi31ggml_cuda_mm_fusion_args_devicePfi15HIP_vector_typeIjLj3EEiiiSA_iiiSA_iiii
	.p2align	8
	.type	_ZL13mul_mat_vec_fIffLi4ELi192ELb0ELb0EEvPKT_PKfPKi31ggml_cuda_mm_fusion_args_devicePfi15HIP_vector_typeIjLj3EEiiiSA_iiiSA_iiii,@function
_ZL13mul_mat_vec_fIffLi4ELi192ELb0ELb0EEvPKT_PKfPKi31ggml_cuda_mm_fusion_args_devicePfi15HIP_vector_typeIjLj3EEiiiSA_iiiSA_iiii: ; @_ZL13mul_mat_vec_fIffLi4ELi192ELb0ELb0EEvPKT_PKfPKi31ggml_cuda_mm_fusion_args_devicePfi15HIP_vector_typeIjLj3EEiiiSA_iiiSA_iiii
; %bb.0:
	s_clause 0x2
	s_load_dwordx2 s[0:1], s[4:5], 0x10
	s_load_dwordx8 s[12:19], s[4:5], 0x40
	s_load_dwordx4 s[20:23], s[4:5], 0x80
	s_waitcnt lgkmcnt(0)
	s_cmp_eq_u64 s[0:1], 0
	s_cselect_b32 s10, -1, 0
	s_cmp_lg_u64 s[0:1], 0
	s_cselect_b32 s9, -1, 0
	s_and_b32 vcc_lo, exec_lo, s10
	s_cbranch_vccnz .LBB53_2
; %bb.1:
	s_mul_i32 s2, s23, s8
	s_mov_b32 s3, 0
	s_add_i32 s2, s2, s7
	s_lshl_b64 s[24:25], s[2:3], 2
	s_add_u32 s0, s0, s24
	s_addc_u32 s1, s1, s25
	s_load_dword s19, s[0:1], 0x0
	s_cbranch_execz .LBB53_3
	s_branch .LBB53_4
.LBB53_2:
                                        ; implicit-def: $sgpr19
.LBB53_3:
	s_load_dwordx2 s[0:1], s[4:5], 0x5c
	s_waitcnt lgkmcnt(0)
	s_mul_hi_u32 s0, s0, s7
	s_add_i32 s0, s7, s0
	s_lshr_b32 s19, s0, s1
.LBB53_4:
	s_load_dwordx4 s[24:27], s[4:5], 0x68
	s_andn2_b32 vcc_lo, exec_lo, s9
	s_mov_b32 s23, s7
	s_cbranch_vccnz .LBB53_6
; %bb.5:
	s_mul_hi_u32 s0, s13, s7
	s_add_i32 s0, s7, s0
	s_lshr_b32 s0, s0, s14
	s_mul_i32 s0, s0, s15
	s_sub_i32 s23, s7, s0
.LBB53_6:
	s_load_dword s9, s[4:5], 0x78
	v_cmp_gt_u32_e32 vcc_lo, 32, v0
	v_lshl_add_u32 v5, v0, 2, 0
	s_and_saveexec_b32 s0, vcc_lo
; %bb.7:
	v_mov_b32_e32 v1, 0
	ds_write_b32 v5, v1
; %bb.8:
	s_or_b32 exec_lo, exec_lo, s0
	v_mov_b32_e32 v6, 0
	v_mov_b32_e32 v7, 0
	;; [unrolled: 1-line block ×4, first 2 shown]
	s_and_b32 s0, exec_lo, s10
	s_mov_b32 s11, 0
	s_cselect_b32 s10, s8, 0
	s_mov_b32 s13, exec_lo
	s_waitcnt lgkmcnt(0)
	s_barrier
	buffer_gl0_inv
	v_cmpx_gt_i32_e64 s12, v0
	s_cbranch_execz .LBB53_12
; %bb.9:
	s_load_dwordx4 s[0:3], s[4:5], 0x0
	s_mul_hi_u32 s27, s27, s10
	s_mul_hi_i32 s15, s21, s10
	s_mul_i32 s14, s21, s10
	s_mul_i32 s24, s19, s24
	;; [unrolled: 1-line block ×4, first 2 shown]
	s_add_i32 s16, s10, s27
	s_lshl_b64 s[34:35], s[14:15], 2
	s_ashr_i32 s25, s24, 31
	s_ashr_i32 s29, s28, 31
	;; [unrolled: 1-line block ×3, first 2 shown]
	s_lshr_b32 s9, s16, s9
	v_lshlrev_b32_e32 v1, 3, v0
	s_mul_hi_i32 s21, s9, s20
	s_mul_i32 s20, s9, s20
	s_mov_b32 s8, s17
	v_mov_b32_e32 v9, 0
	v_mov_b32_e32 v10, v0
	;; [unrolled: 1-line block ×3, first 2 shown]
	s_waitcnt lgkmcnt(0)
	s_add_u32 s14, s2, s34
	s_addc_u32 s15, s3, s35
	s_lshl_b64 s[30:31], s[30:31], 2
	v_mov_b32_e32 v7, 0
	s_add_u32 s14, s14, s30
	s_addc_u32 s15, s15, s31
	s_lshl_b64 s[24:25], s[24:25], 2
	s_ashr_i32 s9, s17, 31
	s_add_i32 s16, s17, s17
	s_lshl_b64 s[20:21], s[20:21], 2
	s_lshl_b64 s[28:29], s[28:29], 2
	s_add_u32 s0, s0, s24
	s_addc_u32 s1, s1, s25
	s_add_u32 s0, s0, s28
	s_addc_u32 s1, s1, s29
	;; [unrolled: 2-line block ×3, first 2 shown]
	v_add_co_u32 v2, s0, s0, v1
	s_lshl_b64 s[8:9], s[8:9], 3
	v_add_co_ci_u32_e64 v3, null, s1, 0, s0
	s_add_u32 s0, s2, s30
	s_addc_u32 s1, s3, s31
	s_add_u32 s0, s0, s34
	s_addc_u32 s1, s1, s35
	v_add_co_u32 v4, s0, s0, v1
	v_add_co_ci_u32_e64 v6, null, s1, 0, s0
	v_add_co_u32 v1, s0, v2, 4
	v_add_co_ci_u32_e64 v2, null, 0, v3, s0
	;; [unrolled: 2-line block ×3, first 2 shown]
	v_mov_b32_e32 v6, 0
	s_mul_i32 s1, s17, 3
.LBB53_10:                              ; =>This Inner Loop Header: Depth=1
	v_add_nc_u32_e32 v11, s16, v10
	v_add_nc_u32_e32 v15, s1, v10
	v_add_co_u32 v13, s0, v3, s8
	v_add_co_ci_u32_e64 v14, null, s9, v4, s0
	v_ashrrev_i32_e32 v12, 31, v11
	v_ashrrev_i32_e32 v16, 31, v15
	v_add_nc_u32_e32 v10, 0xc0, v10
	v_lshlrev_b64 v[11:12], 3, v[11:12]
	v_lshlrev_b64 v[15:16], 3, v[15:16]
	v_add_co_u32 v11, s0, s14, v11
	v_add_co_ci_u32_e64 v12, null, s15, v12, s0
	v_add_co_u32 v15, s0, s14, v15
	v_add_co_ci_u32_e64 v16, null, s15, v16, s0
	global_load_dwordx2 v[17:18], v[1:2], off offset:-4
	s_clause 0x1
	global_load_dwordx2 v[19:20], v[3:4], off offset:-4
	global_load_dwordx2 v[13:14], v[13:14], off offset:-4
	s_clause 0x1
	global_load_dwordx2 v[11:12], v[11:12], off
	global_load_dwordx2 v[15:16], v[15:16], off
	v_add_co_u32 v1, s0, 0x600, v1
	v_add_co_ci_u32_e64 v2, null, 0, v2, s0
	v_add_co_u32 v3, s0, 0x600, v3
	v_add_co_ci_u32_e64 v4, null, 0, v4, s0
	v_cmp_le_i32_e64 s0, s12, v10
	s_or_b32 s11, s0, s11
	s_waitcnt vmcnt(3)
	v_fmac_f32_e32 v9, v17, v19
	s_waitcnt vmcnt(2)
	v_fmac_f32_e32 v8, v17, v13
	;; [unrolled: 2-line block ×4, first 2 shown]
	v_fmac_f32_e32 v9, v18, v20
	v_fmac_f32_e32 v8, v18, v14
	;; [unrolled: 1-line block ×4, first 2 shown]
	s_andn2_b32 exec_lo, exec_lo, s11
	s_cbranch_execnz .LBB53_10
; %bb.11:
	s_or_b32 exec_lo, exec_lo, s11
.LBB53_12:
	s_or_b32 exec_lo, exec_lo, s13
	v_mbcnt_lo_u32_b32 v2, -1, 0
	v_xor_b32_e32 v1, 16, v2
	v_xor_b32_e32 v3, 8, v2
	v_cmp_gt_i32_e64 s0, 32, v1
	v_cndmask_b32_e64 v1, v2, v1, s0
	v_cmp_gt_i32_e64 s0, 32, v3
	v_lshlrev_b32_e32 v1, 2, v1
	v_cndmask_b32_e64 v3, v2, v3, s0
	ds_bpermute_b32 v4, v1, v9
	v_lshlrev_b32_e32 v3, 2, v3
	s_waitcnt lgkmcnt(0)
	v_add_f32_e32 v9, v9, v4
	v_xor_b32_e32 v4, 4, v2
	ds_bpermute_b32 v10, v3, v9
	v_cmp_gt_i32_e64 s0, 32, v4
	v_cndmask_b32_e64 v4, v2, v4, s0
	v_lshlrev_b32_e32 v4, 2, v4
	s_waitcnt lgkmcnt(0)
	v_add_f32_e32 v10, v9, v10
	v_xor_b32_e32 v9, 2, v2
	ds_bpermute_b32 v11, v4, v10
	v_cmp_gt_i32_e64 s0, 32, v9
	v_cndmask_b32_e64 v9, v2, v9, s0
	;; [unrolled: 7-line block ×3, first 2 shown]
	v_lshlrev_b32_e32 v10, 2, v2
	s_waitcnt lgkmcnt(0)
	v_add_f32_e32 v2, v11, v12
	v_lshrrev_b32_e32 v11, 3, v0
	ds_bpermute_b32 v12, v10, v2
	v_and_b32_e32 v11, 0x7c, v11
	v_add_nc_u32_e32 v11, 0, v11
	s_waitcnt lgkmcnt(0)
	v_add_f32_e32 v2, v2, v12
	ds_write_b32 v11, v2
	s_waitcnt lgkmcnt(0)
	s_barrier
	buffer_gl0_inv
	s_and_saveexec_b32 s0, vcc_lo
	s_cbranch_execz .LBB53_14
; %bb.13:
	ds_read_b32 v2, v5
	s_waitcnt lgkmcnt(0)
	ds_bpermute_b32 v12, v1, v2
	s_waitcnt lgkmcnt(0)
	v_add_f32_e32 v2, v2, v12
	ds_bpermute_b32 v12, v3, v2
	s_waitcnt lgkmcnt(0)
	v_add_f32_e32 v2, v2, v12
	ds_bpermute_b32 v12, v4, v2
	s_waitcnt lgkmcnt(0)
	v_add_f32_e32 v2, v2, v12
	ds_bpermute_b32 v12, v9, v2
	s_waitcnt lgkmcnt(0)
	v_add_f32_e32 v2, v2, v12
	ds_bpermute_b32 v12, v10, v2
	s_waitcnt lgkmcnt(0)
	v_add_f32_e32 v2, v2, v12
.LBB53_14:
	s_or_b32 exec_lo, exec_lo, s0
	ds_bpermute_b32 v12, v1, v8
	s_waitcnt lgkmcnt(0)
	s_barrier
	buffer_gl0_inv
	v_add_f32_e32 v8, v8, v12
	ds_bpermute_b32 v12, v3, v8
	s_waitcnt lgkmcnt(0)
	v_add_f32_e32 v8, v8, v12
	ds_bpermute_b32 v12, v4, v8
	s_waitcnt lgkmcnt(0)
	v_add_f32_e32 v8, v8, v12
	ds_bpermute_b32 v12, v9, v8
	s_waitcnt lgkmcnt(0)
	v_add_f32_e32 v8, v8, v12
	ds_bpermute_b32 v12, v10, v8
	s_waitcnt lgkmcnt(0)
	v_add_f32_e32 v8, v8, v12
	ds_write_b32 v11, v8
	s_waitcnt lgkmcnt(0)
	s_barrier
	buffer_gl0_inv
	s_and_saveexec_b32 s0, vcc_lo
	s_cbranch_execz .LBB53_16
; %bb.15:
	ds_read_b32 v8, v5
	s_waitcnt lgkmcnt(0)
	ds_bpermute_b32 v12, v1, v8
	s_waitcnt lgkmcnt(0)
	v_add_f32_e32 v8, v8, v12
	ds_bpermute_b32 v12, v3, v8
	s_waitcnt lgkmcnt(0)
	v_add_f32_e32 v8, v8, v12
	ds_bpermute_b32 v12, v4, v8
	s_waitcnt lgkmcnt(0)
	v_add_f32_e32 v8, v8, v12
	ds_bpermute_b32 v12, v9, v8
	s_waitcnt lgkmcnt(0)
	v_add_f32_e32 v8, v8, v12
	ds_bpermute_b32 v12, v10, v8
	s_waitcnt lgkmcnt(0)
	v_add_f32_e32 v8, v8, v12
.LBB53_16:
	s_or_b32 exec_lo, exec_lo, s0
	ds_bpermute_b32 v12, v1, v7
	s_waitcnt lgkmcnt(0)
	s_barrier
	buffer_gl0_inv
	v_add_f32_e32 v7, v7, v12
	ds_bpermute_b32 v12, v3, v7
	s_waitcnt lgkmcnt(0)
	v_add_f32_e32 v7, v7, v12
	ds_bpermute_b32 v12, v4, v7
	s_waitcnt lgkmcnt(0)
	v_add_f32_e32 v7, v7, v12
	ds_bpermute_b32 v12, v9, v7
	s_waitcnt lgkmcnt(0)
	v_add_f32_e32 v7, v7, v12
	ds_bpermute_b32 v12, v10, v7
	;; [unrolled: 43-line block ×3, first 2 shown]
	s_waitcnt lgkmcnt(0)
	v_add_f32_e32 v6, v6, v12
	ds_write_b32 v11, v6
	s_waitcnt lgkmcnt(0)
	s_barrier
	buffer_gl0_inv
	s_and_saveexec_b32 s0, vcc_lo
	s_cbranch_execz .LBB53_20
; %bb.19:
	ds_read_b32 v5, v5
	s_waitcnt lgkmcnt(0)
	ds_bpermute_b32 v1, v1, v5
	s_waitcnt lgkmcnt(0)
	v_add_f32_e32 v1, v5, v1
	ds_bpermute_b32 v3, v3, v1
	s_waitcnt lgkmcnt(0)
	v_add_f32_e32 v1, v1, v3
	;; [unrolled: 3-line block ×5, first 2 shown]
.LBB53_20:
	s_or_b32 exec_lo, exec_lo, s0
	s_barrier
	buffer_gl0_inv
	s_mov_b32 s0, exec_lo
	v_cmpx_gt_u32_e32 4, v0
	s_cbranch_execz .LBB53_22
; %bb.21:
	s_load_dwordx2 s[0:1], s[4:5], 0x38
	v_mad_u64_u32 v[3:4], null, s18, v0, s[6:7]
	v_cmp_eq_u32_e32 vcc_lo, 1, v0
	s_mul_hi_i32 s3, s22, s10
	s_mul_i32 s2, s22, s10
	s_mul_i32 s4, s26, s7
	s_lshl_b64 s[2:3], s[2:3], 2
	v_cndmask_b32_e32 v1, v2, v8, vcc_lo
	v_ashrrev_i32_e32 v4, 31, v3
	v_cmp_eq_u32_e32 vcc_lo, 2, v0
	s_ashr_i32 s5, s4, 31
	v_cndmask_b32_e32 v5, v1, v7, vcc_lo
	v_lshlrev_b64 v[1:2], 2, v[3:4]
	v_cmp_eq_u32_e32 vcc_lo, 3, v0
	s_waitcnt lgkmcnt(0)
	s_add_u32 s2, s0, s2
	s_addc_u32 s3, s1, s3
	s_lshl_b64 s[0:1], s[4:5], 2
	v_cndmask_b32_e32 v3, v5, v6, vcc_lo
	s_add_u32 s0, s2, s0
	s_addc_u32 s1, s3, s1
	v_add_co_u32 v0, vcc_lo, s0, v1
	v_add_co_ci_u32_e64 v1, null, s1, v2, vcc_lo
	global_store_dword v[0:1], v3, off
.LBB53_22:
	s_endpgm
	.section	.rodata,"a",@progbits
	.p2align	6, 0x0
	.amdhsa_kernel _ZL13mul_mat_vec_fIffLi4ELi192ELb0ELb0EEvPKT_PKfPKi31ggml_cuda_mm_fusion_args_devicePfi15HIP_vector_typeIjLj3EEiiiSA_iiiSA_iiii
		.amdhsa_group_segment_fixed_size 0
		.amdhsa_private_segment_fixed_size 0
		.amdhsa_kernarg_size 144
		.amdhsa_user_sgpr_count 6
		.amdhsa_user_sgpr_private_segment_buffer 1
		.amdhsa_user_sgpr_dispatch_ptr 0
		.amdhsa_user_sgpr_queue_ptr 0
		.amdhsa_user_sgpr_kernarg_segment_ptr 1
		.amdhsa_user_sgpr_dispatch_id 0
		.amdhsa_user_sgpr_flat_scratch_init 0
		.amdhsa_user_sgpr_private_segment_size 0
		.amdhsa_wavefront_size32 1
		.amdhsa_uses_dynamic_stack 0
		.amdhsa_system_sgpr_private_segment_wavefront_offset 0
		.amdhsa_system_sgpr_workgroup_id_x 1
		.amdhsa_system_sgpr_workgroup_id_y 1
		.amdhsa_system_sgpr_workgroup_id_z 1
		.amdhsa_system_sgpr_workgroup_info 0
		.amdhsa_system_vgpr_workitem_id 0
		.amdhsa_next_free_vgpr 21
		.amdhsa_next_free_sgpr 36
		.amdhsa_reserve_vcc 1
		.amdhsa_reserve_flat_scratch 0
		.amdhsa_float_round_mode_32 0
		.amdhsa_float_round_mode_16_64 0
		.amdhsa_float_denorm_mode_32 3
		.amdhsa_float_denorm_mode_16_64 3
		.amdhsa_dx10_clamp 1
		.amdhsa_ieee_mode 1
		.amdhsa_fp16_overflow 0
		.amdhsa_workgroup_processor_mode 1
		.amdhsa_memory_ordered 1
		.amdhsa_forward_progress 1
		.amdhsa_shared_vgpr_count 0
		.amdhsa_exception_fp_ieee_invalid_op 0
		.amdhsa_exception_fp_denorm_src 0
		.amdhsa_exception_fp_ieee_div_zero 0
		.amdhsa_exception_fp_ieee_overflow 0
		.amdhsa_exception_fp_ieee_underflow 0
		.amdhsa_exception_fp_ieee_inexact 0
		.amdhsa_exception_int_div_zero 0
	.end_amdhsa_kernel
	.section	.text._ZL13mul_mat_vec_fIffLi4ELi192ELb0ELb0EEvPKT_PKfPKi31ggml_cuda_mm_fusion_args_devicePfi15HIP_vector_typeIjLj3EEiiiSA_iiiSA_iiii,"axG",@progbits,_ZL13mul_mat_vec_fIffLi4ELi192ELb0ELb0EEvPKT_PKfPKi31ggml_cuda_mm_fusion_args_devicePfi15HIP_vector_typeIjLj3EEiiiSA_iiiSA_iiii,comdat
.Lfunc_end53:
	.size	_ZL13mul_mat_vec_fIffLi4ELi192ELb0ELb0EEvPKT_PKfPKi31ggml_cuda_mm_fusion_args_devicePfi15HIP_vector_typeIjLj3EEiiiSA_iiiSA_iiii, .Lfunc_end53-_ZL13mul_mat_vec_fIffLi4ELi192ELb0ELb0EEvPKT_PKfPKi31ggml_cuda_mm_fusion_args_devicePfi15HIP_vector_typeIjLj3EEiiiSA_iiiSA_iiii
                                        ; -- End function
	.set _ZL13mul_mat_vec_fIffLi4ELi192ELb0ELb0EEvPKT_PKfPKi31ggml_cuda_mm_fusion_args_devicePfi15HIP_vector_typeIjLj3EEiiiSA_iiiSA_iiii.num_vgpr, 21
	.set _ZL13mul_mat_vec_fIffLi4ELi192ELb0ELb0EEvPKT_PKfPKi31ggml_cuda_mm_fusion_args_devicePfi15HIP_vector_typeIjLj3EEiiiSA_iiiSA_iiii.num_agpr, 0
	.set _ZL13mul_mat_vec_fIffLi4ELi192ELb0ELb0EEvPKT_PKfPKi31ggml_cuda_mm_fusion_args_devicePfi15HIP_vector_typeIjLj3EEiiiSA_iiiSA_iiii.numbered_sgpr, 36
	.set _ZL13mul_mat_vec_fIffLi4ELi192ELb0ELb0EEvPKT_PKfPKi31ggml_cuda_mm_fusion_args_devicePfi15HIP_vector_typeIjLj3EEiiiSA_iiiSA_iiii.num_named_barrier, 0
	.set _ZL13mul_mat_vec_fIffLi4ELi192ELb0ELb0EEvPKT_PKfPKi31ggml_cuda_mm_fusion_args_devicePfi15HIP_vector_typeIjLj3EEiiiSA_iiiSA_iiii.private_seg_size, 0
	.set _ZL13mul_mat_vec_fIffLi4ELi192ELb0ELb0EEvPKT_PKfPKi31ggml_cuda_mm_fusion_args_devicePfi15HIP_vector_typeIjLj3EEiiiSA_iiiSA_iiii.uses_vcc, 1
	.set _ZL13mul_mat_vec_fIffLi4ELi192ELb0ELb0EEvPKT_PKfPKi31ggml_cuda_mm_fusion_args_devicePfi15HIP_vector_typeIjLj3EEiiiSA_iiiSA_iiii.uses_flat_scratch, 0
	.set _ZL13mul_mat_vec_fIffLi4ELi192ELb0ELb0EEvPKT_PKfPKi31ggml_cuda_mm_fusion_args_devicePfi15HIP_vector_typeIjLj3EEiiiSA_iiiSA_iiii.has_dyn_sized_stack, 0
	.set _ZL13mul_mat_vec_fIffLi4ELi192ELb0ELb0EEvPKT_PKfPKi31ggml_cuda_mm_fusion_args_devicePfi15HIP_vector_typeIjLj3EEiiiSA_iiiSA_iiii.has_recursion, 0
	.set _ZL13mul_mat_vec_fIffLi4ELi192ELb0ELb0EEvPKT_PKfPKi31ggml_cuda_mm_fusion_args_devicePfi15HIP_vector_typeIjLj3EEiiiSA_iiiSA_iiii.has_indirect_call, 0
	.section	.AMDGPU.csdata,"",@progbits
; Kernel info:
; codeLenInByte = 1920
; TotalNumSgprs: 38
; NumVgprs: 21
; ScratchSize: 0
; MemoryBound: 0
; FloatMode: 240
; IeeeMode: 1
; LDSByteSize: 0 bytes/workgroup (compile time only)
; SGPRBlocks: 0
; VGPRBlocks: 2
; NumSGPRsForWavesPerEU: 38
; NumVGPRsForWavesPerEU: 21
; Occupancy: 16
; WaveLimiterHint : 0
; COMPUTE_PGM_RSRC2:SCRATCH_EN: 0
; COMPUTE_PGM_RSRC2:USER_SGPR: 6
; COMPUTE_PGM_RSRC2:TRAP_HANDLER: 0
; COMPUTE_PGM_RSRC2:TGID_X_EN: 1
; COMPUTE_PGM_RSRC2:TGID_Y_EN: 1
; COMPUTE_PGM_RSRC2:TGID_Z_EN: 1
; COMPUTE_PGM_RSRC2:TIDIG_COMP_CNT: 0
	.section	.text._ZL13mul_mat_vec_fIffLi4ELi224ELb0ELb0EEvPKT_PKfPKi31ggml_cuda_mm_fusion_args_devicePfi15HIP_vector_typeIjLj3EEiiiSA_iiiSA_iiii,"axG",@progbits,_ZL13mul_mat_vec_fIffLi4ELi224ELb0ELb0EEvPKT_PKfPKi31ggml_cuda_mm_fusion_args_devicePfi15HIP_vector_typeIjLj3EEiiiSA_iiiSA_iiii,comdat
	.globl	_ZL13mul_mat_vec_fIffLi4ELi224ELb0ELb0EEvPKT_PKfPKi31ggml_cuda_mm_fusion_args_devicePfi15HIP_vector_typeIjLj3EEiiiSA_iiiSA_iiii ; -- Begin function _ZL13mul_mat_vec_fIffLi4ELi224ELb0ELb0EEvPKT_PKfPKi31ggml_cuda_mm_fusion_args_devicePfi15HIP_vector_typeIjLj3EEiiiSA_iiiSA_iiii
	.p2align	8
	.type	_ZL13mul_mat_vec_fIffLi4ELi224ELb0ELb0EEvPKT_PKfPKi31ggml_cuda_mm_fusion_args_devicePfi15HIP_vector_typeIjLj3EEiiiSA_iiiSA_iiii,@function
_ZL13mul_mat_vec_fIffLi4ELi224ELb0ELb0EEvPKT_PKfPKi31ggml_cuda_mm_fusion_args_devicePfi15HIP_vector_typeIjLj3EEiiiSA_iiiSA_iiii: ; @_ZL13mul_mat_vec_fIffLi4ELi224ELb0ELb0EEvPKT_PKfPKi31ggml_cuda_mm_fusion_args_devicePfi15HIP_vector_typeIjLj3EEiiiSA_iiiSA_iiii
; %bb.0:
	s_clause 0x2
	s_load_dwordx2 s[0:1], s[4:5], 0x10
	s_load_dwordx8 s[12:19], s[4:5], 0x40
	s_load_dwordx4 s[20:23], s[4:5], 0x80
	s_waitcnt lgkmcnt(0)
	s_cmp_eq_u64 s[0:1], 0
	s_cselect_b32 s10, -1, 0
	s_cmp_lg_u64 s[0:1], 0
	s_cselect_b32 s9, -1, 0
	s_and_b32 vcc_lo, exec_lo, s10
	s_cbranch_vccnz .LBB54_2
; %bb.1:
	s_mul_i32 s2, s23, s8
	s_mov_b32 s3, 0
	s_add_i32 s2, s2, s7
	s_lshl_b64 s[24:25], s[2:3], 2
	s_add_u32 s0, s0, s24
	s_addc_u32 s1, s1, s25
	s_load_dword s19, s[0:1], 0x0
	s_cbranch_execz .LBB54_3
	s_branch .LBB54_4
.LBB54_2:
                                        ; implicit-def: $sgpr19
.LBB54_3:
	s_load_dwordx2 s[0:1], s[4:5], 0x5c
	s_waitcnt lgkmcnt(0)
	s_mul_hi_u32 s0, s0, s7
	s_add_i32 s0, s7, s0
	s_lshr_b32 s19, s0, s1
.LBB54_4:
	s_load_dwordx4 s[24:27], s[4:5], 0x68
	s_andn2_b32 vcc_lo, exec_lo, s9
	s_mov_b32 s23, s7
	s_cbranch_vccnz .LBB54_6
; %bb.5:
	s_mul_hi_u32 s0, s13, s7
	s_add_i32 s0, s7, s0
	s_lshr_b32 s0, s0, s14
	s_mul_i32 s0, s0, s15
	s_sub_i32 s23, s7, s0
.LBB54_6:
	s_load_dword s9, s[4:5], 0x78
	v_cmp_gt_u32_e32 vcc_lo, 32, v0
	v_lshl_add_u32 v5, v0, 2, 0
	s_and_saveexec_b32 s0, vcc_lo
; %bb.7:
	v_mov_b32_e32 v1, 0
	ds_write_b32 v5, v1
; %bb.8:
	s_or_b32 exec_lo, exec_lo, s0
	v_mov_b32_e32 v6, 0
	v_mov_b32_e32 v7, 0
	v_mov_b32_e32 v8, 0
	v_mov_b32_e32 v9, 0
	s_and_b32 s0, exec_lo, s10
	s_mov_b32 s11, 0
	s_cselect_b32 s10, s8, 0
	s_mov_b32 s13, exec_lo
	s_waitcnt lgkmcnt(0)
	s_barrier
	buffer_gl0_inv
	v_cmpx_gt_i32_e64 s12, v0
	s_cbranch_execz .LBB54_12
; %bb.9:
	s_load_dwordx4 s[0:3], s[4:5], 0x0
	s_mul_hi_u32 s27, s27, s10
	s_mul_hi_i32 s15, s21, s10
	s_mul_i32 s14, s21, s10
	s_mul_i32 s24, s19, s24
	;; [unrolled: 1-line block ×4, first 2 shown]
	s_add_i32 s16, s10, s27
	s_lshl_b64 s[34:35], s[14:15], 2
	s_ashr_i32 s25, s24, 31
	s_ashr_i32 s29, s28, 31
	;; [unrolled: 1-line block ×3, first 2 shown]
	s_lshr_b32 s9, s16, s9
	v_lshlrev_b32_e32 v1, 3, v0
	s_mul_hi_i32 s21, s9, s20
	s_mul_i32 s20, s9, s20
	s_mov_b32 s8, s17
	v_mov_b32_e32 v9, 0
	v_mov_b32_e32 v10, v0
	;; [unrolled: 1-line block ×3, first 2 shown]
	s_waitcnt lgkmcnt(0)
	s_add_u32 s14, s2, s34
	s_addc_u32 s15, s3, s35
	s_lshl_b64 s[30:31], s[30:31], 2
	v_mov_b32_e32 v7, 0
	s_add_u32 s14, s14, s30
	s_addc_u32 s15, s15, s31
	s_lshl_b64 s[24:25], s[24:25], 2
	s_ashr_i32 s9, s17, 31
	s_add_i32 s16, s17, s17
	s_lshl_b64 s[20:21], s[20:21], 2
	s_lshl_b64 s[28:29], s[28:29], 2
	s_add_u32 s0, s0, s24
	s_addc_u32 s1, s1, s25
	s_add_u32 s0, s0, s28
	s_addc_u32 s1, s1, s29
	;; [unrolled: 2-line block ×3, first 2 shown]
	v_add_co_u32 v2, s0, s0, v1
	s_lshl_b64 s[8:9], s[8:9], 3
	v_add_co_ci_u32_e64 v3, null, s1, 0, s0
	s_add_u32 s0, s2, s30
	s_addc_u32 s1, s3, s31
	s_add_u32 s0, s0, s34
	s_addc_u32 s1, s1, s35
	v_add_co_u32 v4, s0, s0, v1
	v_add_co_ci_u32_e64 v6, null, s1, 0, s0
	v_add_co_u32 v1, s0, v2, 4
	v_add_co_ci_u32_e64 v2, null, 0, v3, s0
	;; [unrolled: 2-line block ×3, first 2 shown]
	v_mov_b32_e32 v6, 0
	s_mul_i32 s1, s17, 3
.LBB54_10:                              ; =>This Inner Loop Header: Depth=1
	v_add_nc_u32_e32 v11, s16, v10
	v_add_nc_u32_e32 v15, s1, v10
	v_add_co_u32 v13, s0, v3, s8
	v_add_co_ci_u32_e64 v14, null, s9, v4, s0
	v_ashrrev_i32_e32 v12, 31, v11
	v_ashrrev_i32_e32 v16, 31, v15
	v_add_nc_u32_e32 v10, 0xe0, v10
	v_lshlrev_b64 v[11:12], 3, v[11:12]
	v_lshlrev_b64 v[15:16], 3, v[15:16]
	v_add_co_u32 v11, s0, s14, v11
	v_add_co_ci_u32_e64 v12, null, s15, v12, s0
	v_add_co_u32 v15, s0, s14, v15
	v_add_co_ci_u32_e64 v16, null, s15, v16, s0
	global_load_dwordx2 v[17:18], v[1:2], off offset:-4
	s_clause 0x1
	global_load_dwordx2 v[19:20], v[3:4], off offset:-4
	global_load_dwordx2 v[13:14], v[13:14], off offset:-4
	s_clause 0x1
	global_load_dwordx2 v[11:12], v[11:12], off
	global_load_dwordx2 v[15:16], v[15:16], off
	v_add_co_u32 v1, s0, 0x700, v1
	v_add_co_ci_u32_e64 v2, null, 0, v2, s0
	v_add_co_u32 v3, s0, 0x700, v3
	v_add_co_ci_u32_e64 v4, null, 0, v4, s0
	v_cmp_le_i32_e64 s0, s12, v10
	s_or_b32 s11, s0, s11
	s_waitcnt vmcnt(3)
	v_fmac_f32_e32 v9, v17, v19
	s_waitcnt vmcnt(2)
	v_fmac_f32_e32 v8, v17, v13
	;; [unrolled: 2-line block ×4, first 2 shown]
	v_fmac_f32_e32 v9, v18, v20
	v_fmac_f32_e32 v8, v18, v14
	;; [unrolled: 1-line block ×4, first 2 shown]
	s_andn2_b32 exec_lo, exec_lo, s11
	s_cbranch_execnz .LBB54_10
; %bb.11:
	s_or_b32 exec_lo, exec_lo, s11
.LBB54_12:
	s_or_b32 exec_lo, exec_lo, s13
	v_mbcnt_lo_u32_b32 v2, -1, 0
	v_xor_b32_e32 v1, 16, v2
	v_xor_b32_e32 v3, 8, v2
	v_cmp_gt_i32_e64 s0, 32, v1
	v_cndmask_b32_e64 v1, v2, v1, s0
	v_cmp_gt_i32_e64 s0, 32, v3
	v_lshlrev_b32_e32 v1, 2, v1
	v_cndmask_b32_e64 v3, v2, v3, s0
	ds_bpermute_b32 v4, v1, v9
	v_lshlrev_b32_e32 v3, 2, v3
	s_waitcnt lgkmcnt(0)
	v_add_f32_e32 v9, v9, v4
	v_xor_b32_e32 v4, 4, v2
	ds_bpermute_b32 v10, v3, v9
	v_cmp_gt_i32_e64 s0, 32, v4
	v_cndmask_b32_e64 v4, v2, v4, s0
	v_lshlrev_b32_e32 v4, 2, v4
	s_waitcnt lgkmcnt(0)
	v_add_f32_e32 v10, v9, v10
	v_xor_b32_e32 v9, 2, v2
	ds_bpermute_b32 v11, v4, v10
	v_cmp_gt_i32_e64 s0, 32, v9
	v_cndmask_b32_e64 v9, v2, v9, s0
	;; [unrolled: 7-line block ×3, first 2 shown]
	v_lshlrev_b32_e32 v10, 2, v2
	s_waitcnt lgkmcnt(0)
	v_add_f32_e32 v2, v11, v12
	v_lshrrev_b32_e32 v11, 3, v0
	ds_bpermute_b32 v12, v10, v2
	v_and_b32_e32 v11, 0x7c, v11
	v_add_nc_u32_e32 v11, 0, v11
	s_waitcnt lgkmcnt(0)
	v_add_f32_e32 v2, v2, v12
	ds_write_b32 v11, v2
	s_waitcnt lgkmcnt(0)
	s_barrier
	buffer_gl0_inv
	s_and_saveexec_b32 s0, vcc_lo
	s_cbranch_execz .LBB54_14
; %bb.13:
	ds_read_b32 v2, v5
	s_waitcnt lgkmcnt(0)
	ds_bpermute_b32 v12, v1, v2
	s_waitcnt lgkmcnt(0)
	v_add_f32_e32 v2, v2, v12
	ds_bpermute_b32 v12, v3, v2
	s_waitcnt lgkmcnt(0)
	v_add_f32_e32 v2, v2, v12
	ds_bpermute_b32 v12, v4, v2
	s_waitcnt lgkmcnt(0)
	v_add_f32_e32 v2, v2, v12
	ds_bpermute_b32 v12, v9, v2
	s_waitcnt lgkmcnt(0)
	v_add_f32_e32 v2, v2, v12
	ds_bpermute_b32 v12, v10, v2
	s_waitcnt lgkmcnt(0)
	v_add_f32_e32 v2, v2, v12
.LBB54_14:
	s_or_b32 exec_lo, exec_lo, s0
	ds_bpermute_b32 v12, v1, v8
	s_waitcnt lgkmcnt(0)
	s_barrier
	buffer_gl0_inv
	v_add_f32_e32 v8, v8, v12
	ds_bpermute_b32 v12, v3, v8
	s_waitcnt lgkmcnt(0)
	v_add_f32_e32 v8, v8, v12
	ds_bpermute_b32 v12, v4, v8
	s_waitcnt lgkmcnt(0)
	v_add_f32_e32 v8, v8, v12
	ds_bpermute_b32 v12, v9, v8
	s_waitcnt lgkmcnt(0)
	v_add_f32_e32 v8, v8, v12
	ds_bpermute_b32 v12, v10, v8
	s_waitcnt lgkmcnt(0)
	v_add_f32_e32 v8, v8, v12
	ds_write_b32 v11, v8
	s_waitcnt lgkmcnt(0)
	s_barrier
	buffer_gl0_inv
	s_and_saveexec_b32 s0, vcc_lo
	s_cbranch_execz .LBB54_16
; %bb.15:
	ds_read_b32 v8, v5
	s_waitcnt lgkmcnt(0)
	ds_bpermute_b32 v12, v1, v8
	s_waitcnt lgkmcnt(0)
	v_add_f32_e32 v8, v8, v12
	ds_bpermute_b32 v12, v3, v8
	s_waitcnt lgkmcnt(0)
	v_add_f32_e32 v8, v8, v12
	ds_bpermute_b32 v12, v4, v8
	s_waitcnt lgkmcnt(0)
	v_add_f32_e32 v8, v8, v12
	ds_bpermute_b32 v12, v9, v8
	s_waitcnt lgkmcnt(0)
	v_add_f32_e32 v8, v8, v12
	ds_bpermute_b32 v12, v10, v8
	s_waitcnt lgkmcnt(0)
	v_add_f32_e32 v8, v8, v12
.LBB54_16:
	s_or_b32 exec_lo, exec_lo, s0
	ds_bpermute_b32 v12, v1, v7
	s_waitcnt lgkmcnt(0)
	s_barrier
	buffer_gl0_inv
	v_add_f32_e32 v7, v7, v12
	ds_bpermute_b32 v12, v3, v7
	s_waitcnt lgkmcnt(0)
	v_add_f32_e32 v7, v7, v12
	ds_bpermute_b32 v12, v4, v7
	s_waitcnt lgkmcnt(0)
	v_add_f32_e32 v7, v7, v12
	ds_bpermute_b32 v12, v9, v7
	s_waitcnt lgkmcnt(0)
	v_add_f32_e32 v7, v7, v12
	ds_bpermute_b32 v12, v10, v7
	;; [unrolled: 43-line block ×3, first 2 shown]
	s_waitcnt lgkmcnt(0)
	v_add_f32_e32 v6, v6, v12
	ds_write_b32 v11, v6
	s_waitcnt lgkmcnt(0)
	s_barrier
	buffer_gl0_inv
	s_and_saveexec_b32 s0, vcc_lo
	s_cbranch_execz .LBB54_20
; %bb.19:
	ds_read_b32 v5, v5
	s_waitcnt lgkmcnt(0)
	ds_bpermute_b32 v1, v1, v5
	s_waitcnt lgkmcnt(0)
	v_add_f32_e32 v1, v5, v1
	ds_bpermute_b32 v3, v3, v1
	s_waitcnt lgkmcnt(0)
	v_add_f32_e32 v1, v1, v3
	;; [unrolled: 3-line block ×5, first 2 shown]
.LBB54_20:
	s_or_b32 exec_lo, exec_lo, s0
	s_barrier
	buffer_gl0_inv
	s_mov_b32 s0, exec_lo
	v_cmpx_gt_u32_e32 4, v0
	s_cbranch_execz .LBB54_22
; %bb.21:
	s_load_dwordx2 s[0:1], s[4:5], 0x38
	v_mad_u64_u32 v[3:4], null, s18, v0, s[6:7]
	v_cmp_eq_u32_e32 vcc_lo, 1, v0
	s_mul_hi_i32 s3, s22, s10
	s_mul_i32 s2, s22, s10
	s_mul_i32 s4, s26, s7
	s_lshl_b64 s[2:3], s[2:3], 2
	v_cndmask_b32_e32 v1, v2, v8, vcc_lo
	v_ashrrev_i32_e32 v4, 31, v3
	v_cmp_eq_u32_e32 vcc_lo, 2, v0
	s_ashr_i32 s5, s4, 31
	v_cndmask_b32_e32 v5, v1, v7, vcc_lo
	v_lshlrev_b64 v[1:2], 2, v[3:4]
	v_cmp_eq_u32_e32 vcc_lo, 3, v0
	s_waitcnt lgkmcnt(0)
	s_add_u32 s2, s0, s2
	s_addc_u32 s3, s1, s3
	s_lshl_b64 s[0:1], s[4:5], 2
	v_cndmask_b32_e32 v3, v5, v6, vcc_lo
	s_add_u32 s0, s2, s0
	s_addc_u32 s1, s3, s1
	v_add_co_u32 v0, vcc_lo, s0, v1
	v_add_co_ci_u32_e64 v1, null, s1, v2, vcc_lo
	global_store_dword v[0:1], v3, off
.LBB54_22:
	s_endpgm
	.section	.rodata,"a",@progbits
	.p2align	6, 0x0
	.amdhsa_kernel _ZL13mul_mat_vec_fIffLi4ELi224ELb0ELb0EEvPKT_PKfPKi31ggml_cuda_mm_fusion_args_devicePfi15HIP_vector_typeIjLj3EEiiiSA_iiiSA_iiii
		.amdhsa_group_segment_fixed_size 0
		.amdhsa_private_segment_fixed_size 0
		.amdhsa_kernarg_size 144
		.amdhsa_user_sgpr_count 6
		.amdhsa_user_sgpr_private_segment_buffer 1
		.amdhsa_user_sgpr_dispatch_ptr 0
		.amdhsa_user_sgpr_queue_ptr 0
		.amdhsa_user_sgpr_kernarg_segment_ptr 1
		.amdhsa_user_sgpr_dispatch_id 0
		.amdhsa_user_sgpr_flat_scratch_init 0
		.amdhsa_user_sgpr_private_segment_size 0
		.amdhsa_wavefront_size32 1
		.amdhsa_uses_dynamic_stack 0
		.amdhsa_system_sgpr_private_segment_wavefront_offset 0
		.amdhsa_system_sgpr_workgroup_id_x 1
		.amdhsa_system_sgpr_workgroup_id_y 1
		.amdhsa_system_sgpr_workgroup_id_z 1
		.amdhsa_system_sgpr_workgroup_info 0
		.amdhsa_system_vgpr_workitem_id 0
		.amdhsa_next_free_vgpr 21
		.amdhsa_next_free_sgpr 36
		.amdhsa_reserve_vcc 1
		.amdhsa_reserve_flat_scratch 0
		.amdhsa_float_round_mode_32 0
		.amdhsa_float_round_mode_16_64 0
		.amdhsa_float_denorm_mode_32 3
		.amdhsa_float_denorm_mode_16_64 3
		.amdhsa_dx10_clamp 1
		.amdhsa_ieee_mode 1
		.amdhsa_fp16_overflow 0
		.amdhsa_workgroup_processor_mode 1
		.amdhsa_memory_ordered 1
		.amdhsa_forward_progress 1
		.amdhsa_shared_vgpr_count 0
		.amdhsa_exception_fp_ieee_invalid_op 0
		.amdhsa_exception_fp_denorm_src 0
		.amdhsa_exception_fp_ieee_div_zero 0
		.amdhsa_exception_fp_ieee_overflow 0
		.amdhsa_exception_fp_ieee_underflow 0
		.amdhsa_exception_fp_ieee_inexact 0
		.amdhsa_exception_int_div_zero 0
	.end_amdhsa_kernel
	.section	.text._ZL13mul_mat_vec_fIffLi4ELi224ELb0ELb0EEvPKT_PKfPKi31ggml_cuda_mm_fusion_args_devicePfi15HIP_vector_typeIjLj3EEiiiSA_iiiSA_iiii,"axG",@progbits,_ZL13mul_mat_vec_fIffLi4ELi224ELb0ELb0EEvPKT_PKfPKi31ggml_cuda_mm_fusion_args_devicePfi15HIP_vector_typeIjLj3EEiiiSA_iiiSA_iiii,comdat
.Lfunc_end54:
	.size	_ZL13mul_mat_vec_fIffLi4ELi224ELb0ELb0EEvPKT_PKfPKi31ggml_cuda_mm_fusion_args_devicePfi15HIP_vector_typeIjLj3EEiiiSA_iiiSA_iiii, .Lfunc_end54-_ZL13mul_mat_vec_fIffLi4ELi224ELb0ELb0EEvPKT_PKfPKi31ggml_cuda_mm_fusion_args_devicePfi15HIP_vector_typeIjLj3EEiiiSA_iiiSA_iiii
                                        ; -- End function
	.set _ZL13mul_mat_vec_fIffLi4ELi224ELb0ELb0EEvPKT_PKfPKi31ggml_cuda_mm_fusion_args_devicePfi15HIP_vector_typeIjLj3EEiiiSA_iiiSA_iiii.num_vgpr, 21
	.set _ZL13mul_mat_vec_fIffLi4ELi224ELb0ELb0EEvPKT_PKfPKi31ggml_cuda_mm_fusion_args_devicePfi15HIP_vector_typeIjLj3EEiiiSA_iiiSA_iiii.num_agpr, 0
	.set _ZL13mul_mat_vec_fIffLi4ELi224ELb0ELb0EEvPKT_PKfPKi31ggml_cuda_mm_fusion_args_devicePfi15HIP_vector_typeIjLj3EEiiiSA_iiiSA_iiii.numbered_sgpr, 36
	.set _ZL13mul_mat_vec_fIffLi4ELi224ELb0ELb0EEvPKT_PKfPKi31ggml_cuda_mm_fusion_args_devicePfi15HIP_vector_typeIjLj3EEiiiSA_iiiSA_iiii.num_named_barrier, 0
	.set _ZL13mul_mat_vec_fIffLi4ELi224ELb0ELb0EEvPKT_PKfPKi31ggml_cuda_mm_fusion_args_devicePfi15HIP_vector_typeIjLj3EEiiiSA_iiiSA_iiii.private_seg_size, 0
	.set _ZL13mul_mat_vec_fIffLi4ELi224ELb0ELb0EEvPKT_PKfPKi31ggml_cuda_mm_fusion_args_devicePfi15HIP_vector_typeIjLj3EEiiiSA_iiiSA_iiii.uses_vcc, 1
	.set _ZL13mul_mat_vec_fIffLi4ELi224ELb0ELb0EEvPKT_PKfPKi31ggml_cuda_mm_fusion_args_devicePfi15HIP_vector_typeIjLj3EEiiiSA_iiiSA_iiii.uses_flat_scratch, 0
	.set _ZL13mul_mat_vec_fIffLi4ELi224ELb0ELb0EEvPKT_PKfPKi31ggml_cuda_mm_fusion_args_devicePfi15HIP_vector_typeIjLj3EEiiiSA_iiiSA_iiii.has_dyn_sized_stack, 0
	.set _ZL13mul_mat_vec_fIffLi4ELi224ELb0ELb0EEvPKT_PKfPKi31ggml_cuda_mm_fusion_args_devicePfi15HIP_vector_typeIjLj3EEiiiSA_iiiSA_iiii.has_recursion, 0
	.set _ZL13mul_mat_vec_fIffLi4ELi224ELb0ELb0EEvPKT_PKfPKi31ggml_cuda_mm_fusion_args_devicePfi15HIP_vector_typeIjLj3EEiiiSA_iiiSA_iiii.has_indirect_call, 0
	.section	.AMDGPU.csdata,"",@progbits
; Kernel info:
; codeLenInByte = 1920
; TotalNumSgprs: 38
; NumVgprs: 21
; ScratchSize: 0
; MemoryBound: 0
; FloatMode: 240
; IeeeMode: 1
; LDSByteSize: 0 bytes/workgroup (compile time only)
; SGPRBlocks: 0
; VGPRBlocks: 2
; NumSGPRsForWavesPerEU: 38
; NumVGPRsForWavesPerEU: 21
; Occupancy: 16
; WaveLimiterHint : 0
; COMPUTE_PGM_RSRC2:SCRATCH_EN: 0
; COMPUTE_PGM_RSRC2:USER_SGPR: 6
; COMPUTE_PGM_RSRC2:TRAP_HANDLER: 0
; COMPUTE_PGM_RSRC2:TGID_X_EN: 1
; COMPUTE_PGM_RSRC2:TGID_Y_EN: 1
; COMPUTE_PGM_RSRC2:TGID_Z_EN: 1
; COMPUTE_PGM_RSRC2:TIDIG_COMP_CNT: 0
	.section	.text._ZL13mul_mat_vec_fIffLi4ELi256ELb0ELb0EEvPKT_PKfPKi31ggml_cuda_mm_fusion_args_devicePfi15HIP_vector_typeIjLj3EEiiiSA_iiiSA_iiii,"axG",@progbits,_ZL13mul_mat_vec_fIffLi4ELi256ELb0ELb0EEvPKT_PKfPKi31ggml_cuda_mm_fusion_args_devicePfi15HIP_vector_typeIjLj3EEiiiSA_iiiSA_iiii,comdat
	.globl	_ZL13mul_mat_vec_fIffLi4ELi256ELb0ELb0EEvPKT_PKfPKi31ggml_cuda_mm_fusion_args_devicePfi15HIP_vector_typeIjLj3EEiiiSA_iiiSA_iiii ; -- Begin function _ZL13mul_mat_vec_fIffLi4ELi256ELb0ELb0EEvPKT_PKfPKi31ggml_cuda_mm_fusion_args_devicePfi15HIP_vector_typeIjLj3EEiiiSA_iiiSA_iiii
	.p2align	8
	.type	_ZL13mul_mat_vec_fIffLi4ELi256ELb0ELb0EEvPKT_PKfPKi31ggml_cuda_mm_fusion_args_devicePfi15HIP_vector_typeIjLj3EEiiiSA_iiiSA_iiii,@function
_ZL13mul_mat_vec_fIffLi4ELi256ELb0ELb0EEvPKT_PKfPKi31ggml_cuda_mm_fusion_args_devicePfi15HIP_vector_typeIjLj3EEiiiSA_iiiSA_iiii: ; @_ZL13mul_mat_vec_fIffLi4ELi256ELb0ELb0EEvPKT_PKfPKi31ggml_cuda_mm_fusion_args_devicePfi15HIP_vector_typeIjLj3EEiiiSA_iiiSA_iiii
; %bb.0:
	s_clause 0x2
	s_load_dwordx2 s[0:1], s[4:5], 0x10
	s_load_dwordx8 s[12:19], s[4:5], 0x40
	s_load_dwordx4 s[20:23], s[4:5], 0x80
	s_waitcnt lgkmcnt(0)
	s_cmp_eq_u64 s[0:1], 0
	s_cselect_b32 s10, -1, 0
	s_cmp_lg_u64 s[0:1], 0
	s_cselect_b32 s9, -1, 0
	s_and_b32 vcc_lo, exec_lo, s10
	s_cbranch_vccnz .LBB55_2
; %bb.1:
	s_mul_i32 s2, s23, s8
	s_mov_b32 s3, 0
	s_add_i32 s2, s2, s7
	s_lshl_b64 s[24:25], s[2:3], 2
	s_add_u32 s0, s0, s24
	s_addc_u32 s1, s1, s25
	s_load_dword s19, s[0:1], 0x0
	s_cbranch_execz .LBB55_3
	s_branch .LBB55_4
.LBB55_2:
                                        ; implicit-def: $sgpr19
.LBB55_3:
	s_load_dwordx2 s[0:1], s[4:5], 0x5c
	s_waitcnt lgkmcnt(0)
	s_mul_hi_u32 s0, s0, s7
	s_add_i32 s0, s7, s0
	s_lshr_b32 s19, s0, s1
.LBB55_4:
	s_load_dwordx4 s[24:27], s[4:5], 0x68
	s_andn2_b32 vcc_lo, exec_lo, s9
	s_mov_b32 s23, s7
	s_cbranch_vccnz .LBB55_6
; %bb.5:
	s_mul_hi_u32 s0, s13, s7
	s_add_i32 s0, s7, s0
	s_lshr_b32 s0, s0, s14
	s_mul_i32 s0, s0, s15
	s_sub_i32 s23, s7, s0
.LBB55_6:
	s_load_dword s9, s[4:5], 0x78
	v_cmp_gt_u32_e32 vcc_lo, 32, v0
	v_lshl_add_u32 v5, v0, 2, 0
	s_and_saveexec_b32 s0, vcc_lo
; %bb.7:
	v_mov_b32_e32 v1, 0
	ds_write_b32 v5, v1
; %bb.8:
	s_or_b32 exec_lo, exec_lo, s0
	v_mov_b32_e32 v6, 0
	v_mov_b32_e32 v7, 0
	v_mov_b32_e32 v8, 0
	v_mov_b32_e32 v9, 0
	s_and_b32 s0, exec_lo, s10
	s_mov_b32 s11, 0
	s_cselect_b32 s10, s8, 0
	s_mov_b32 s13, exec_lo
	s_waitcnt lgkmcnt(0)
	s_barrier
	buffer_gl0_inv
	v_cmpx_gt_i32_e64 s12, v0
	s_cbranch_execz .LBB55_12
; %bb.9:
	s_load_dwordx4 s[0:3], s[4:5], 0x0
	s_mul_hi_u32 s27, s27, s10
	s_mul_hi_i32 s15, s21, s10
	s_mul_i32 s14, s21, s10
	s_mul_i32 s24, s19, s24
	;; [unrolled: 1-line block ×4, first 2 shown]
	s_add_i32 s16, s10, s27
	s_lshl_b64 s[34:35], s[14:15], 2
	s_ashr_i32 s25, s24, 31
	s_ashr_i32 s29, s28, 31
	;; [unrolled: 1-line block ×3, first 2 shown]
	s_lshr_b32 s9, s16, s9
	v_lshlrev_b32_e32 v1, 3, v0
	s_mul_hi_i32 s21, s9, s20
	s_mul_i32 s20, s9, s20
	s_mov_b32 s8, s17
	v_mov_b32_e32 v9, 0
	v_mov_b32_e32 v10, v0
	;; [unrolled: 1-line block ×3, first 2 shown]
	s_waitcnt lgkmcnt(0)
	s_add_u32 s14, s2, s34
	s_addc_u32 s15, s3, s35
	s_lshl_b64 s[30:31], s[30:31], 2
	v_mov_b32_e32 v7, 0
	s_add_u32 s14, s14, s30
	s_addc_u32 s15, s15, s31
	s_lshl_b64 s[24:25], s[24:25], 2
	s_ashr_i32 s9, s17, 31
	s_add_i32 s16, s17, s17
	s_lshl_b64 s[20:21], s[20:21], 2
	s_lshl_b64 s[28:29], s[28:29], 2
	s_add_u32 s0, s0, s24
	s_addc_u32 s1, s1, s25
	s_add_u32 s0, s0, s28
	s_addc_u32 s1, s1, s29
	;; [unrolled: 2-line block ×3, first 2 shown]
	v_add_co_u32 v2, s0, s0, v1
	s_lshl_b64 s[8:9], s[8:9], 3
	v_add_co_ci_u32_e64 v3, null, s1, 0, s0
	s_add_u32 s0, s2, s30
	s_addc_u32 s1, s3, s31
	s_add_u32 s0, s0, s34
	s_addc_u32 s1, s1, s35
	v_add_co_u32 v4, s0, s0, v1
	v_add_co_ci_u32_e64 v6, null, s1, 0, s0
	v_add_co_u32 v1, s0, v2, 4
	v_add_co_ci_u32_e64 v2, null, 0, v3, s0
	;; [unrolled: 2-line block ×3, first 2 shown]
	v_mov_b32_e32 v6, 0
	s_mul_i32 s1, s17, 3
.LBB55_10:                              ; =>This Inner Loop Header: Depth=1
	v_add_nc_u32_e32 v11, s16, v10
	v_add_nc_u32_e32 v15, s1, v10
	v_add_co_u32 v13, s0, v3, s8
	v_add_co_ci_u32_e64 v14, null, s9, v4, s0
	v_ashrrev_i32_e32 v12, 31, v11
	v_ashrrev_i32_e32 v16, 31, v15
	v_add_nc_u32_e32 v10, 0x100, v10
	v_lshlrev_b64 v[11:12], 3, v[11:12]
	v_lshlrev_b64 v[15:16], 3, v[15:16]
	v_add_co_u32 v11, s0, s14, v11
	v_add_co_ci_u32_e64 v12, null, s15, v12, s0
	v_add_co_u32 v15, s0, s14, v15
	v_add_co_ci_u32_e64 v16, null, s15, v16, s0
	global_load_dwordx2 v[17:18], v[1:2], off offset:-4
	s_clause 0x1
	global_load_dwordx2 v[19:20], v[3:4], off offset:-4
	global_load_dwordx2 v[13:14], v[13:14], off offset:-4
	s_clause 0x1
	global_load_dwordx2 v[11:12], v[11:12], off
	global_load_dwordx2 v[15:16], v[15:16], off
	v_add_co_u32 v1, s0, 0x800, v1
	v_add_co_ci_u32_e64 v2, null, 0, v2, s0
	v_add_co_u32 v3, s0, 0x800, v3
	v_add_co_ci_u32_e64 v4, null, 0, v4, s0
	v_cmp_le_i32_e64 s0, s12, v10
	s_or_b32 s11, s0, s11
	s_waitcnt vmcnt(3)
	v_fmac_f32_e32 v9, v17, v19
	s_waitcnt vmcnt(2)
	v_fmac_f32_e32 v8, v17, v13
	s_waitcnt vmcnt(1)
	v_fmac_f32_e32 v7, v17, v11
	s_waitcnt vmcnt(0)
	v_fmac_f32_e32 v6, v17, v15
	v_fmac_f32_e32 v9, v18, v20
	v_fmac_f32_e32 v8, v18, v14
	;; [unrolled: 1-line block ×4, first 2 shown]
	s_andn2_b32 exec_lo, exec_lo, s11
	s_cbranch_execnz .LBB55_10
; %bb.11:
	s_or_b32 exec_lo, exec_lo, s11
.LBB55_12:
	s_or_b32 exec_lo, exec_lo, s13
	v_mbcnt_lo_u32_b32 v2, -1, 0
	v_xor_b32_e32 v1, 16, v2
	v_xor_b32_e32 v3, 8, v2
	v_cmp_gt_i32_e64 s0, 32, v1
	v_cndmask_b32_e64 v1, v2, v1, s0
	v_cmp_gt_i32_e64 s0, 32, v3
	v_lshlrev_b32_e32 v1, 2, v1
	v_cndmask_b32_e64 v3, v2, v3, s0
	ds_bpermute_b32 v4, v1, v9
	v_lshlrev_b32_e32 v3, 2, v3
	s_waitcnt lgkmcnt(0)
	v_add_f32_e32 v9, v9, v4
	v_xor_b32_e32 v4, 4, v2
	ds_bpermute_b32 v10, v3, v9
	v_cmp_gt_i32_e64 s0, 32, v4
	v_cndmask_b32_e64 v4, v2, v4, s0
	v_lshlrev_b32_e32 v4, 2, v4
	s_waitcnt lgkmcnt(0)
	v_add_f32_e32 v10, v9, v10
	v_xor_b32_e32 v9, 2, v2
	ds_bpermute_b32 v11, v4, v10
	v_cmp_gt_i32_e64 s0, 32, v9
	v_cndmask_b32_e64 v9, v2, v9, s0
	;; [unrolled: 7-line block ×3, first 2 shown]
	v_lshlrev_b32_e32 v10, 2, v2
	s_waitcnt lgkmcnt(0)
	v_add_f32_e32 v2, v11, v12
	v_lshrrev_b32_e32 v11, 3, v0
	ds_bpermute_b32 v12, v10, v2
	v_and_b32_e32 v11, 0x7c, v11
	v_add_nc_u32_e32 v11, 0, v11
	s_waitcnt lgkmcnt(0)
	v_add_f32_e32 v2, v2, v12
	ds_write_b32 v11, v2
	s_waitcnt lgkmcnt(0)
	s_barrier
	buffer_gl0_inv
	s_and_saveexec_b32 s0, vcc_lo
	s_cbranch_execz .LBB55_14
; %bb.13:
	ds_read_b32 v2, v5
	s_waitcnt lgkmcnt(0)
	ds_bpermute_b32 v12, v1, v2
	s_waitcnt lgkmcnt(0)
	v_add_f32_e32 v2, v2, v12
	ds_bpermute_b32 v12, v3, v2
	s_waitcnt lgkmcnt(0)
	v_add_f32_e32 v2, v2, v12
	ds_bpermute_b32 v12, v4, v2
	s_waitcnt lgkmcnt(0)
	v_add_f32_e32 v2, v2, v12
	ds_bpermute_b32 v12, v9, v2
	s_waitcnt lgkmcnt(0)
	v_add_f32_e32 v2, v2, v12
	ds_bpermute_b32 v12, v10, v2
	s_waitcnt lgkmcnt(0)
	v_add_f32_e32 v2, v2, v12
.LBB55_14:
	s_or_b32 exec_lo, exec_lo, s0
	ds_bpermute_b32 v12, v1, v8
	s_waitcnt lgkmcnt(0)
	s_barrier
	buffer_gl0_inv
	v_add_f32_e32 v8, v8, v12
	ds_bpermute_b32 v12, v3, v8
	s_waitcnt lgkmcnt(0)
	v_add_f32_e32 v8, v8, v12
	ds_bpermute_b32 v12, v4, v8
	s_waitcnt lgkmcnt(0)
	v_add_f32_e32 v8, v8, v12
	ds_bpermute_b32 v12, v9, v8
	s_waitcnt lgkmcnt(0)
	v_add_f32_e32 v8, v8, v12
	ds_bpermute_b32 v12, v10, v8
	s_waitcnt lgkmcnt(0)
	v_add_f32_e32 v8, v8, v12
	ds_write_b32 v11, v8
	s_waitcnt lgkmcnt(0)
	s_barrier
	buffer_gl0_inv
	s_and_saveexec_b32 s0, vcc_lo
	s_cbranch_execz .LBB55_16
; %bb.15:
	ds_read_b32 v8, v5
	s_waitcnt lgkmcnt(0)
	ds_bpermute_b32 v12, v1, v8
	s_waitcnt lgkmcnt(0)
	v_add_f32_e32 v8, v8, v12
	ds_bpermute_b32 v12, v3, v8
	s_waitcnt lgkmcnt(0)
	v_add_f32_e32 v8, v8, v12
	ds_bpermute_b32 v12, v4, v8
	s_waitcnt lgkmcnt(0)
	v_add_f32_e32 v8, v8, v12
	ds_bpermute_b32 v12, v9, v8
	s_waitcnt lgkmcnt(0)
	v_add_f32_e32 v8, v8, v12
	ds_bpermute_b32 v12, v10, v8
	s_waitcnt lgkmcnt(0)
	v_add_f32_e32 v8, v8, v12
.LBB55_16:
	s_or_b32 exec_lo, exec_lo, s0
	ds_bpermute_b32 v12, v1, v7
	s_waitcnt lgkmcnt(0)
	s_barrier
	buffer_gl0_inv
	v_add_f32_e32 v7, v7, v12
	ds_bpermute_b32 v12, v3, v7
	s_waitcnt lgkmcnt(0)
	v_add_f32_e32 v7, v7, v12
	ds_bpermute_b32 v12, v4, v7
	s_waitcnt lgkmcnt(0)
	v_add_f32_e32 v7, v7, v12
	ds_bpermute_b32 v12, v9, v7
	s_waitcnt lgkmcnt(0)
	v_add_f32_e32 v7, v7, v12
	ds_bpermute_b32 v12, v10, v7
	;; [unrolled: 43-line block ×3, first 2 shown]
	s_waitcnt lgkmcnt(0)
	v_add_f32_e32 v6, v6, v12
	ds_write_b32 v11, v6
	s_waitcnt lgkmcnt(0)
	s_barrier
	buffer_gl0_inv
	s_and_saveexec_b32 s0, vcc_lo
	s_cbranch_execz .LBB55_20
; %bb.19:
	ds_read_b32 v5, v5
	s_waitcnt lgkmcnt(0)
	ds_bpermute_b32 v1, v1, v5
	s_waitcnt lgkmcnt(0)
	v_add_f32_e32 v1, v5, v1
	ds_bpermute_b32 v3, v3, v1
	s_waitcnt lgkmcnt(0)
	v_add_f32_e32 v1, v1, v3
	;; [unrolled: 3-line block ×5, first 2 shown]
.LBB55_20:
	s_or_b32 exec_lo, exec_lo, s0
	s_barrier
	buffer_gl0_inv
	s_mov_b32 s0, exec_lo
	v_cmpx_gt_u32_e32 4, v0
	s_cbranch_execz .LBB55_22
; %bb.21:
	s_load_dwordx2 s[0:1], s[4:5], 0x38
	v_mad_u64_u32 v[3:4], null, s18, v0, s[6:7]
	v_cmp_eq_u32_e32 vcc_lo, 1, v0
	s_mul_hi_i32 s3, s22, s10
	s_mul_i32 s2, s22, s10
	s_mul_i32 s4, s26, s7
	s_lshl_b64 s[2:3], s[2:3], 2
	v_cndmask_b32_e32 v1, v2, v8, vcc_lo
	v_ashrrev_i32_e32 v4, 31, v3
	v_cmp_eq_u32_e32 vcc_lo, 2, v0
	s_ashr_i32 s5, s4, 31
	v_cndmask_b32_e32 v5, v1, v7, vcc_lo
	v_lshlrev_b64 v[1:2], 2, v[3:4]
	v_cmp_eq_u32_e32 vcc_lo, 3, v0
	s_waitcnt lgkmcnt(0)
	s_add_u32 s2, s0, s2
	s_addc_u32 s3, s1, s3
	s_lshl_b64 s[0:1], s[4:5], 2
	v_cndmask_b32_e32 v3, v5, v6, vcc_lo
	s_add_u32 s0, s2, s0
	s_addc_u32 s1, s3, s1
	v_add_co_u32 v0, vcc_lo, s0, v1
	v_add_co_ci_u32_e64 v1, null, s1, v2, vcc_lo
	global_store_dword v[0:1], v3, off
.LBB55_22:
	s_endpgm
	.section	.rodata,"a",@progbits
	.p2align	6, 0x0
	.amdhsa_kernel _ZL13mul_mat_vec_fIffLi4ELi256ELb0ELb0EEvPKT_PKfPKi31ggml_cuda_mm_fusion_args_devicePfi15HIP_vector_typeIjLj3EEiiiSA_iiiSA_iiii
		.amdhsa_group_segment_fixed_size 0
		.amdhsa_private_segment_fixed_size 0
		.amdhsa_kernarg_size 144
		.amdhsa_user_sgpr_count 6
		.amdhsa_user_sgpr_private_segment_buffer 1
		.amdhsa_user_sgpr_dispatch_ptr 0
		.amdhsa_user_sgpr_queue_ptr 0
		.amdhsa_user_sgpr_kernarg_segment_ptr 1
		.amdhsa_user_sgpr_dispatch_id 0
		.amdhsa_user_sgpr_flat_scratch_init 0
		.amdhsa_user_sgpr_private_segment_size 0
		.amdhsa_wavefront_size32 1
		.amdhsa_uses_dynamic_stack 0
		.amdhsa_system_sgpr_private_segment_wavefront_offset 0
		.amdhsa_system_sgpr_workgroup_id_x 1
		.amdhsa_system_sgpr_workgroup_id_y 1
		.amdhsa_system_sgpr_workgroup_id_z 1
		.amdhsa_system_sgpr_workgroup_info 0
		.amdhsa_system_vgpr_workitem_id 0
		.amdhsa_next_free_vgpr 21
		.amdhsa_next_free_sgpr 36
		.amdhsa_reserve_vcc 1
		.amdhsa_reserve_flat_scratch 0
		.amdhsa_float_round_mode_32 0
		.amdhsa_float_round_mode_16_64 0
		.amdhsa_float_denorm_mode_32 3
		.amdhsa_float_denorm_mode_16_64 3
		.amdhsa_dx10_clamp 1
		.amdhsa_ieee_mode 1
		.amdhsa_fp16_overflow 0
		.amdhsa_workgroup_processor_mode 1
		.amdhsa_memory_ordered 1
		.amdhsa_forward_progress 1
		.amdhsa_shared_vgpr_count 0
		.amdhsa_exception_fp_ieee_invalid_op 0
		.amdhsa_exception_fp_denorm_src 0
		.amdhsa_exception_fp_ieee_div_zero 0
		.amdhsa_exception_fp_ieee_overflow 0
		.amdhsa_exception_fp_ieee_underflow 0
		.amdhsa_exception_fp_ieee_inexact 0
		.amdhsa_exception_int_div_zero 0
	.end_amdhsa_kernel
	.section	.text._ZL13mul_mat_vec_fIffLi4ELi256ELb0ELb0EEvPKT_PKfPKi31ggml_cuda_mm_fusion_args_devicePfi15HIP_vector_typeIjLj3EEiiiSA_iiiSA_iiii,"axG",@progbits,_ZL13mul_mat_vec_fIffLi4ELi256ELb0ELb0EEvPKT_PKfPKi31ggml_cuda_mm_fusion_args_devicePfi15HIP_vector_typeIjLj3EEiiiSA_iiiSA_iiii,comdat
.Lfunc_end55:
	.size	_ZL13mul_mat_vec_fIffLi4ELi256ELb0ELb0EEvPKT_PKfPKi31ggml_cuda_mm_fusion_args_devicePfi15HIP_vector_typeIjLj3EEiiiSA_iiiSA_iiii, .Lfunc_end55-_ZL13mul_mat_vec_fIffLi4ELi256ELb0ELb0EEvPKT_PKfPKi31ggml_cuda_mm_fusion_args_devicePfi15HIP_vector_typeIjLj3EEiiiSA_iiiSA_iiii
                                        ; -- End function
	.set _ZL13mul_mat_vec_fIffLi4ELi256ELb0ELb0EEvPKT_PKfPKi31ggml_cuda_mm_fusion_args_devicePfi15HIP_vector_typeIjLj3EEiiiSA_iiiSA_iiii.num_vgpr, 21
	.set _ZL13mul_mat_vec_fIffLi4ELi256ELb0ELb0EEvPKT_PKfPKi31ggml_cuda_mm_fusion_args_devicePfi15HIP_vector_typeIjLj3EEiiiSA_iiiSA_iiii.num_agpr, 0
	.set _ZL13mul_mat_vec_fIffLi4ELi256ELb0ELb0EEvPKT_PKfPKi31ggml_cuda_mm_fusion_args_devicePfi15HIP_vector_typeIjLj3EEiiiSA_iiiSA_iiii.numbered_sgpr, 36
	.set _ZL13mul_mat_vec_fIffLi4ELi256ELb0ELb0EEvPKT_PKfPKi31ggml_cuda_mm_fusion_args_devicePfi15HIP_vector_typeIjLj3EEiiiSA_iiiSA_iiii.num_named_barrier, 0
	.set _ZL13mul_mat_vec_fIffLi4ELi256ELb0ELb0EEvPKT_PKfPKi31ggml_cuda_mm_fusion_args_devicePfi15HIP_vector_typeIjLj3EEiiiSA_iiiSA_iiii.private_seg_size, 0
	.set _ZL13mul_mat_vec_fIffLi4ELi256ELb0ELb0EEvPKT_PKfPKi31ggml_cuda_mm_fusion_args_devicePfi15HIP_vector_typeIjLj3EEiiiSA_iiiSA_iiii.uses_vcc, 1
	.set _ZL13mul_mat_vec_fIffLi4ELi256ELb0ELb0EEvPKT_PKfPKi31ggml_cuda_mm_fusion_args_devicePfi15HIP_vector_typeIjLj3EEiiiSA_iiiSA_iiii.uses_flat_scratch, 0
	.set _ZL13mul_mat_vec_fIffLi4ELi256ELb0ELb0EEvPKT_PKfPKi31ggml_cuda_mm_fusion_args_devicePfi15HIP_vector_typeIjLj3EEiiiSA_iiiSA_iiii.has_dyn_sized_stack, 0
	.set _ZL13mul_mat_vec_fIffLi4ELi256ELb0ELb0EEvPKT_PKfPKi31ggml_cuda_mm_fusion_args_devicePfi15HIP_vector_typeIjLj3EEiiiSA_iiiSA_iiii.has_recursion, 0
	.set _ZL13mul_mat_vec_fIffLi4ELi256ELb0ELb0EEvPKT_PKfPKi31ggml_cuda_mm_fusion_args_devicePfi15HIP_vector_typeIjLj3EEiiiSA_iiiSA_iiii.has_indirect_call, 0
	.section	.AMDGPU.csdata,"",@progbits
; Kernel info:
; codeLenInByte = 1920
; TotalNumSgprs: 38
; NumVgprs: 21
; ScratchSize: 0
; MemoryBound: 0
; FloatMode: 240
; IeeeMode: 1
; LDSByteSize: 0 bytes/workgroup (compile time only)
; SGPRBlocks: 0
; VGPRBlocks: 2
; NumSGPRsForWavesPerEU: 38
; NumVGPRsForWavesPerEU: 21
; Occupancy: 16
; WaveLimiterHint : 0
; COMPUTE_PGM_RSRC2:SCRATCH_EN: 0
; COMPUTE_PGM_RSRC2:USER_SGPR: 6
; COMPUTE_PGM_RSRC2:TRAP_HANDLER: 0
; COMPUTE_PGM_RSRC2:TGID_X_EN: 1
; COMPUTE_PGM_RSRC2:TGID_Y_EN: 1
; COMPUTE_PGM_RSRC2:TGID_Z_EN: 1
; COMPUTE_PGM_RSRC2:TIDIG_COMP_CNT: 0
	.section	.text._ZL13mul_mat_vec_fIffLi5ELi32ELb0ELb0EEvPKT_PKfPKi31ggml_cuda_mm_fusion_args_devicePfi15HIP_vector_typeIjLj3EEiiiSA_iiiSA_iiii,"axG",@progbits,_ZL13mul_mat_vec_fIffLi5ELi32ELb0ELb0EEvPKT_PKfPKi31ggml_cuda_mm_fusion_args_devicePfi15HIP_vector_typeIjLj3EEiiiSA_iiiSA_iiii,comdat
	.globl	_ZL13mul_mat_vec_fIffLi5ELi32ELb0ELb0EEvPKT_PKfPKi31ggml_cuda_mm_fusion_args_devicePfi15HIP_vector_typeIjLj3EEiiiSA_iiiSA_iiii ; -- Begin function _ZL13mul_mat_vec_fIffLi5ELi32ELb0ELb0EEvPKT_PKfPKi31ggml_cuda_mm_fusion_args_devicePfi15HIP_vector_typeIjLj3EEiiiSA_iiiSA_iiii
	.p2align	8
	.type	_ZL13mul_mat_vec_fIffLi5ELi32ELb0ELb0EEvPKT_PKfPKi31ggml_cuda_mm_fusion_args_devicePfi15HIP_vector_typeIjLj3EEiiiSA_iiiSA_iiii,@function
_ZL13mul_mat_vec_fIffLi5ELi32ELb0ELb0EEvPKT_PKfPKi31ggml_cuda_mm_fusion_args_devicePfi15HIP_vector_typeIjLj3EEiiiSA_iiiSA_iiii: ; @_ZL13mul_mat_vec_fIffLi5ELi32ELb0ELb0EEvPKT_PKfPKi31ggml_cuda_mm_fusion_args_devicePfi15HIP_vector_typeIjLj3EEiiiSA_iiiSA_iiii
; %bb.0:
	s_clause 0x2
	s_load_dwordx2 s[20:21], s[4:5], 0x10
	s_load_dwordx8 s[12:19], s[4:5], 0x40
	s_load_dwordx4 s[0:3], s[4:5], 0x80
	s_waitcnt lgkmcnt(0)
	s_cmp_eq_u64 s[20:21], 0
	s_cselect_b32 s9, -1, 0
	s_cmp_lg_u64 s[20:21], 0
	s_cselect_b32 s25, -1, 0
	s_and_b32 vcc_lo, exec_lo, s9
	s_cbranch_vccnz .LBB56_2
; %bb.1:
	s_mul_i32 s3, s3, s8
	s_mov_b32 s11, 0
	s_add_i32 s10, s3, s7
	s_lshl_b64 s[22:23], s[10:11], 2
	s_add_u32 s20, s20, s22
	s_addc_u32 s21, s21, s23
	s_load_dword s24, s[20:21], 0x0
	s_load_dwordx4 s[20:23], s[4:5], 0x68
	s_cbranch_execz .LBB56_3
	s_branch .LBB56_4
.LBB56_2:
                                        ; implicit-def: $sgpr24
	s_load_dwordx4 s[20:23], s[4:5], 0x68
.LBB56_3:
	s_load_dwordx2 s[10:11], s[4:5], 0x5c
	s_waitcnt lgkmcnt(0)
	s_mul_hi_u32 s3, s10, s7
	s_add_i32 s3, s7, s3
	s_lshr_b32 s24, s3, s11
.LBB56_4:
	s_load_dword s19, s[4:5], 0x78
	s_andn2_b32 vcc_lo, exec_lo, s25
	s_mov_b32 s25, s7
	s_cbranch_vccnz .LBB56_6
; %bb.5:
	s_mul_hi_u32 s3, s13, s7
	s_add_i32 s3, s7, s3
	s_lshr_b32 s3, s3, s14
	s_mul_i32 s3, s3, s15
	s_sub_i32 s25, s7, s3
.LBB56_6:
	v_mov_b32_e32 v6, 0
	v_mov_b32_e32 v7, 0
	;; [unrolled: 1-line block ×5, first 2 shown]
	s_and_b32 s3, exec_lo, s9
	s_mov_b32 s14, 0
	s_cselect_b32 s3, s8, 0
	s_mov_b32 s13, exec_lo
	v_cmpx_gt_i32_e64 s12, v0
	s_cbranch_execz .LBB56_10
; %bb.7:
	s_load_dwordx4 s[8:11], s[4:5], 0x0
	s_waitcnt lgkmcnt(0)
	s_mul_hi_u32 s15, s23, s3
	s_mul_hi_i32 s29, s1, s3
	s_mul_i32 s28, s1, s3
	s_mul_i32 s24, s24, s20
	;; [unrolled: 1-line block ×4, first 2 shown]
	s_add_i32 s1, s3, s15
	s_lshl_b64 s[28:29], s[28:29], 2
	s_ashr_i32 s25, s24, 31
	s_ashr_i32 s27, s26, 31
	;; [unrolled: 1-line block ×3, first 2 shown]
	s_lshr_b32 s15, s1, s19
	v_lshlrev_b32_e32 v1, 3, v0
	s_mul_hi_i32 s1, s15, s0
	s_mul_i32 s0, s15, s0
	s_mov_b32 s30, s17
	v_mov_b32_e32 v5, 0
	v_mov_b32_e32 v10, v0
	;; [unrolled: 1-line block ×3, first 2 shown]
	s_add_u32 s16, s10, s28
	s_addc_u32 s19, s11, s29
	s_lshl_b64 s[34:35], s[20:21], 2
	v_mov_b32_e32 v8, 0
	s_add_u32 s15, s16, s34
	s_addc_u32 s16, s19, s35
	s_lshl_b64 s[24:25], s[24:25], 2
	s_ashr_i32 s31, s17, 31
	s_add_i32 s19, s17, s17
	s_lshl_b32 s20, s17, 2
	s_lshl_b64 s[0:1], s[0:1], 2
	s_lshl_b64 s[26:27], s[26:27], 2
	s_add_u32 s8, s8, s24
	s_addc_u32 s9, s9, s25
	s_add_u32 s8, s8, s26
	s_addc_u32 s9, s9, s27
	;; [unrolled: 2-line block ×3, first 2 shown]
	v_add_co_u32 v2, s0, s0, v1
	v_add_co_ci_u32_e64 v3, null, s1, 0, s0
	s_lshl_b64 s[0:1], s[30:31], 3
	s_add_u32 s8, s10, s34
	s_addc_u32 s9, s11, s35
	s_add_u32 s8, s8, s28
	s_addc_u32 s9, s9, s29
	v_add_co_u32 v4, s8, s8, v1
	v_add_co_ci_u32_e64 v6, null, s9, 0, s8
	v_add_co_u32 v1, vcc_lo, v2, 4
	v_add_co_ci_u32_e64 v2, null, 0, v3, vcc_lo
	v_add_co_u32 v3, vcc_lo, v4, 4
	v_add_co_ci_u32_e64 v4, null, 0, v6, vcc_lo
	v_mov_b32_e32 v7, 0
	v_mov_b32_e32 v6, 0
	s_mul_i32 s8, s17, 3
.LBB56_8:                               ; =>This Inner Loop Header: Depth=1
	v_add_nc_u32_e32 v13, s19, v10
	v_add_nc_u32_e32 v17, s8, v10
	;; [unrolled: 1-line block ×3, first 2 shown]
	v_add_co_u32 v15, vcc_lo, v3, s0
	v_ashrrev_i32_e32 v14, 31, v13
	v_ashrrev_i32_e32 v18, 31, v17
	;; [unrolled: 1-line block ×3, first 2 shown]
	v_add_co_ci_u32_e64 v16, null, s1, v4, vcc_lo
	v_lshlrev_b64 v[13:14], 3, v[13:14]
	v_lshlrev_b64 v[17:18], 3, v[17:18]
	v_lshlrev_b64 v[19:20], 3, v[19:20]
	global_load_dwordx2 v[11:12], v[1:2], off offset:-4
	v_add_nc_u32_e32 v10, 32, v10
	v_add_co_u32 v13, vcc_lo, s15, v13
	v_add_co_ci_u32_e64 v14, null, s16, v14, vcc_lo
	v_add_co_u32 v17, vcc_lo, s15, v17
	v_add_co_ci_u32_e64 v18, null, s16, v18, vcc_lo
	;; [unrolled: 2-line block ×3, first 2 shown]
	s_clause 0x1
	global_load_dwordx2 v[21:22], v[3:4], off offset:-4
	global_load_dwordx2 v[15:16], v[15:16], off offset:-4
	s_clause 0x2
	global_load_dwordx2 v[13:14], v[13:14], off
	global_load_dwordx2 v[17:18], v[17:18], off
	;; [unrolled: 1-line block ×3, first 2 shown]
	v_add_co_u32 v1, vcc_lo, 0x100, v1
	v_add_co_ci_u32_e64 v2, null, 0, v2, vcc_lo
	v_add_co_u32 v3, vcc_lo, 0x100, v3
	v_add_co_ci_u32_e64 v4, null, 0, v4, vcc_lo
	v_cmp_le_i32_e32 vcc_lo, s12, v10
	s_or_b32 s14, vcc_lo, s14
	s_waitcnt vmcnt(4)
	v_fmac_f32_e32 v5, v11, v21
	s_waitcnt vmcnt(3)
	v_fmac_f32_e32 v9, v11, v15
	;; [unrolled: 2-line block ×5, first 2 shown]
	v_fmac_f32_e32 v5, v12, v22
	v_fmac_f32_e32 v9, v12, v16
	;; [unrolled: 1-line block ×5, first 2 shown]
	s_andn2_b32 exec_lo, exec_lo, s14
	s_cbranch_execnz .LBB56_8
; %bb.9:
	s_or_b32 exec_lo, exec_lo, s14
.LBB56_10:
	s_or_b32 exec_lo, exec_lo, s13
	v_mbcnt_lo_u32_b32 v1, -1, 0
	s_mov_b32 s0, exec_lo
	v_xor_b32_e32 v2, 16, v1
	v_xor_b32_e32 v12, 8, v1
	v_cmp_gt_i32_e32 vcc_lo, 32, v2
	v_cndmask_b32_e32 v2, v1, v2, vcc_lo
	v_cmp_gt_i32_e32 vcc_lo, 32, v12
	v_lshlrev_b32_e32 v2, 2, v2
	v_cndmask_b32_e32 v12, v1, v12, vcc_lo
	ds_bpermute_b32 v3, v2, v5
	ds_bpermute_b32 v4, v2, v9
	;; [unrolled: 1-line block ×5, first 2 shown]
	v_lshlrev_b32_e32 v12, 2, v12
	s_waitcnt lgkmcnt(0)
	v_add_f32_e32 v3, v5, v3
	v_add_f32_e32 v4, v9, v4
	;; [unrolled: 1-line block ×5, first 2 shown]
	ds_bpermute_b32 v6, v12, v3
	ds_bpermute_b32 v8, v12, v4
	ds_bpermute_b32 v9, v12, v5
	ds_bpermute_b32 v10, v12, v7
	ds_bpermute_b32 v11, v12, v2
	v_xor_b32_e32 v12, 4, v1
	v_cmp_gt_i32_e32 vcc_lo, 32, v12
	v_cndmask_b32_e32 v12, v1, v12, vcc_lo
	v_lshlrev_b32_e32 v12, 2, v12
	s_waitcnt lgkmcnt(4)
	v_add_f32_e32 v3, v3, v6
	s_waitcnt lgkmcnt(3)
	v_add_f32_e32 v4, v4, v8
	s_waitcnt lgkmcnt(2)
	v_add_f32_e32 v5, v5, v9
	s_waitcnt lgkmcnt(1)
	v_add_f32_e32 v6, v7, v10
	s_waitcnt lgkmcnt(0)
	v_add_f32_e32 v2, v2, v11
	ds_bpermute_b32 v7, v12, v3
	ds_bpermute_b32 v8, v12, v4
	ds_bpermute_b32 v9, v12, v5
	ds_bpermute_b32 v10, v12, v6
	ds_bpermute_b32 v11, v12, v2
	v_xor_b32_e32 v12, 2, v1
	v_cmp_gt_i32_e32 vcc_lo, 32, v12
	v_cndmask_b32_e32 v12, v1, v12, vcc_lo
	v_lshlrev_b32_e32 v12, 2, v12
	s_waitcnt lgkmcnt(4)
	v_add_f32_e32 v3, v3, v7
	s_waitcnt lgkmcnt(3)
	v_add_f32_e32 v4, v4, v8
	s_waitcnt lgkmcnt(2)
	v_add_f32_e32 v5, v5, v9
	s_waitcnt lgkmcnt(1)
	v_add_f32_e32 v6, v6, v10
	s_waitcnt lgkmcnt(0)
	v_add_f32_e32 v9, v2, v11
	;; [unrolled: 19-line block ×3, first 2 shown]
	ds_bpermute_b32 v9, v13, v7
	ds_bpermute_b32 v10, v13, v8
	;; [unrolled: 1-line block ×5, first 2 shown]
	v_cmpx_gt_u32_e32 5, v0
	s_cbranch_execz .LBB56_12
; %bb.11:
	s_load_dwordx2 s[0:1], s[4:5], 0x38
	s_waitcnt lgkmcnt(0)
	v_add_f32_e32 v9, v7, v9
	v_add_f32_e32 v10, v8, v10
	v_cmp_eq_u32_e32 vcc_lo, 1, v0
	v_mad_u64_u32 v[7:8], null, s18, v0, s[6:7]
	v_add_f32_e32 v1, v1, v4
	v_add_f32_e32 v2, v2, v5
	v_cndmask_b32_e32 v4, v9, v10, vcc_lo
	v_cmp_eq_u32_e32 vcc_lo, 2, v0
	s_mul_hi_i32 s5, s2, s3
	s_mul_i32 s4, s2, s3
	v_ashrrev_i32_e32 v8, 31, v7
	s_mul_i32 s2, s22, s7
	v_cndmask_b32_e32 v1, v4, v1, vcc_lo
	v_cmp_eq_u32_e32 vcc_lo, 3, v0
	s_lshl_b64 s[4:5], s[4:5], 2
	s_ashr_i32 s3, s2, 31
	v_add_f32_e32 v3, v3, v6
	v_cndmask_b32_e32 v4, v1, v2, vcc_lo
	v_lshlrev_b64 v[1:2], 2, v[7:8]
	s_add_u32 s4, s0, s4
	v_cmp_eq_u32_e32 vcc_lo, 4, v0
	s_addc_u32 s5, s1, s5
	s_lshl_b64 s[0:1], s[2:3], 2
	s_add_u32 s0, s4, s0
	s_addc_u32 s1, s5, s1
	v_cndmask_b32_e32 v3, v4, v3, vcc_lo
	v_add_co_u32 v0, vcc_lo, s0, v1
	v_add_co_ci_u32_e64 v1, null, s1, v2, vcc_lo
	global_store_dword v[0:1], v3, off
.LBB56_12:
	s_endpgm
	.section	.rodata,"a",@progbits
	.p2align	6, 0x0
	.amdhsa_kernel _ZL13mul_mat_vec_fIffLi5ELi32ELb0ELb0EEvPKT_PKfPKi31ggml_cuda_mm_fusion_args_devicePfi15HIP_vector_typeIjLj3EEiiiSA_iiiSA_iiii
		.amdhsa_group_segment_fixed_size 0
		.amdhsa_private_segment_fixed_size 0
		.amdhsa_kernarg_size 144
		.amdhsa_user_sgpr_count 6
		.amdhsa_user_sgpr_private_segment_buffer 1
		.amdhsa_user_sgpr_dispatch_ptr 0
		.amdhsa_user_sgpr_queue_ptr 0
		.amdhsa_user_sgpr_kernarg_segment_ptr 1
		.amdhsa_user_sgpr_dispatch_id 0
		.amdhsa_user_sgpr_flat_scratch_init 0
		.amdhsa_user_sgpr_private_segment_size 0
		.amdhsa_wavefront_size32 1
		.amdhsa_uses_dynamic_stack 0
		.amdhsa_system_sgpr_private_segment_wavefront_offset 0
		.amdhsa_system_sgpr_workgroup_id_x 1
		.amdhsa_system_sgpr_workgroup_id_y 1
		.amdhsa_system_sgpr_workgroup_id_z 1
		.amdhsa_system_sgpr_workgroup_info 0
		.amdhsa_system_vgpr_workitem_id 0
		.amdhsa_next_free_vgpr 23
		.amdhsa_next_free_sgpr 36
		.amdhsa_reserve_vcc 1
		.amdhsa_reserve_flat_scratch 0
		.amdhsa_float_round_mode_32 0
		.amdhsa_float_round_mode_16_64 0
		.amdhsa_float_denorm_mode_32 3
		.amdhsa_float_denorm_mode_16_64 3
		.amdhsa_dx10_clamp 1
		.amdhsa_ieee_mode 1
		.amdhsa_fp16_overflow 0
		.amdhsa_workgroup_processor_mode 1
		.amdhsa_memory_ordered 1
		.amdhsa_forward_progress 1
		.amdhsa_shared_vgpr_count 0
		.amdhsa_exception_fp_ieee_invalid_op 0
		.amdhsa_exception_fp_denorm_src 0
		.amdhsa_exception_fp_ieee_div_zero 0
		.amdhsa_exception_fp_ieee_overflow 0
		.amdhsa_exception_fp_ieee_underflow 0
		.amdhsa_exception_fp_ieee_inexact 0
		.amdhsa_exception_int_div_zero 0
	.end_amdhsa_kernel
	.section	.text._ZL13mul_mat_vec_fIffLi5ELi32ELb0ELb0EEvPKT_PKfPKi31ggml_cuda_mm_fusion_args_devicePfi15HIP_vector_typeIjLj3EEiiiSA_iiiSA_iiii,"axG",@progbits,_ZL13mul_mat_vec_fIffLi5ELi32ELb0ELb0EEvPKT_PKfPKi31ggml_cuda_mm_fusion_args_devicePfi15HIP_vector_typeIjLj3EEiiiSA_iiiSA_iiii,comdat
.Lfunc_end56:
	.size	_ZL13mul_mat_vec_fIffLi5ELi32ELb0ELb0EEvPKT_PKfPKi31ggml_cuda_mm_fusion_args_devicePfi15HIP_vector_typeIjLj3EEiiiSA_iiiSA_iiii, .Lfunc_end56-_ZL13mul_mat_vec_fIffLi5ELi32ELb0ELb0EEvPKT_PKfPKi31ggml_cuda_mm_fusion_args_devicePfi15HIP_vector_typeIjLj3EEiiiSA_iiiSA_iiii
                                        ; -- End function
	.set _ZL13mul_mat_vec_fIffLi5ELi32ELb0ELb0EEvPKT_PKfPKi31ggml_cuda_mm_fusion_args_devicePfi15HIP_vector_typeIjLj3EEiiiSA_iiiSA_iiii.num_vgpr, 23
	.set _ZL13mul_mat_vec_fIffLi5ELi32ELb0ELb0EEvPKT_PKfPKi31ggml_cuda_mm_fusion_args_devicePfi15HIP_vector_typeIjLj3EEiiiSA_iiiSA_iiii.num_agpr, 0
	.set _ZL13mul_mat_vec_fIffLi5ELi32ELb0ELb0EEvPKT_PKfPKi31ggml_cuda_mm_fusion_args_devicePfi15HIP_vector_typeIjLj3EEiiiSA_iiiSA_iiii.numbered_sgpr, 36
	.set _ZL13mul_mat_vec_fIffLi5ELi32ELb0ELb0EEvPKT_PKfPKi31ggml_cuda_mm_fusion_args_devicePfi15HIP_vector_typeIjLj3EEiiiSA_iiiSA_iiii.num_named_barrier, 0
	.set _ZL13mul_mat_vec_fIffLi5ELi32ELb0ELb0EEvPKT_PKfPKi31ggml_cuda_mm_fusion_args_devicePfi15HIP_vector_typeIjLj3EEiiiSA_iiiSA_iiii.private_seg_size, 0
	.set _ZL13mul_mat_vec_fIffLi5ELi32ELb0ELb0EEvPKT_PKfPKi31ggml_cuda_mm_fusion_args_devicePfi15HIP_vector_typeIjLj3EEiiiSA_iiiSA_iiii.uses_vcc, 1
	.set _ZL13mul_mat_vec_fIffLi5ELi32ELb0ELb0EEvPKT_PKfPKi31ggml_cuda_mm_fusion_args_devicePfi15HIP_vector_typeIjLj3EEiiiSA_iiiSA_iiii.uses_flat_scratch, 0
	.set _ZL13mul_mat_vec_fIffLi5ELi32ELb0ELb0EEvPKT_PKfPKi31ggml_cuda_mm_fusion_args_devicePfi15HIP_vector_typeIjLj3EEiiiSA_iiiSA_iiii.has_dyn_sized_stack, 0
	.set _ZL13mul_mat_vec_fIffLi5ELi32ELb0ELb0EEvPKT_PKfPKi31ggml_cuda_mm_fusion_args_devicePfi15HIP_vector_typeIjLj3EEiiiSA_iiiSA_iiii.has_recursion, 0
	.set _ZL13mul_mat_vec_fIffLi5ELi32ELb0ELb0EEvPKT_PKfPKi31ggml_cuda_mm_fusion_args_devicePfi15HIP_vector_typeIjLj3EEiiiSA_iiiSA_iiii.has_indirect_call, 0
	.section	.AMDGPU.csdata,"",@progbits
; Kernel info:
; codeLenInByte = 1372
; TotalNumSgprs: 38
; NumVgprs: 23
; ScratchSize: 0
; MemoryBound: 0
; FloatMode: 240
; IeeeMode: 1
; LDSByteSize: 0 bytes/workgroup (compile time only)
; SGPRBlocks: 0
; VGPRBlocks: 2
; NumSGPRsForWavesPerEU: 38
; NumVGPRsForWavesPerEU: 23
; Occupancy: 16
; WaveLimiterHint : 0
; COMPUTE_PGM_RSRC2:SCRATCH_EN: 0
; COMPUTE_PGM_RSRC2:USER_SGPR: 6
; COMPUTE_PGM_RSRC2:TRAP_HANDLER: 0
; COMPUTE_PGM_RSRC2:TGID_X_EN: 1
; COMPUTE_PGM_RSRC2:TGID_Y_EN: 1
; COMPUTE_PGM_RSRC2:TGID_Z_EN: 1
; COMPUTE_PGM_RSRC2:TIDIG_COMP_CNT: 0
	.section	.text._ZL13mul_mat_vec_fIffLi5ELi64ELb0ELb0EEvPKT_PKfPKi31ggml_cuda_mm_fusion_args_devicePfi15HIP_vector_typeIjLj3EEiiiSA_iiiSA_iiii,"axG",@progbits,_ZL13mul_mat_vec_fIffLi5ELi64ELb0ELb0EEvPKT_PKfPKi31ggml_cuda_mm_fusion_args_devicePfi15HIP_vector_typeIjLj3EEiiiSA_iiiSA_iiii,comdat
	.globl	_ZL13mul_mat_vec_fIffLi5ELi64ELb0ELb0EEvPKT_PKfPKi31ggml_cuda_mm_fusion_args_devicePfi15HIP_vector_typeIjLj3EEiiiSA_iiiSA_iiii ; -- Begin function _ZL13mul_mat_vec_fIffLi5ELi64ELb0ELb0EEvPKT_PKfPKi31ggml_cuda_mm_fusion_args_devicePfi15HIP_vector_typeIjLj3EEiiiSA_iiiSA_iiii
	.p2align	8
	.type	_ZL13mul_mat_vec_fIffLi5ELi64ELb0ELb0EEvPKT_PKfPKi31ggml_cuda_mm_fusion_args_devicePfi15HIP_vector_typeIjLj3EEiiiSA_iiiSA_iiii,@function
_ZL13mul_mat_vec_fIffLi5ELi64ELb0ELb0EEvPKT_PKfPKi31ggml_cuda_mm_fusion_args_devicePfi15HIP_vector_typeIjLj3EEiiiSA_iiiSA_iiii: ; @_ZL13mul_mat_vec_fIffLi5ELi64ELb0ELb0EEvPKT_PKfPKi31ggml_cuda_mm_fusion_args_devicePfi15HIP_vector_typeIjLj3EEiiiSA_iiiSA_iiii
; %bb.0:
	s_clause 0x2
	s_load_dwordx2 s[0:1], s[4:5], 0x10
	s_load_dwordx8 s[12:19], s[4:5], 0x40
	s_load_dwordx4 s[20:23], s[4:5], 0x80
	s_waitcnt lgkmcnt(0)
	s_cmp_eq_u64 s[0:1], 0
	s_cselect_b32 s10, -1, 0
	s_cmp_lg_u64 s[0:1], 0
	s_cselect_b32 s11, -1, 0
	s_and_b32 vcc_lo, exec_lo, s10
	s_cbranch_vccnz .LBB57_2
; %bb.1:
	s_mul_i32 s2, s23, s8
	s_mov_b32 s3, 0
	s_add_i32 s2, s2, s7
	s_lshl_b64 s[24:25], s[2:3], 2
	s_add_u32 s0, s0, s24
	s_addc_u32 s1, s1, s25
	s_load_dword s9, s[0:1], 0x0
	s_cbranch_execz .LBB57_3
	s_branch .LBB57_4
.LBB57_2:
                                        ; implicit-def: $sgpr9
.LBB57_3:
	s_load_dwordx2 s[0:1], s[4:5], 0x5c
	s_waitcnt lgkmcnt(0)
	s_mul_hi_u32 s0, s0, s7
	s_add_i32 s0, s7, s0
	s_lshr_b32 s9, s0, s1
.LBB57_4:
	s_load_dwordx4 s[24:27], s[4:5], 0x68
	s_andn2_b32 vcc_lo, exec_lo, s11
	s_mov_b32 s19, s7
	s_cbranch_vccnz .LBB57_6
; %bb.5:
	s_mul_hi_u32 s0, s13, s7
	s_add_i32 s0, s7, s0
	s_lshr_b32 s0, s0, s14
	s_mul_i32 s0, s0, s15
	s_sub_i32 s19, s7, s0
.LBB57_6:
	s_load_dword s14, s[4:5], 0x78
	v_cmp_gt_u32_e32 vcc_lo, 32, v0
	v_lshl_add_u32 v5, v0, 2, 0
	s_and_saveexec_b32 s0, vcc_lo
; %bb.7:
	v_mov_b32_e32 v1, 0
	ds_write_b32 v5, v1
; %bb.8:
	s_or_b32 exec_lo, exec_lo, s0
	v_mov_b32_e32 v6, 0
	v_mov_b32_e32 v7, 0
	;; [unrolled: 1-line block ×5, first 2 shown]
	s_and_b32 s0, exec_lo, s10
	s_mov_b32 s11, 0
	s_cselect_b32 s10, s8, 0
	s_mov_b32 s13, exec_lo
	s_waitcnt lgkmcnt(0)
	s_barrier
	buffer_gl0_inv
	v_cmpx_gt_i32_e64 s12, v0
	s_cbranch_execz .LBB57_12
; %bb.9:
	s_load_dwordx4 s[0:3], s[4:5], 0x0
	s_mul_hi_u32 s15, s27, s10
	s_mul_hi_i32 s29, s21, s10
	s_mul_i32 s28, s21, s10
	s_mul_i32 s8, s9, s24
	;; [unrolled: 1-line block ×4, first 2 shown]
	s_add_i32 s15, s10, s15
	s_lshl_b64 s[28:29], s[28:29], 2
	s_ashr_i32 s9, s8, 31
	s_ashr_i32 s25, s24, 31
	;; [unrolled: 1-line block ×3, first 2 shown]
	s_lshr_b32 s14, s15, s14
	v_lshlrev_b32_e32 v1, 3, v0
	s_mul_hi_i32 s21, s14, s20
	s_mul_i32 s20, s14, s20
	s_mov_b32 s34, s17
	v_mov_b32_e32 v10, 0
	v_mov_b32_e32 v11, v0
	;; [unrolled: 1-line block ×3, first 2 shown]
	s_waitcnt lgkmcnt(0)
	s_add_u32 s15, s2, s28
	s_addc_u32 s16, s3, s29
	s_lshl_b64 s[30:31], s[30:31], 2
	v_mov_b32_e32 v8, 0
	s_add_u32 s14, s15, s30
	s_addc_u32 s15, s16, s31
	s_lshl_b64 s[8:9], s[8:9], 2
	s_ashr_i32 s35, s17, 31
	s_add_i32 s16, s17, s17
	s_lshl_b32 s19, s17, 2
	s_lshl_b64 s[20:21], s[20:21], 2
	s_lshl_b64 s[24:25], s[24:25], 2
	s_add_u32 s0, s0, s8
	s_addc_u32 s1, s1, s9
	s_add_u32 s0, s0, s24
	s_addc_u32 s1, s1, s25
	s_add_u32 s0, s0, s20
	s_addc_u32 s1, s1, s21
	v_add_co_u32 v2, s0, s0, v1
	s_lshl_b64 s[8:9], s[34:35], 3
	v_add_co_ci_u32_e64 v3, null, s1, 0, s0
	s_add_u32 s0, s2, s30
	s_addc_u32 s1, s3, s31
	s_add_u32 s0, s0, s28
	s_addc_u32 s1, s1, s29
	v_add_co_u32 v4, s0, s0, v1
	v_add_co_ci_u32_e64 v6, null, s1, 0, s0
	v_add_co_u32 v1, s0, v2, 4
	v_add_co_ci_u32_e64 v2, null, 0, v3, s0
	;; [unrolled: 2-line block ×3, first 2 shown]
	v_mov_b32_e32 v7, 0
	v_mov_b32_e32 v6, 0
	s_mul_i32 s1, s17, 3
.LBB57_10:                              ; =>This Inner Loop Header: Depth=1
	v_add_nc_u32_e32 v14, s16, v11
	v_add_nc_u32_e32 v18, s1, v11
	;; [unrolled: 1-line block ×3, first 2 shown]
	v_add_co_u32 v16, s0, v3, s8
	v_ashrrev_i32_e32 v15, 31, v14
	v_ashrrev_i32_e32 v19, 31, v18
	v_ashrrev_i32_e32 v21, 31, v20
	v_add_co_ci_u32_e64 v17, null, s9, v4, s0
	v_lshlrev_b64 v[14:15], 3, v[14:15]
	v_lshlrev_b64 v[18:19], 3, v[18:19]
	;; [unrolled: 1-line block ×3, first 2 shown]
	global_load_dwordx2 v[12:13], v[1:2], off offset:-4
	v_add_nc_u32_e32 v11, 64, v11
	v_add_co_u32 v14, s0, s14, v14
	v_add_co_ci_u32_e64 v15, null, s15, v15, s0
	v_add_co_u32 v18, s0, s14, v18
	v_add_co_ci_u32_e64 v19, null, s15, v19, s0
	;; [unrolled: 2-line block ×3, first 2 shown]
	s_clause 0x1
	global_load_dwordx2 v[22:23], v[3:4], off offset:-4
	global_load_dwordx2 v[16:17], v[16:17], off offset:-4
	s_clause 0x2
	global_load_dwordx2 v[14:15], v[14:15], off
	global_load_dwordx2 v[18:19], v[18:19], off
	;; [unrolled: 1-line block ×3, first 2 shown]
	v_add_co_u32 v1, s0, 0x200, v1
	v_add_co_ci_u32_e64 v2, null, 0, v2, s0
	v_add_co_u32 v3, s0, 0x200, v3
	v_add_co_ci_u32_e64 v4, null, 0, v4, s0
	v_cmp_le_i32_e64 s0, s12, v11
	s_or_b32 s11, s0, s11
	s_waitcnt vmcnt(4)
	v_fmac_f32_e32 v10, v12, v22
	s_waitcnt vmcnt(3)
	v_fmac_f32_e32 v9, v12, v16
	s_waitcnt vmcnt(2)
	v_fmac_f32_e32 v8, v12, v14
	s_waitcnt vmcnt(1)
	v_fmac_f32_e32 v7, v12, v18
	s_waitcnt vmcnt(0)
	v_fmac_f32_e32 v6, v12, v20
	v_fmac_f32_e32 v10, v13, v23
	v_fmac_f32_e32 v9, v13, v17
	;; [unrolled: 1-line block ×5, first 2 shown]
	s_andn2_b32 exec_lo, exec_lo, s11
	s_cbranch_execnz .LBB57_10
; %bb.11:
	s_or_b32 exec_lo, exec_lo, s11
.LBB57_12:
	s_or_b32 exec_lo, exec_lo, s13
	v_mbcnt_lo_u32_b32 v2, -1, 0
	v_xor_b32_e32 v1, 16, v2
	v_xor_b32_e32 v3, 8, v2
	v_cmp_gt_i32_e64 s0, 32, v1
	v_cndmask_b32_e64 v1, v2, v1, s0
	v_cmp_gt_i32_e64 s0, 32, v3
	v_lshlrev_b32_e32 v1, 2, v1
	v_cndmask_b32_e64 v3, v2, v3, s0
	ds_bpermute_b32 v4, v1, v10
	v_lshlrev_b32_e32 v3, 2, v3
	s_waitcnt lgkmcnt(0)
	v_add_f32_e32 v10, v10, v4
	v_xor_b32_e32 v4, 4, v2
	ds_bpermute_b32 v11, v3, v10
	v_cmp_gt_i32_e64 s0, 32, v4
	v_cndmask_b32_e64 v4, v2, v4, s0
	v_lshlrev_b32_e32 v4, 2, v4
	s_waitcnt lgkmcnt(0)
	v_add_f32_e32 v11, v10, v11
	v_xor_b32_e32 v10, 2, v2
	ds_bpermute_b32 v12, v4, v11
	v_cmp_gt_i32_e64 s0, 32, v10
	v_cndmask_b32_e64 v10, v2, v10, s0
	;; [unrolled: 7-line block ×3, first 2 shown]
	v_lshlrev_b32_e32 v11, 2, v2
	s_waitcnt lgkmcnt(0)
	v_add_f32_e32 v2, v12, v13
	v_lshrrev_b32_e32 v12, 3, v0
	ds_bpermute_b32 v13, v11, v2
	v_and_b32_e32 v12, 0x7c, v12
	v_add_nc_u32_e32 v12, 0, v12
	s_waitcnt lgkmcnt(0)
	v_add_f32_e32 v2, v2, v13
	ds_write_b32 v12, v2
	s_waitcnt lgkmcnt(0)
	s_barrier
	buffer_gl0_inv
	s_and_saveexec_b32 s0, vcc_lo
	s_cbranch_execz .LBB57_14
; %bb.13:
	ds_read_b32 v2, v5
	s_waitcnt lgkmcnt(0)
	ds_bpermute_b32 v13, v1, v2
	s_waitcnt lgkmcnt(0)
	v_add_f32_e32 v2, v2, v13
	ds_bpermute_b32 v13, v3, v2
	s_waitcnt lgkmcnt(0)
	v_add_f32_e32 v2, v2, v13
	ds_bpermute_b32 v13, v4, v2
	s_waitcnt lgkmcnt(0)
	v_add_f32_e32 v2, v2, v13
	ds_bpermute_b32 v13, v10, v2
	s_waitcnt lgkmcnt(0)
	v_add_f32_e32 v2, v2, v13
	ds_bpermute_b32 v13, v11, v2
	s_waitcnt lgkmcnt(0)
	v_add_f32_e32 v2, v2, v13
.LBB57_14:
	s_or_b32 exec_lo, exec_lo, s0
	ds_bpermute_b32 v13, v1, v9
	s_waitcnt lgkmcnt(0)
	s_barrier
	buffer_gl0_inv
	v_add_f32_e32 v9, v9, v13
	ds_bpermute_b32 v13, v3, v9
	s_waitcnt lgkmcnt(0)
	v_add_f32_e32 v9, v9, v13
	ds_bpermute_b32 v13, v4, v9
	s_waitcnt lgkmcnt(0)
	v_add_f32_e32 v9, v9, v13
	ds_bpermute_b32 v13, v10, v9
	s_waitcnt lgkmcnt(0)
	v_add_f32_e32 v9, v9, v13
	ds_bpermute_b32 v13, v11, v9
	s_waitcnt lgkmcnt(0)
	v_add_f32_e32 v9, v9, v13
	ds_write_b32 v12, v9
	s_waitcnt lgkmcnt(0)
	s_barrier
	buffer_gl0_inv
	s_and_saveexec_b32 s0, vcc_lo
	s_cbranch_execz .LBB57_16
; %bb.15:
	ds_read_b32 v9, v5
	s_waitcnt lgkmcnt(0)
	ds_bpermute_b32 v13, v1, v9
	s_waitcnt lgkmcnt(0)
	v_add_f32_e32 v9, v9, v13
	ds_bpermute_b32 v13, v3, v9
	s_waitcnt lgkmcnt(0)
	v_add_f32_e32 v9, v9, v13
	ds_bpermute_b32 v13, v4, v9
	s_waitcnt lgkmcnt(0)
	v_add_f32_e32 v9, v9, v13
	ds_bpermute_b32 v13, v10, v9
	s_waitcnt lgkmcnt(0)
	v_add_f32_e32 v9, v9, v13
	ds_bpermute_b32 v13, v11, v9
	s_waitcnt lgkmcnt(0)
	v_add_f32_e32 v9, v9, v13
.LBB57_16:
	s_or_b32 exec_lo, exec_lo, s0
	ds_bpermute_b32 v13, v1, v8
	s_waitcnt lgkmcnt(0)
	s_barrier
	buffer_gl0_inv
	v_add_f32_e32 v8, v8, v13
	ds_bpermute_b32 v13, v3, v8
	s_waitcnt lgkmcnt(0)
	v_add_f32_e32 v8, v8, v13
	ds_bpermute_b32 v13, v4, v8
	s_waitcnt lgkmcnt(0)
	v_add_f32_e32 v8, v8, v13
	ds_bpermute_b32 v13, v10, v8
	s_waitcnt lgkmcnt(0)
	v_add_f32_e32 v8, v8, v13
	ds_bpermute_b32 v13, v11, v8
	;; [unrolled: 43-line block ×4, first 2 shown]
	s_waitcnt lgkmcnt(0)
	v_add_f32_e32 v6, v6, v13
	ds_write_b32 v12, v6
	s_waitcnt lgkmcnt(0)
	s_barrier
	buffer_gl0_inv
	s_and_saveexec_b32 s0, vcc_lo
	s_cbranch_execz .LBB57_22
; %bb.21:
	ds_read_b32 v5, v5
	s_waitcnt lgkmcnt(0)
	ds_bpermute_b32 v1, v1, v5
	s_waitcnt lgkmcnt(0)
	v_add_f32_e32 v1, v5, v1
	ds_bpermute_b32 v3, v3, v1
	s_waitcnt lgkmcnt(0)
	v_add_f32_e32 v1, v1, v3
	;; [unrolled: 3-line block ×5, first 2 shown]
.LBB57_22:
	s_or_b32 exec_lo, exec_lo, s0
	s_barrier
	buffer_gl0_inv
	s_mov_b32 s0, exec_lo
	v_cmpx_gt_u32_e32 5, v0
	s_cbranch_execz .LBB57_24
; %bb.23:
	s_load_dwordx2 s[0:1], s[4:5], 0x38
	v_cmp_eq_u32_e32 vcc_lo, 1, v0
	v_mad_u64_u32 v[3:4], null, s18, v0, s[6:7]
	s_mul_hi_i32 s3, s22, s10
	s_mul_i32 s2, s22, s10
	v_cndmask_b32_e32 v1, v2, v9, vcc_lo
	v_cmp_eq_u32_e32 vcc_lo, 2, v0
	s_mul_i32 s4, s26, s7
	s_lshl_b64 s[2:3], s[2:3], 2
	v_ashrrev_i32_e32 v4, 31, v3
	s_ashr_i32 s5, s4, 31
	v_cndmask_b32_e32 v1, v1, v8, vcc_lo
	v_cmp_eq_u32_e32 vcc_lo, 3, v0
	v_cndmask_b32_e32 v5, v1, v7, vcc_lo
	v_lshlrev_b64 v[1:2], 2, v[3:4]
	s_waitcnt lgkmcnt(0)
	s_add_u32 s2, s0, s2
	v_cmp_eq_u32_e32 vcc_lo, 4, v0
	s_addc_u32 s3, s1, s3
	s_lshl_b64 s[0:1], s[4:5], 2
	s_add_u32 s0, s2, s0
	v_cndmask_b32_e32 v3, v5, v6, vcc_lo
	s_addc_u32 s1, s3, s1
	v_add_co_u32 v0, vcc_lo, s0, v1
	v_add_co_ci_u32_e64 v1, null, s1, v2, vcc_lo
	global_store_dword v[0:1], v3, off
.LBB57_24:
	s_endpgm
	.section	.rodata,"a",@progbits
	.p2align	6, 0x0
	.amdhsa_kernel _ZL13mul_mat_vec_fIffLi5ELi64ELb0ELb0EEvPKT_PKfPKi31ggml_cuda_mm_fusion_args_devicePfi15HIP_vector_typeIjLj3EEiiiSA_iiiSA_iiii
		.amdhsa_group_segment_fixed_size 0
		.amdhsa_private_segment_fixed_size 0
		.amdhsa_kernarg_size 144
		.amdhsa_user_sgpr_count 6
		.amdhsa_user_sgpr_private_segment_buffer 1
		.amdhsa_user_sgpr_dispatch_ptr 0
		.amdhsa_user_sgpr_queue_ptr 0
		.amdhsa_user_sgpr_kernarg_segment_ptr 1
		.amdhsa_user_sgpr_dispatch_id 0
		.amdhsa_user_sgpr_flat_scratch_init 0
		.amdhsa_user_sgpr_private_segment_size 0
		.amdhsa_wavefront_size32 1
		.amdhsa_uses_dynamic_stack 0
		.amdhsa_system_sgpr_private_segment_wavefront_offset 0
		.amdhsa_system_sgpr_workgroup_id_x 1
		.amdhsa_system_sgpr_workgroup_id_y 1
		.amdhsa_system_sgpr_workgroup_id_z 1
		.amdhsa_system_sgpr_workgroup_info 0
		.amdhsa_system_vgpr_workitem_id 0
		.amdhsa_next_free_vgpr 24
		.amdhsa_next_free_sgpr 36
		.amdhsa_reserve_vcc 1
		.amdhsa_reserve_flat_scratch 0
		.amdhsa_float_round_mode_32 0
		.amdhsa_float_round_mode_16_64 0
		.amdhsa_float_denorm_mode_32 3
		.amdhsa_float_denorm_mode_16_64 3
		.amdhsa_dx10_clamp 1
		.amdhsa_ieee_mode 1
		.amdhsa_fp16_overflow 0
		.amdhsa_workgroup_processor_mode 1
		.amdhsa_memory_ordered 1
		.amdhsa_forward_progress 1
		.amdhsa_shared_vgpr_count 0
		.amdhsa_exception_fp_ieee_invalid_op 0
		.amdhsa_exception_fp_denorm_src 0
		.amdhsa_exception_fp_ieee_div_zero 0
		.amdhsa_exception_fp_ieee_overflow 0
		.amdhsa_exception_fp_ieee_underflow 0
		.amdhsa_exception_fp_ieee_inexact 0
		.amdhsa_exception_int_div_zero 0
	.end_amdhsa_kernel
	.section	.text._ZL13mul_mat_vec_fIffLi5ELi64ELb0ELb0EEvPKT_PKfPKi31ggml_cuda_mm_fusion_args_devicePfi15HIP_vector_typeIjLj3EEiiiSA_iiiSA_iiii,"axG",@progbits,_ZL13mul_mat_vec_fIffLi5ELi64ELb0ELb0EEvPKT_PKfPKi31ggml_cuda_mm_fusion_args_devicePfi15HIP_vector_typeIjLj3EEiiiSA_iiiSA_iiii,comdat
.Lfunc_end57:
	.size	_ZL13mul_mat_vec_fIffLi5ELi64ELb0ELb0EEvPKT_PKfPKi31ggml_cuda_mm_fusion_args_devicePfi15HIP_vector_typeIjLj3EEiiiSA_iiiSA_iiii, .Lfunc_end57-_ZL13mul_mat_vec_fIffLi5ELi64ELb0ELb0EEvPKT_PKfPKi31ggml_cuda_mm_fusion_args_devicePfi15HIP_vector_typeIjLj3EEiiiSA_iiiSA_iiii
                                        ; -- End function
	.set _ZL13mul_mat_vec_fIffLi5ELi64ELb0ELb0EEvPKT_PKfPKi31ggml_cuda_mm_fusion_args_devicePfi15HIP_vector_typeIjLj3EEiiiSA_iiiSA_iiii.num_vgpr, 24
	.set _ZL13mul_mat_vec_fIffLi5ELi64ELb0ELb0EEvPKT_PKfPKi31ggml_cuda_mm_fusion_args_devicePfi15HIP_vector_typeIjLj3EEiiiSA_iiiSA_iiii.num_agpr, 0
	.set _ZL13mul_mat_vec_fIffLi5ELi64ELb0ELb0EEvPKT_PKfPKi31ggml_cuda_mm_fusion_args_devicePfi15HIP_vector_typeIjLj3EEiiiSA_iiiSA_iiii.numbered_sgpr, 36
	.set _ZL13mul_mat_vec_fIffLi5ELi64ELb0ELb0EEvPKT_PKfPKi31ggml_cuda_mm_fusion_args_devicePfi15HIP_vector_typeIjLj3EEiiiSA_iiiSA_iiii.num_named_barrier, 0
	.set _ZL13mul_mat_vec_fIffLi5ELi64ELb0ELb0EEvPKT_PKfPKi31ggml_cuda_mm_fusion_args_devicePfi15HIP_vector_typeIjLj3EEiiiSA_iiiSA_iiii.private_seg_size, 0
	.set _ZL13mul_mat_vec_fIffLi5ELi64ELb0ELb0EEvPKT_PKfPKi31ggml_cuda_mm_fusion_args_devicePfi15HIP_vector_typeIjLj3EEiiiSA_iiiSA_iiii.uses_vcc, 1
	.set _ZL13mul_mat_vec_fIffLi5ELi64ELb0ELb0EEvPKT_PKfPKi31ggml_cuda_mm_fusion_args_devicePfi15HIP_vector_typeIjLj3EEiiiSA_iiiSA_iiii.uses_flat_scratch, 0
	.set _ZL13mul_mat_vec_fIffLi5ELi64ELb0ELb0EEvPKT_PKfPKi31ggml_cuda_mm_fusion_args_devicePfi15HIP_vector_typeIjLj3EEiiiSA_iiiSA_iiii.has_dyn_sized_stack, 0
	.set _ZL13mul_mat_vec_fIffLi5ELi64ELb0ELb0EEvPKT_PKfPKi31ggml_cuda_mm_fusion_args_devicePfi15HIP_vector_typeIjLj3EEiiiSA_iiiSA_iiii.has_recursion, 0
	.set _ZL13mul_mat_vec_fIffLi5ELi64ELb0ELb0EEvPKT_PKfPKi31ggml_cuda_mm_fusion_args_devicePfi15HIP_vector_typeIjLj3EEiiiSA_iiiSA_iiii.has_indirect_call, 0
	.section	.AMDGPU.csdata,"",@progbits
; Kernel info:
; codeLenInByte = 2208
; TotalNumSgprs: 38
; NumVgprs: 24
; ScratchSize: 0
; MemoryBound: 0
; FloatMode: 240
; IeeeMode: 1
; LDSByteSize: 0 bytes/workgroup (compile time only)
; SGPRBlocks: 0
; VGPRBlocks: 2
; NumSGPRsForWavesPerEU: 38
; NumVGPRsForWavesPerEU: 24
; Occupancy: 16
; WaveLimiterHint : 0
; COMPUTE_PGM_RSRC2:SCRATCH_EN: 0
; COMPUTE_PGM_RSRC2:USER_SGPR: 6
; COMPUTE_PGM_RSRC2:TRAP_HANDLER: 0
; COMPUTE_PGM_RSRC2:TGID_X_EN: 1
; COMPUTE_PGM_RSRC2:TGID_Y_EN: 1
; COMPUTE_PGM_RSRC2:TGID_Z_EN: 1
; COMPUTE_PGM_RSRC2:TIDIG_COMP_CNT: 0
	.section	.text._ZL13mul_mat_vec_fIffLi5ELi96ELb0ELb0EEvPKT_PKfPKi31ggml_cuda_mm_fusion_args_devicePfi15HIP_vector_typeIjLj3EEiiiSA_iiiSA_iiii,"axG",@progbits,_ZL13mul_mat_vec_fIffLi5ELi96ELb0ELb0EEvPKT_PKfPKi31ggml_cuda_mm_fusion_args_devicePfi15HIP_vector_typeIjLj3EEiiiSA_iiiSA_iiii,comdat
	.globl	_ZL13mul_mat_vec_fIffLi5ELi96ELb0ELb0EEvPKT_PKfPKi31ggml_cuda_mm_fusion_args_devicePfi15HIP_vector_typeIjLj3EEiiiSA_iiiSA_iiii ; -- Begin function _ZL13mul_mat_vec_fIffLi5ELi96ELb0ELb0EEvPKT_PKfPKi31ggml_cuda_mm_fusion_args_devicePfi15HIP_vector_typeIjLj3EEiiiSA_iiiSA_iiii
	.p2align	8
	.type	_ZL13mul_mat_vec_fIffLi5ELi96ELb0ELb0EEvPKT_PKfPKi31ggml_cuda_mm_fusion_args_devicePfi15HIP_vector_typeIjLj3EEiiiSA_iiiSA_iiii,@function
_ZL13mul_mat_vec_fIffLi5ELi96ELb0ELb0EEvPKT_PKfPKi31ggml_cuda_mm_fusion_args_devicePfi15HIP_vector_typeIjLj3EEiiiSA_iiiSA_iiii: ; @_ZL13mul_mat_vec_fIffLi5ELi96ELb0ELb0EEvPKT_PKfPKi31ggml_cuda_mm_fusion_args_devicePfi15HIP_vector_typeIjLj3EEiiiSA_iiiSA_iiii
; %bb.0:
	s_clause 0x2
	s_load_dwordx2 s[0:1], s[4:5], 0x10
	s_load_dwordx8 s[12:19], s[4:5], 0x40
	s_load_dwordx4 s[20:23], s[4:5], 0x80
	s_waitcnt lgkmcnt(0)
	s_cmp_eq_u64 s[0:1], 0
	s_cselect_b32 s10, -1, 0
	s_cmp_lg_u64 s[0:1], 0
	s_cselect_b32 s11, -1, 0
	s_and_b32 vcc_lo, exec_lo, s10
	s_cbranch_vccnz .LBB58_2
; %bb.1:
	s_mul_i32 s2, s23, s8
	s_mov_b32 s3, 0
	s_add_i32 s2, s2, s7
	s_lshl_b64 s[24:25], s[2:3], 2
	s_add_u32 s0, s0, s24
	s_addc_u32 s1, s1, s25
	s_load_dword s9, s[0:1], 0x0
	s_cbranch_execz .LBB58_3
	s_branch .LBB58_4
.LBB58_2:
                                        ; implicit-def: $sgpr9
.LBB58_3:
	s_load_dwordx2 s[0:1], s[4:5], 0x5c
	s_waitcnt lgkmcnt(0)
	s_mul_hi_u32 s0, s0, s7
	s_add_i32 s0, s7, s0
	s_lshr_b32 s9, s0, s1
.LBB58_4:
	s_load_dwordx4 s[24:27], s[4:5], 0x68
	s_andn2_b32 vcc_lo, exec_lo, s11
	s_mov_b32 s19, s7
	s_cbranch_vccnz .LBB58_6
; %bb.5:
	s_mul_hi_u32 s0, s13, s7
	s_add_i32 s0, s7, s0
	s_lshr_b32 s0, s0, s14
	s_mul_i32 s0, s0, s15
	s_sub_i32 s19, s7, s0
.LBB58_6:
	s_load_dword s14, s[4:5], 0x78
	v_cmp_gt_u32_e32 vcc_lo, 32, v0
	v_lshl_add_u32 v5, v0, 2, 0
	s_and_saveexec_b32 s0, vcc_lo
; %bb.7:
	v_mov_b32_e32 v1, 0
	ds_write_b32 v5, v1
; %bb.8:
	s_or_b32 exec_lo, exec_lo, s0
	v_mov_b32_e32 v6, 0
	v_mov_b32_e32 v7, 0
	;; [unrolled: 1-line block ×5, first 2 shown]
	s_and_b32 s0, exec_lo, s10
	s_mov_b32 s11, 0
	s_cselect_b32 s10, s8, 0
	s_mov_b32 s13, exec_lo
	s_waitcnt lgkmcnt(0)
	s_barrier
	buffer_gl0_inv
	v_cmpx_gt_i32_e64 s12, v0
	s_cbranch_execz .LBB58_12
; %bb.9:
	s_load_dwordx4 s[0:3], s[4:5], 0x0
	s_mul_hi_u32 s15, s27, s10
	s_mul_hi_i32 s29, s21, s10
	s_mul_i32 s28, s21, s10
	s_mul_i32 s8, s9, s24
	;; [unrolled: 1-line block ×4, first 2 shown]
	s_add_i32 s15, s10, s15
	s_lshl_b64 s[28:29], s[28:29], 2
	s_ashr_i32 s9, s8, 31
	s_ashr_i32 s25, s24, 31
	;; [unrolled: 1-line block ×3, first 2 shown]
	s_lshr_b32 s14, s15, s14
	v_lshlrev_b32_e32 v1, 3, v0
	s_mul_hi_i32 s21, s14, s20
	s_mul_i32 s20, s14, s20
	s_mov_b32 s34, s17
	v_mov_b32_e32 v10, 0
	v_mov_b32_e32 v11, v0
	;; [unrolled: 1-line block ×3, first 2 shown]
	s_waitcnt lgkmcnt(0)
	s_add_u32 s15, s2, s28
	s_addc_u32 s16, s3, s29
	s_lshl_b64 s[30:31], s[30:31], 2
	v_mov_b32_e32 v8, 0
	s_add_u32 s14, s15, s30
	s_addc_u32 s15, s16, s31
	s_lshl_b64 s[8:9], s[8:9], 2
	s_ashr_i32 s35, s17, 31
	s_add_i32 s16, s17, s17
	s_lshl_b32 s19, s17, 2
	s_lshl_b64 s[20:21], s[20:21], 2
	s_lshl_b64 s[24:25], s[24:25], 2
	s_add_u32 s0, s0, s8
	s_addc_u32 s1, s1, s9
	s_add_u32 s0, s0, s24
	s_addc_u32 s1, s1, s25
	;; [unrolled: 2-line block ×3, first 2 shown]
	v_add_co_u32 v2, s0, s0, v1
	s_lshl_b64 s[8:9], s[34:35], 3
	v_add_co_ci_u32_e64 v3, null, s1, 0, s0
	s_add_u32 s0, s2, s30
	s_addc_u32 s1, s3, s31
	s_add_u32 s0, s0, s28
	s_addc_u32 s1, s1, s29
	v_add_co_u32 v4, s0, s0, v1
	v_add_co_ci_u32_e64 v6, null, s1, 0, s0
	v_add_co_u32 v1, s0, v2, 4
	v_add_co_ci_u32_e64 v2, null, 0, v3, s0
	;; [unrolled: 2-line block ×3, first 2 shown]
	v_mov_b32_e32 v7, 0
	v_mov_b32_e32 v6, 0
	s_mul_i32 s1, s17, 3
.LBB58_10:                              ; =>This Inner Loop Header: Depth=1
	v_add_nc_u32_e32 v14, s16, v11
	v_add_nc_u32_e32 v18, s1, v11
	;; [unrolled: 1-line block ×3, first 2 shown]
	v_add_co_u32 v16, s0, v3, s8
	v_ashrrev_i32_e32 v15, 31, v14
	v_ashrrev_i32_e32 v19, 31, v18
	;; [unrolled: 1-line block ×3, first 2 shown]
	v_add_co_ci_u32_e64 v17, null, s9, v4, s0
	v_lshlrev_b64 v[14:15], 3, v[14:15]
	v_lshlrev_b64 v[18:19], 3, v[18:19]
	;; [unrolled: 1-line block ×3, first 2 shown]
	global_load_dwordx2 v[12:13], v[1:2], off offset:-4
	v_add_nc_u32_e32 v11, 0x60, v11
	v_add_co_u32 v14, s0, s14, v14
	v_add_co_ci_u32_e64 v15, null, s15, v15, s0
	v_add_co_u32 v18, s0, s14, v18
	v_add_co_ci_u32_e64 v19, null, s15, v19, s0
	;; [unrolled: 2-line block ×3, first 2 shown]
	s_clause 0x1
	global_load_dwordx2 v[22:23], v[3:4], off offset:-4
	global_load_dwordx2 v[16:17], v[16:17], off offset:-4
	s_clause 0x2
	global_load_dwordx2 v[14:15], v[14:15], off
	global_load_dwordx2 v[18:19], v[18:19], off
	global_load_dwordx2 v[20:21], v[20:21], off
	v_add_co_u32 v1, s0, 0x300, v1
	v_add_co_ci_u32_e64 v2, null, 0, v2, s0
	v_add_co_u32 v3, s0, 0x300, v3
	v_add_co_ci_u32_e64 v4, null, 0, v4, s0
	v_cmp_le_i32_e64 s0, s12, v11
	s_or_b32 s11, s0, s11
	s_waitcnt vmcnt(4)
	v_fmac_f32_e32 v10, v12, v22
	s_waitcnt vmcnt(3)
	v_fmac_f32_e32 v9, v12, v16
	;; [unrolled: 2-line block ×5, first 2 shown]
	v_fmac_f32_e32 v10, v13, v23
	v_fmac_f32_e32 v9, v13, v17
	;; [unrolled: 1-line block ×5, first 2 shown]
	s_andn2_b32 exec_lo, exec_lo, s11
	s_cbranch_execnz .LBB58_10
; %bb.11:
	s_or_b32 exec_lo, exec_lo, s11
.LBB58_12:
	s_or_b32 exec_lo, exec_lo, s13
	v_mbcnt_lo_u32_b32 v2, -1, 0
	v_xor_b32_e32 v1, 16, v2
	v_xor_b32_e32 v3, 8, v2
	v_cmp_gt_i32_e64 s0, 32, v1
	v_cndmask_b32_e64 v1, v2, v1, s0
	v_cmp_gt_i32_e64 s0, 32, v3
	v_lshlrev_b32_e32 v1, 2, v1
	v_cndmask_b32_e64 v3, v2, v3, s0
	ds_bpermute_b32 v4, v1, v10
	v_lshlrev_b32_e32 v3, 2, v3
	s_waitcnt lgkmcnt(0)
	v_add_f32_e32 v10, v10, v4
	v_xor_b32_e32 v4, 4, v2
	ds_bpermute_b32 v11, v3, v10
	v_cmp_gt_i32_e64 s0, 32, v4
	v_cndmask_b32_e64 v4, v2, v4, s0
	v_lshlrev_b32_e32 v4, 2, v4
	s_waitcnt lgkmcnt(0)
	v_add_f32_e32 v11, v10, v11
	v_xor_b32_e32 v10, 2, v2
	ds_bpermute_b32 v12, v4, v11
	v_cmp_gt_i32_e64 s0, 32, v10
	v_cndmask_b32_e64 v10, v2, v10, s0
	;; [unrolled: 7-line block ×3, first 2 shown]
	v_lshlrev_b32_e32 v11, 2, v2
	s_waitcnt lgkmcnt(0)
	v_add_f32_e32 v2, v12, v13
	v_lshrrev_b32_e32 v12, 3, v0
	ds_bpermute_b32 v13, v11, v2
	v_and_b32_e32 v12, 0x7c, v12
	v_add_nc_u32_e32 v12, 0, v12
	s_waitcnt lgkmcnt(0)
	v_add_f32_e32 v2, v2, v13
	ds_write_b32 v12, v2
	s_waitcnt lgkmcnt(0)
	s_barrier
	buffer_gl0_inv
	s_and_saveexec_b32 s0, vcc_lo
	s_cbranch_execz .LBB58_14
; %bb.13:
	ds_read_b32 v2, v5
	s_waitcnt lgkmcnt(0)
	ds_bpermute_b32 v13, v1, v2
	s_waitcnt lgkmcnt(0)
	v_add_f32_e32 v2, v2, v13
	ds_bpermute_b32 v13, v3, v2
	s_waitcnt lgkmcnt(0)
	v_add_f32_e32 v2, v2, v13
	ds_bpermute_b32 v13, v4, v2
	s_waitcnt lgkmcnt(0)
	v_add_f32_e32 v2, v2, v13
	ds_bpermute_b32 v13, v10, v2
	s_waitcnt lgkmcnt(0)
	v_add_f32_e32 v2, v2, v13
	ds_bpermute_b32 v13, v11, v2
	s_waitcnt lgkmcnt(0)
	v_add_f32_e32 v2, v2, v13
.LBB58_14:
	s_or_b32 exec_lo, exec_lo, s0
	ds_bpermute_b32 v13, v1, v9
	s_waitcnt lgkmcnt(0)
	s_barrier
	buffer_gl0_inv
	v_add_f32_e32 v9, v9, v13
	ds_bpermute_b32 v13, v3, v9
	s_waitcnt lgkmcnt(0)
	v_add_f32_e32 v9, v9, v13
	ds_bpermute_b32 v13, v4, v9
	s_waitcnt lgkmcnt(0)
	v_add_f32_e32 v9, v9, v13
	ds_bpermute_b32 v13, v10, v9
	s_waitcnt lgkmcnt(0)
	v_add_f32_e32 v9, v9, v13
	ds_bpermute_b32 v13, v11, v9
	s_waitcnt lgkmcnt(0)
	v_add_f32_e32 v9, v9, v13
	ds_write_b32 v12, v9
	s_waitcnt lgkmcnt(0)
	s_barrier
	buffer_gl0_inv
	s_and_saveexec_b32 s0, vcc_lo
	s_cbranch_execz .LBB58_16
; %bb.15:
	ds_read_b32 v9, v5
	s_waitcnt lgkmcnt(0)
	ds_bpermute_b32 v13, v1, v9
	s_waitcnt lgkmcnt(0)
	v_add_f32_e32 v9, v9, v13
	ds_bpermute_b32 v13, v3, v9
	s_waitcnt lgkmcnt(0)
	v_add_f32_e32 v9, v9, v13
	ds_bpermute_b32 v13, v4, v9
	s_waitcnt lgkmcnt(0)
	v_add_f32_e32 v9, v9, v13
	ds_bpermute_b32 v13, v10, v9
	s_waitcnt lgkmcnt(0)
	v_add_f32_e32 v9, v9, v13
	ds_bpermute_b32 v13, v11, v9
	s_waitcnt lgkmcnt(0)
	v_add_f32_e32 v9, v9, v13
.LBB58_16:
	s_or_b32 exec_lo, exec_lo, s0
	ds_bpermute_b32 v13, v1, v8
	s_waitcnt lgkmcnt(0)
	s_barrier
	buffer_gl0_inv
	v_add_f32_e32 v8, v8, v13
	ds_bpermute_b32 v13, v3, v8
	s_waitcnt lgkmcnt(0)
	v_add_f32_e32 v8, v8, v13
	ds_bpermute_b32 v13, v4, v8
	s_waitcnt lgkmcnt(0)
	v_add_f32_e32 v8, v8, v13
	ds_bpermute_b32 v13, v10, v8
	s_waitcnt lgkmcnt(0)
	v_add_f32_e32 v8, v8, v13
	ds_bpermute_b32 v13, v11, v8
	;; [unrolled: 43-line block ×4, first 2 shown]
	s_waitcnt lgkmcnt(0)
	v_add_f32_e32 v6, v6, v13
	ds_write_b32 v12, v6
	s_waitcnt lgkmcnt(0)
	s_barrier
	buffer_gl0_inv
	s_and_saveexec_b32 s0, vcc_lo
	s_cbranch_execz .LBB58_22
; %bb.21:
	ds_read_b32 v5, v5
	s_waitcnt lgkmcnt(0)
	ds_bpermute_b32 v1, v1, v5
	s_waitcnt lgkmcnt(0)
	v_add_f32_e32 v1, v5, v1
	ds_bpermute_b32 v3, v3, v1
	s_waitcnt lgkmcnt(0)
	v_add_f32_e32 v1, v1, v3
	;; [unrolled: 3-line block ×5, first 2 shown]
.LBB58_22:
	s_or_b32 exec_lo, exec_lo, s0
	s_barrier
	buffer_gl0_inv
	s_mov_b32 s0, exec_lo
	v_cmpx_gt_u32_e32 5, v0
	s_cbranch_execz .LBB58_24
; %bb.23:
	s_load_dwordx2 s[0:1], s[4:5], 0x38
	v_cmp_eq_u32_e32 vcc_lo, 1, v0
	v_mad_u64_u32 v[3:4], null, s18, v0, s[6:7]
	s_mul_hi_i32 s3, s22, s10
	s_mul_i32 s2, s22, s10
	v_cndmask_b32_e32 v1, v2, v9, vcc_lo
	v_cmp_eq_u32_e32 vcc_lo, 2, v0
	s_mul_i32 s4, s26, s7
	s_lshl_b64 s[2:3], s[2:3], 2
	v_ashrrev_i32_e32 v4, 31, v3
	s_ashr_i32 s5, s4, 31
	v_cndmask_b32_e32 v1, v1, v8, vcc_lo
	v_cmp_eq_u32_e32 vcc_lo, 3, v0
	v_cndmask_b32_e32 v5, v1, v7, vcc_lo
	v_lshlrev_b64 v[1:2], 2, v[3:4]
	s_waitcnt lgkmcnt(0)
	s_add_u32 s2, s0, s2
	v_cmp_eq_u32_e32 vcc_lo, 4, v0
	s_addc_u32 s3, s1, s3
	s_lshl_b64 s[0:1], s[4:5], 2
	s_add_u32 s0, s2, s0
	v_cndmask_b32_e32 v3, v5, v6, vcc_lo
	s_addc_u32 s1, s3, s1
	v_add_co_u32 v0, vcc_lo, s0, v1
	v_add_co_ci_u32_e64 v1, null, s1, v2, vcc_lo
	global_store_dword v[0:1], v3, off
.LBB58_24:
	s_endpgm
	.section	.rodata,"a",@progbits
	.p2align	6, 0x0
	.amdhsa_kernel _ZL13mul_mat_vec_fIffLi5ELi96ELb0ELb0EEvPKT_PKfPKi31ggml_cuda_mm_fusion_args_devicePfi15HIP_vector_typeIjLj3EEiiiSA_iiiSA_iiii
		.amdhsa_group_segment_fixed_size 0
		.amdhsa_private_segment_fixed_size 0
		.amdhsa_kernarg_size 144
		.amdhsa_user_sgpr_count 6
		.amdhsa_user_sgpr_private_segment_buffer 1
		.amdhsa_user_sgpr_dispatch_ptr 0
		.amdhsa_user_sgpr_queue_ptr 0
		.amdhsa_user_sgpr_kernarg_segment_ptr 1
		.amdhsa_user_sgpr_dispatch_id 0
		.amdhsa_user_sgpr_flat_scratch_init 0
		.amdhsa_user_sgpr_private_segment_size 0
		.amdhsa_wavefront_size32 1
		.amdhsa_uses_dynamic_stack 0
		.amdhsa_system_sgpr_private_segment_wavefront_offset 0
		.amdhsa_system_sgpr_workgroup_id_x 1
		.amdhsa_system_sgpr_workgroup_id_y 1
		.amdhsa_system_sgpr_workgroup_id_z 1
		.amdhsa_system_sgpr_workgroup_info 0
		.amdhsa_system_vgpr_workitem_id 0
		.amdhsa_next_free_vgpr 24
		.amdhsa_next_free_sgpr 36
		.amdhsa_reserve_vcc 1
		.amdhsa_reserve_flat_scratch 0
		.amdhsa_float_round_mode_32 0
		.amdhsa_float_round_mode_16_64 0
		.amdhsa_float_denorm_mode_32 3
		.amdhsa_float_denorm_mode_16_64 3
		.amdhsa_dx10_clamp 1
		.amdhsa_ieee_mode 1
		.amdhsa_fp16_overflow 0
		.amdhsa_workgroup_processor_mode 1
		.amdhsa_memory_ordered 1
		.amdhsa_forward_progress 1
		.amdhsa_shared_vgpr_count 0
		.amdhsa_exception_fp_ieee_invalid_op 0
		.amdhsa_exception_fp_denorm_src 0
		.amdhsa_exception_fp_ieee_div_zero 0
		.amdhsa_exception_fp_ieee_overflow 0
		.amdhsa_exception_fp_ieee_underflow 0
		.amdhsa_exception_fp_ieee_inexact 0
		.amdhsa_exception_int_div_zero 0
	.end_amdhsa_kernel
	.section	.text._ZL13mul_mat_vec_fIffLi5ELi96ELb0ELb0EEvPKT_PKfPKi31ggml_cuda_mm_fusion_args_devicePfi15HIP_vector_typeIjLj3EEiiiSA_iiiSA_iiii,"axG",@progbits,_ZL13mul_mat_vec_fIffLi5ELi96ELb0ELb0EEvPKT_PKfPKi31ggml_cuda_mm_fusion_args_devicePfi15HIP_vector_typeIjLj3EEiiiSA_iiiSA_iiii,comdat
.Lfunc_end58:
	.size	_ZL13mul_mat_vec_fIffLi5ELi96ELb0ELb0EEvPKT_PKfPKi31ggml_cuda_mm_fusion_args_devicePfi15HIP_vector_typeIjLj3EEiiiSA_iiiSA_iiii, .Lfunc_end58-_ZL13mul_mat_vec_fIffLi5ELi96ELb0ELb0EEvPKT_PKfPKi31ggml_cuda_mm_fusion_args_devicePfi15HIP_vector_typeIjLj3EEiiiSA_iiiSA_iiii
                                        ; -- End function
	.set _ZL13mul_mat_vec_fIffLi5ELi96ELb0ELb0EEvPKT_PKfPKi31ggml_cuda_mm_fusion_args_devicePfi15HIP_vector_typeIjLj3EEiiiSA_iiiSA_iiii.num_vgpr, 24
	.set _ZL13mul_mat_vec_fIffLi5ELi96ELb0ELb0EEvPKT_PKfPKi31ggml_cuda_mm_fusion_args_devicePfi15HIP_vector_typeIjLj3EEiiiSA_iiiSA_iiii.num_agpr, 0
	.set _ZL13mul_mat_vec_fIffLi5ELi96ELb0ELb0EEvPKT_PKfPKi31ggml_cuda_mm_fusion_args_devicePfi15HIP_vector_typeIjLj3EEiiiSA_iiiSA_iiii.numbered_sgpr, 36
	.set _ZL13mul_mat_vec_fIffLi5ELi96ELb0ELb0EEvPKT_PKfPKi31ggml_cuda_mm_fusion_args_devicePfi15HIP_vector_typeIjLj3EEiiiSA_iiiSA_iiii.num_named_barrier, 0
	.set _ZL13mul_mat_vec_fIffLi5ELi96ELb0ELb0EEvPKT_PKfPKi31ggml_cuda_mm_fusion_args_devicePfi15HIP_vector_typeIjLj3EEiiiSA_iiiSA_iiii.private_seg_size, 0
	.set _ZL13mul_mat_vec_fIffLi5ELi96ELb0ELb0EEvPKT_PKfPKi31ggml_cuda_mm_fusion_args_devicePfi15HIP_vector_typeIjLj3EEiiiSA_iiiSA_iiii.uses_vcc, 1
	.set _ZL13mul_mat_vec_fIffLi5ELi96ELb0ELb0EEvPKT_PKfPKi31ggml_cuda_mm_fusion_args_devicePfi15HIP_vector_typeIjLj3EEiiiSA_iiiSA_iiii.uses_flat_scratch, 0
	.set _ZL13mul_mat_vec_fIffLi5ELi96ELb0ELb0EEvPKT_PKfPKi31ggml_cuda_mm_fusion_args_devicePfi15HIP_vector_typeIjLj3EEiiiSA_iiiSA_iiii.has_dyn_sized_stack, 0
	.set _ZL13mul_mat_vec_fIffLi5ELi96ELb0ELb0EEvPKT_PKfPKi31ggml_cuda_mm_fusion_args_devicePfi15HIP_vector_typeIjLj3EEiiiSA_iiiSA_iiii.has_recursion, 0
	.set _ZL13mul_mat_vec_fIffLi5ELi96ELb0ELb0EEvPKT_PKfPKi31ggml_cuda_mm_fusion_args_devicePfi15HIP_vector_typeIjLj3EEiiiSA_iiiSA_iiii.has_indirect_call, 0
	.section	.AMDGPU.csdata,"",@progbits
; Kernel info:
; codeLenInByte = 2212
; TotalNumSgprs: 38
; NumVgprs: 24
; ScratchSize: 0
; MemoryBound: 0
; FloatMode: 240
; IeeeMode: 1
; LDSByteSize: 0 bytes/workgroup (compile time only)
; SGPRBlocks: 0
; VGPRBlocks: 2
; NumSGPRsForWavesPerEU: 38
; NumVGPRsForWavesPerEU: 24
; Occupancy: 16
; WaveLimiterHint : 0
; COMPUTE_PGM_RSRC2:SCRATCH_EN: 0
; COMPUTE_PGM_RSRC2:USER_SGPR: 6
; COMPUTE_PGM_RSRC2:TRAP_HANDLER: 0
; COMPUTE_PGM_RSRC2:TGID_X_EN: 1
; COMPUTE_PGM_RSRC2:TGID_Y_EN: 1
; COMPUTE_PGM_RSRC2:TGID_Z_EN: 1
; COMPUTE_PGM_RSRC2:TIDIG_COMP_CNT: 0
	.section	.text._ZL13mul_mat_vec_fIffLi5ELi128ELb0ELb0EEvPKT_PKfPKi31ggml_cuda_mm_fusion_args_devicePfi15HIP_vector_typeIjLj3EEiiiSA_iiiSA_iiii,"axG",@progbits,_ZL13mul_mat_vec_fIffLi5ELi128ELb0ELb0EEvPKT_PKfPKi31ggml_cuda_mm_fusion_args_devicePfi15HIP_vector_typeIjLj3EEiiiSA_iiiSA_iiii,comdat
	.globl	_ZL13mul_mat_vec_fIffLi5ELi128ELb0ELb0EEvPKT_PKfPKi31ggml_cuda_mm_fusion_args_devicePfi15HIP_vector_typeIjLj3EEiiiSA_iiiSA_iiii ; -- Begin function _ZL13mul_mat_vec_fIffLi5ELi128ELb0ELb0EEvPKT_PKfPKi31ggml_cuda_mm_fusion_args_devicePfi15HIP_vector_typeIjLj3EEiiiSA_iiiSA_iiii
	.p2align	8
	.type	_ZL13mul_mat_vec_fIffLi5ELi128ELb0ELb0EEvPKT_PKfPKi31ggml_cuda_mm_fusion_args_devicePfi15HIP_vector_typeIjLj3EEiiiSA_iiiSA_iiii,@function
_ZL13mul_mat_vec_fIffLi5ELi128ELb0ELb0EEvPKT_PKfPKi31ggml_cuda_mm_fusion_args_devicePfi15HIP_vector_typeIjLj3EEiiiSA_iiiSA_iiii: ; @_ZL13mul_mat_vec_fIffLi5ELi128ELb0ELb0EEvPKT_PKfPKi31ggml_cuda_mm_fusion_args_devicePfi15HIP_vector_typeIjLj3EEiiiSA_iiiSA_iiii
; %bb.0:
	s_clause 0x2
	s_load_dwordx2 s[0:1], s[4:5], 0x10
	s_load_dwordx8 s[12:19], s[4:5], 0x40
	s_load_dwordx4 s[20:23], s[4:5], 0x80
	s_waitcnt lgkmcnt(0)
	s_cmp_eq_u64 s[0:1], 0
	s_cselect_b32 s10, -1, 0
	s_cmp_lg_u64 s[0:1], 0
	s_cselect_b32 s11, -1, 0
	s_and_b32 vcc_lo, exec_lo, s10
	s_cbranch_vccnz .LBB59_2
; %bb.1:
	s_mul_i32 s2, s23, s8
	s_mov_b32 s3, 0
	s_add_i32 s2, s2, s7
	s_lshl_b64 s[24:25], s[2:3], 2
	s_add_u32 s0, s0, s24
	s_addc_u32 s1, s1, s25
	s_load_dword s9, s[0:1], 0x0
	s_cbranch_execz .LBB59_3
	s_branch .LBB59_4
.LBB59_2:
                                        ; implicit-def: $sgpr9
.LBB59_3:
	s_load_dwordx2 s[0:1], s[4:5], 0x5c
	s_waitcnt lgkmcnt(0)
	s_mul_hi_u32 s0, s0, s7
	s_add_i32 s0, s7, s0
	s_lshr_b32 s9, s0, s1
.LBB59_4:
	s_load_dwordx4 s[24:27], s[4:5], 0x68
	s_andn2_b32 vcc_lo, exec_lo, s11
	s_mov_b32 s19, s7
	s_cbranch_vccnz .LBB59_6
; %bb.5:
	s_mul_hi_u32 s0, s13, s7
	s_add_i32 s0, s7, s0
	s_lshr_b32 s0, s0, s14
	s_mul_i32 s0, s0, s15
	s_sub_i32 s19, s7, s0
.LBB59_6:
	s_load_dword s14, s[4:5], 0x78
	v_cmp_gt_u32_e32 vcc_lo, 32, v0
	v_lshl_add_u32 v5, v0, 2, 0
	s_and_saveexec_b32 s0, vcc_lo
; %bb.7:
	v_mov_b32_e32 v1, 0
	ds_write_b32 v5, v1
; %bb.8:
	s_or_b32 exec_lo, exec_lo, s0
	v_mov_b32_e32 v6, 0
	v_mov_b32_e32 v7, 0
	;; [unrolled: 1-line block ×5, first 2 shown]
	s_and_b32 s0, exec_lo, s10
	s_mov_b32 s11, 0
	s_cselect_b32 s10, s8, 0
	s_mov_b32 s13, exec_lo
	s_waitcnt lgkmcnt(0)
	s_barrier
	buffer_gl0_inv
	v_cmpx_gt_i32_e64 s12, v0
	s_cbranch_execz .LBB59_12
; %bb.9:
	s_load_dwordx4 s[0:3], s[4:5], 0x0
	s_mul_hi_u32 s15, s27, s10
	s_mul_hi_i32 s29, s21, s10
	s_mul_i32 s28, s21, s10
	s_mul_i32 s8, s9, s24
	;; [unrolled: 1-line block ×4, first 2 shown]
	s_add_i32 s15, s10, s15
	s_lshl_b64 s[28:29], s[28:29], 2
	s_ashr_i32 s9, s8, 31
	s_ashr_i32 s25, s24, 31
	;; [unrolled: 1-line block ×3, first 2 shown]
	s_lshr_b32 s14, s15, s14
	v_lshlrev_b32_e32 v1, 3, v0
	s_mul_hi_i32 s21, s14, s20
	s_mul_i32 s20, s14, s20
	s_mov_b32 s34, s17
	v_mov_b32_e32 v10, 0
	v_mov_b32_e32 v11, v0
	;; [unrolled: 1-line block ×3, first 2 shown]
	s_waitcnt lgkmcnt(0)
	s_add_u32 s15, s2, s28
	s_addc_u32 s16, s3, s29
	s_lshl_b64 s[30:31], s[30:31], 2
	v_mov_b32_e32 v8, 0
	s_add_u32 s14, s15, s30
	s_addc_u32 s15, s16, s31
	s_lshl_b64 s[8:9], s[8:9], 2
	s_ashr_i32 s35, s17, 31
	s_add_i32 s16, s17, s17
	s_lshl_b32 s19, s17, 2
	s_lshl_b64 s[20:21], s[20:21], 2
	s_lshl_b64 s[24:25], s[24:25], 2
	s_add_u32 s0, s0, s8
	s_addc_u32 s1, s1, s9
	s_add_u32 s0, s0, s24
	s_addc_u32 s1, s1, s25
	;; [unrolled: 2-line block ×3, first 2 shown]
	v_add_co_u32 v2, s0, s0, v1
	s_lshl_b64 s[8:9], s[34:35], 3
	v_add_co_ci_u32_e64 v3, null, s1, 0, s0
	s_add_u32 s0, s2, s30
	s_addc_u32 s1, s3, s31
	s_add_u32 s0, s0, s28
	s_addc_u32 s1, s1, s29
	v_add_co_u32 v4, s0, s0, v1
	v_add_co_ci_u32_e64 v6, null, s1, 0, s0
	v_add_co_u32 v1, s0, v2, 4
	v_add_co_ci_u32_e64 v2, null, 0, v3, s0
	;; [unrolled: 2-line block ×3, first 2 shown]
	v_mov_b32_e32 v7, 0
	v_mov_b32_e32 v6, 0
	s_mul_i32 s1, s17, 3
.LBB59_10:                              ; =>This Inner Loop Header: Depth=1
	v_add_nc_u32_e32 v14, s16, v11
	v_add_nc_u32_e32 v18, s1, v11
	;; [unrolled: 1-line block ×3, first 2 shown]
	v_add_co_u32 v16, s0, v3, s8
	v_ashrrev_i32_e32 v15, 31, v14
	v_ashrrev_i32_e32 v19, 31, v18
	;; [unrolled: 1-line block ×3, first 2 shown]
	v_add_co_ci_u32_e64 v17, null, s9, v4, s0
	v_lshlrev_b64 v[14:15], 3, v[14:15]
	v_lshlrev_b64 v[18:19], 3, v[18:19]
	;; [unrolled: 1-line block ×3, first 2 shown]
	global_load_dwordx2 v[12:13], v[1:2], off offset:-4
	v_add_nc_u32_e32 v11, 0x80, v11
	v_add_co_u32 v14, s0, s14, v14
	v_add_co_ci_u32_e64 v15, null, s15, v15, s0
	v_add_co_u32 v18, s0, s14, v18
	v_add_co_ci_u32_e64 v19, null, s15, v19, s0
	;; [unrolled: 2-line block ×3, first 2 shown]
	s_clause 0x1
	global_load_dwordx2 v[22:23], v[3:4], off offset:-4
	global_load_dwordx2 v[16:17], v[16:17], off offset:-4
	s_clause 0x2
	global_load_dwordx2 v[14:15], v[14:15], off
	global_load_dwordx2 v[18:19], v[18:19], off
	;; [unrolled: 1-line block ×3, first 2 shown]
	v_add_co_u32 v1, s0, 0x400, v1
	v_add_co_ci_u32_e64 v2, null, 0, v2, s0
	v_add_co_u32 v3, s0, 0x400, v3
	v_add_co_ci_u32_e64 v4, null, 0, v4, s0
	v_cmp_le_i32_e64 s0, s12, v11
	s_or_b32 s11, s0, s11
	s_waitcnt vmcnt(4)
	v_fmac_f32_e32 v10, v12, v22
	s_waitcnt vmcnt(3)
	v_fmac_f32_e32 v9, v12, v16
	s_waitcnt vmcnt(2)
	v_fmac_f32_e32 v8, v12, v14
	s_waitcnt vmcnt(1)
	v_fmac_f32_e32 v7, v12, v18
	s_waitcnt vmcnt(0)
	v_fmac_f32_e32 v6, v12, v20
	v_fmac_f32_e32 v10, v13, v23
	v_fmac_f32_e32 v9, v13, v17
	;; [unrolled: 1-line block ×5, first 2 shown]
	s_andn2_b32 exec_lo, exec_lo, s11
	s_cbranch_execnz .LBB59_10
; %bb.11:
	s_or_b32 exec_lo, exec_lo, s11
.LBB59_12:
	s_or_b32 exec_lo, exec_lo, s13
	v_mbcnt_lo_u32_b32 v2, -1, 0
	v_xor_b32_e32 v1, 16, v2
	v_xor_b32_e32 v3, 8, v2
	v_cmp_gt_i32_e64 s0, 32, v1
	v_cndmask_b32_e64 v1, v2, v1, s0
	v_cmp_gt_i32_e64 s0, 32, v3
	v_lshlrev_b32_e32 v1, 2, v1
	v_cndmask_b32_e64 v3, v2, v3, s0
	ds_bpermute_b32 v4, v1, v10
	v_lshlrev_b32_e32 v3, 2, v3
	s_waitcnt lgkmcnt(0)
	v_add_f32_e32 v10, v10, v4
	v_xor_b32_e32 v4, 4, v2
	ds_bpermute_b32 v11, v3, v10
	v_cmp_gt_i32_e64 s0, 32, v4
	v_cndmask_b32_e64 v4, v2, v4, s0
	v_lshlrev_b32_e32 v4, 2, v4
	s_waitcnt lgkmcnt(0)
	v_add_f32_e32 v11, v10, v11
	v_xor_b32_e32 v10, 2, v2
	ds_bpermute_b32 v12, v4, v11
	v_cmp_gt_i32_e64 s0, 32, v10
	v_cndmask_b32_e64 v10, v2, v10, s0
	;; [unrolled: 7-line block ×3, first 2 shown]
	v_lshlrev_b32_e32 v11, 2, v2
	s_waitcnt lgkmcnt(0)
	v_add_f32_e32 v2, v12, v13
	v_lshrrev_b32_e32 v12, 3, v0
	ds_bpermute_b32 v13, v11, v2
	v_and_b32_e32 v12, 0x7c, v12
	v_add_nc_u32_e32 v12, 0, v12
	s_waitcnt lgkmcnt(0)
	v_add_f32_e32 v2, v2, v13
	ds_write_b32 v12, v2
	s_waitcnt lgkmcnt(0)
	s_barrier
	buffer_gl0_inv
	s_and_saveexec_b32 s0, vcc_lo
	s_cbranch_execz .LBB59_14
; %bb.13:
	ds_read_b32 v2, v5
	s_waitcnt lgkmcnt(0)
	ds_bpermute_b32 v13, v1, v2
	s_waitcnt lgkmcnt(0)
	v_add_f32_e32 v2, v2, v13
	ds_bpermute_b32 v13, v3, v2
	s_waitcnt lgkmcnt(0)
	v_add_f32_e32 v2, v2, v13
	ds_bpermute_b32 v13, v4, v2
	s_waitcnt lgkmcnt(0)
	v_add_f32_e32 v2, v2, v13
	ds_bpermute_b32 v13, v10, v2
	s_waitcnt lgkmcnt(0)
	v_add_f32_e32 v2, v2, v13
	ds_bpermute_b32 v13, v11, v2
	s_waitcnt lgkmcnt(0)
	v_add_f32_e32 v2, v2, v13
.LBB59_14:
	s_or_b32 exec_lo, exec_lo, s0
	ds_bpermute_b32 v13, v1, v9
	s_waitcnt lgkmcnt(0)
	s_barrier
	buffer_gl0_inv
	v_add_f32_e32 v9, v9, v13
	ds_bpermute_b32 v13, v3, v9
	s_waitcnt lgkmcnt(0)
	v_add_f32_e32 v9, v9, v13
	ds_bpermute_b32 v13, v4, v9
	s_waitcnt lgkmcnt(0)
	v_add_f32_e32 v9, v9, v13
	ds_bpermute_b32 v13, v10, v9
	s_waitcnt lgkmcnt(0)
	v_add_f32_e32 v9, v9, v13
	ds_bpermute_b32 v13, v11, v9
	s_waitcnt lgkmcnt(0)
	v_add_f32_e32 v9, v9, v13
	ds_write_b32 v12, v9
	s_waitcnt lgkmcnt(0)
	s_barrier
	buffer_gl0_inv
	s_and_saveexec_b32 s0, vcc_lo
	s_cbranch_execz .LBB59_16
; %bb.15:
	ds_read_b32 v9, v5
	s_waitcnt lgkmcnt(0)
	ds_bpermute_b32 v13, v1, v9
	s_waitcnt lgkmcnt(0)
	v_add_f32_e32 v9, v9, v13
	ds_bpermute_b32 v13, v3, v9
	s_waitcnt lgkmcnt(0)
	v_add_f32_e32 v9, v9, v13
	ds_bpermute_b32 v13, v4, v9
	s_waitcnt lgkmcnt(0)
	v_add_f32_e32 v9, v9, v13
	ds_bpermute_b32 v13, v10, v9
	s_waitcnt lgkmcnt(0)
	v_add_f32_e32 v9, v9, v13
	ds_bpermute_b32 v13, v11, v9
	s_waitcnt lgkmcnt(0)
	v_add_f32_e32 v9, v9, v13
.LBB59_16:
	s_or_b32 exec_lo, exec_lo, s0
	ds_bpermute_b32 v13, v1, v8
	s_waitcnt lgkmcnt(0)
	s_barrier
	buffer_gl0_inv
	v_add_f32_e32 v8, v8, v13
	ds_bpermute_b32 v13, v3, v8
	s_waitcnt lgkmcnt(0)
	v_add_f32_e32 v8, v8, v13
	ds_bpermute_b32 v13, v4, v8
	s_waitcnt lgkmcnt(0)
	v_add_f32_e32 v8, v8, v13
	ds_bpermute_b32 v13, v10, v8
	s_waitcnt lgkmcnt(0)
	v_add_f32_e32 v8, v8, v13
	ds_bpermute_b32 v13, v11, v8
	;; [unrolled: 43-line block ×4, first 2 shown]
	s_waitcnt lgkmcnt(0)
	v_add_f32_e32 v6, v6, v13
	ds_write_b32 v12, v6
	s_waitcnt lgkmcnt(0)
	s_barrier
	buffer_gl0_inv
	s_and_saveexec_b32 s0, vcc_lo
	s_cbranch_execz .LBB59_22
; %bb.21:
	ds_read_b32 v5, v5
	s_waitcnt lgkmcnt(0)
	ds_bpermute_b32 v1, v1, v5
	s_waitcnt lgkmcnt(0)
	v_add_f32_e32 v1, v5, v1
	ds_bpermute_b32 v3, v3, v1
	s_waitcnt lgkmcnt(0)
	v_add_f32_e32 v1, v1, v3
	;; [unrolled: 3-line block ×5, first 2 shown]
.LBB59_22:
	s_or_b32 exec_lo, exec_lo, s0
	s_barrier
	buffer_gl0_inv
	s_mov_b32 s0, exec_lo
	v_cmpx_gt_u32_e32 5, v0
	s_cbranch_execz .LBB59_24
; %bb.23:
	s_load_dwordx2 s[0:1], s[4:5], 0x38
	v_cmp_eq_u32_e32 vcc_lo, 1, v0
	v_mad_u64_u32 v[3:4], null, s18, v0, s[6:7]
	s_mul_hi_i32 s3, s22, s10
	s_mul_i32 s2, s22, s10
	v_cndmask_b32_e32 v1, v2, v9, vcc_lo
	v_cmp_eq_u32_e32 vcc_lo, 2, v0
	s_mul_i32 s4, s26, s7
	s_lshl_b64 s[2:3], s[2:3], 2
	v_ashrrev_i32_e32 v4, 31, v3
	s_ashr_i32 s5, s4, 31
	v_cndmask_b32_e32 v1, v1, v8, vcc_lo
	v_cmp_eq_u32_e32 vcc_lo, 3, v0
	v_cndmask_b32_e32 v5, v1, v7, vcc_lo
	v_lshlrev_b64 v[1:2], 2, v[3:4]
	s_waitcnt lgkmcnt(0)
	s_add_u32 s2, s0, s2
	v_cmp_eq_u32_e32 vcc_lo, 4, v0
	s_addc_u32 s3, s1, s3
	s_lshl_b64 s[0:1], s[4:5], 2
	s_add_u32 s0, s2, s0
	v_cndmask_b32_e32 v3, v5, v6, vcc_lo
	s_addc_u32 s1, s3, s1
	v_add_co_u32 v0, vcc_lo, s0, v1
	v_add_co_ci_u32_e64 v1, null, s1, v2, vcc_lo
	global_store_dword v[0:1], v3, off
.LBB59_24:
	s_endpgm
	.section	.rodata,"a",@progbits
	.p2align	6, 0x0
	.amdhsa_kernel _ZL13mul_mat_vec_fIffLi5ELi128ELb0ELb0EEvPKT_PKfPKi31ggml_cuda_mm_fusion_args_devicePfi15HIP_vector_typeIjLj3EEiiiSA_iiiSA_iiii
		.amdhsa_group_segment_fixed_size 0
		.amdhsa_private_segment_fixed_size 0
		.amdhsa_kernarg_size 144
		.amdhsa_user_sgpr_count 6
		.amdhsa_user_sgpr_private_segment_buffer 1
		.amdhsa_user_sgpr_dispatch_ptr 0
		.amdhsa_user_sgpr_queue_ptr 0
		.amdhsa_user_sgpr_kernarg_segment_ptr 1
		.amdhsa_user_sgpr_dispatch_id 0
		.amdhsa_user_sgpr_flat_scratch_init 0
		.amdhsa_user_sgpr_private_segment_size 0
		.amdhsa_wavefront_size32 1
		.amdhsa_uses_dynamic_stack 0
		.amdhsa_system_sgpr_private_segment_wavefront_offset 0
		.amdhsa_system_sgpr_workgroup_id_x 1
		.amdhsa_system_sgpr_workgroup_id_y 1
		.amdhsa_system_sgpr_workgroup_id_z 1
		.amdhsa_system_sgpr_workgroup_info 0
		.amdhsa_system_vgpr_workitem_id 0
		.amdhsa_next_free_vgpr 24
		.amdhsa_next_free_sgpr 36
		.amdhsa_reserve_vcc 1
		.amdhsa_reserve_flat_scratch 0
		.amdhsa_float_round_mode_32 0
		.amdhsa_float_round_mode_16_64 0
		.amdhsa_float_denorm_mode_32 3
		.amdhsa_float_denorm_mode_16_64 3
		.amdhsa_dx10_clamp 1
		.amdhsa_ieee_mode 1
		.amdhsa_fp16_overflow 0
		.amdhsa_workgroup_processor_mode 1
		.amdhsa_memory_ordered 1
		.amdhsa_forward_progress 1
		.amdhsa_shared_vgpr_count 0
		.amdhsa_exception_fp_ieee_invalid_op 0
		.amdhsa_exception_fp_denorm_src 0
		.amdhsa_exception_fp_ieee_div_zero 0
		.amdhsa_exception_fp_ieee_overflow 0
		.amdhsa_exception_fp_ieee_underflow 0
		.amdhsa_exception_fp_ieee_inexact 0
		.amdhsa_exception_int_div_zero 0
	.end_amdhsa_kernel
	.section	.text._ZL13mul_mat_vec_fIffLi5ELi128ELb0ELb0EEvPKT_PKfPKi31ggml_cuda_mm_fusion_args_devicePfi15HIP_vector_typeIjLj3EEiiiSA_iiiSA_iiii,"axG",@progbits,_ZL13mul_mat_vec_fIffLi5ELi128ELb0ELb0EEvPKT_PKfPKi31ggml_cuda_mm_fusion_args_devicePfi15HIP_vector_typeIjLj3EEiiiSA_iiiSA_iiii,comdat
.Lfunc_end59:
	.size	_ZL13mul_mat_vec_fIffLi5ELi128ELb0ELb0EEvPKT_PKfPKi31ggml_cuda_mm_fusion_args_devicePfi15HIP_vector_typeIjLj3EEiiiSA_iiiSA_iiii, .Lfunc_end59-_ZL13mul_mat_vec_fIffLi5ELi128ELb0ELb0EEvPKT_PKfPKi31ggml_cuda_mm_fusion_args_devicePfi15HIP_vector_typeIjLj3EEiiiSA_iiiSA_iiii
                                        ; -- End function
	.set _ZL13mul_mat_vec_fIffLi5ELi128ELb0ELb0EEvPKT_PKfPKi31ggml_cuda_mm_fusion_args_devicePfi15HIP_vector_typeIjLj3EEiiiSA_iiiSA_iiii.num_vgpr, 24
	.set _ZL13mul_mat_vec_fIffLi5ELi128ELb0ELb0EEvPKT_PKfPKi31ggml_cuda_mm_fusion_args_devicePfi15HIP_vector_typeIjLj3EEiiiSA_iiiSA_iiii.num_agpr, 0
	.set _ZL13mul_mat_vec_fIffLi5ELi128ELb0ELb0EEvPKT_PKfPKi31ggml_cuda_mm_fusion_args_devicePfi15HIP_vector_typeIjLj3EEiiiSA_iiiSA_iiii.numbered_sgpr, 36
	.set _ZL13mul_mat_vec_fIffLi5ELi128ELb0ELb0EEvPKT_PKfPKi31ggml_cuda_mm_fusion_args_devicePfi15HIP_vector_typeIjLj3EEiiiSA_iiiSA_iiii.num_named_barrier, 0
	.set _ZL13mul_mat_vec_fIffLi5ELi128ELb0ELb0EEvPKT_PKfPKi31ggml_cuda_mm_fusion_args_devicePfi15HIP_vector_typeIjLj3EEiiiSA_iiiSA_iiii.private_seg_size, 0
	.set _ZL13mul_mat_vec_fIffLi5ELi128ELb0ELb0EEvPKT_PKfPKi31ggml_cuda_mm_fusion_args_devicePfi15HIP_vector_typeIjLj3EEiiiSA_iiiSA_iiii.uses_vcc, 1
	.set _ZL13mul_mat_vec_fIffLi5ELi128ELb0ELb0EEvPKT_PKfPKi31ggml_cuda_mm_fusion_args_devicePfi15HIP_vector_typeIjLj3EEiiiSA_iiiSA_iiii.uses_flat_scratch, 0
	.set _ZL13mul_mat_vec_fIffLi5ELi128ELb0ELb0EEvPKT_PKfPKi31ggml_cuda_mm_fusion_args_devicePfi15HIP_vector_typeIjLj3EEiiiSA_iiiSA_iiii.has_dyn_sized_stack, 0
	.set _ZL13mul_mat_vec_fIffLi5ELi128ELb0ELb0EEvPKT_PKfPKi31ggml_cuda_mm_fusion_args_devicePfi15HIP_vector_typeIjLj3EEiiiSA_iiiSA_iiii.has_recursion, 0
	.set _ZL13mul_mat_vec_fIffLi5ELi128ELb0ELb0EEvPKT_PKfPKi31ggml_cuda_mm_fusion_args_devicePfi15HIP_vector_typeIjLj3EEiiiSA_iiiSA_iiii.has_indirect_call, 0
	.section	.AMDGPU.csdata,"",@progbits
; Kernel info:
; codeLenInByte = 2212
; TotalNumSgprs: 38
; NumVgprs: 24
; ScratchSize: 0
; MemoryBound: 0
; FloatMode: 240
; IeeeMode: 1
; LDSByteSize: 0 bytes/workgroup (compile time only)
; SGPRBlocks: 0
; VGPRBlocks: 2
; NumSGPRsForWavesPerEU: 38
; NumVGPRsForWavesPerEU: 24
; Occupancy: 16
; WaveLimiterHint : 0
; COMPUTE_PGM_RSRC2:SCRATCH_EN: 0
; COMPUTE_PGM_RSRC2:USER_SGPR: 6
; COMPUTE_PGM_RSRC2:TRAP_HANDLER: 0
; COMPUTE_PGM_RSRC2:TGID_X_EN: 1
; COMPUTE_PGM_RSRC2:TGID_Y_EN: 1
; COMPUTE_PGM_RSRC2:TGID_Z_EN: 1
; COMPUTE_PGM_RSRC2:TIDIG_COMP_CNT: 0
	.section	.text._ZL13mul_mat_vec_fIffLi5ELi160ELb0ELb0EEvPKT_PKfPKi31ggml_cuda_mm_fusion_args_devicePfi15HIP_vector_typeIjLj3EEiiiSA_iiiSA_iiii,"axG",@progbits,_ZL13mul_mat_vec_fIffLi5ELi160ELb0ELb0EEvPKT_PKfPKi31ggml_cuda_mm_fusion_args_devicePfi15HIP_vector_typeIjLj3EEiiiSA_iiiSA_iiii,comdat
	.globl	_ZL13mul_mat_vec_fIffLi5ELi160ELb0ELb0EEvPKT_PKfPKi31ggml_cuda_mm_fusion_args_devicePfi15HIP_vector_typeIjLj3EEiiiSA_iiiSA_iiii ; -- Begin function _ZL13mul_mat_vec_fIffLi5ELi160ELb0ELb0EEvPKT_PKfPKi31ggml_cuda_mm_fusion_args_devicePfi15HIP_vector_typeIjLj3EEiiiSA_iiiSA_iiii
	.p2align	8
	.type	_ZL13mul_mat_vec_fIffLi5ELi160ELb0ELb0EEvPKT_PKfPKi31ggml_cuda_mm_fusion_args_devicePfi15HIP_vector_typeIjLj3EEiiiSA_iiiSA_iiii,@function
_ZL13mul_mat_vec_fIffLi5ELi160ELb0ELb0EEvPKT_PKfPKi31ggml_cuda_mm_fusion_args_devicePfi15HIP_vector_typeIjLj3EEiiiSA_iiiSA_iiii: ; @_ZL13mul_mat_vec_fIffLi5ELi160ELb0ELb0EEvPKT_PKfPKi31ggml_cuda_mm_fusion_args_devicePfi15HIP_vector_typeIjLj3EEiiiSA_iiiSA_iiii
; %bb.0:
	s_clause 0x2
	s_load_dwordx2 s[0:1], s[4:5], 0x10
	s_load_dwordx8 s[12:19], s[4:5], 0x40
	s_load_dwordx4 s[20:23], s[4:5], 0x80
	s_waitcnt lgkmcnt(0)
	s_cmp_eq_u64 s[0:1], 0
	s_cselect_b32 s10, -1, 0
	s_cmp_lg_u64 s[0:1], 0
	s_cselect_b32 s11, -1, 0
	s_and_b32 vcc_lo, exec_lo, s10
	s_cbranch_vccnz .LBB60_2
; %bb.1:
	s_mul_i32 s2, s23, s8
	s_mov_b32 s3, 0
	s_add_i32 s2, s2, s7
	s_lshl_b64 s[24:25], s[2:3], 2
	s_add_u32 s0, s0, s24
	s_addc_u32 s1, s1, s25
	s_load_dword s9, s[0:1], 0x0
	s_cbranch_execz .LBB60_3
	s_branch .LBB60_4
.LBB60_2:
                                        ; implicit-def: $sgpr9
.LBB60_3:
	s_load_dwordx2 s[0:1], s[4:5], 0x5c
	s_waitcnt lgkmcnt(0)
	s_mul_hi_u32 s0, s0, s7
	s_add_i32 s0, s7, s0
	s_lshr_b32 s9, s0, s1
.LBB60_4:
	s_load_dwordx4 s[24:27], s[4:5], 0x68
	s_andn2_b32 vcc_lo, exec_lo, s11
	s_mov_b32 s19, s7
	s_cbranch_vccnz .LBB60_6
; %bb.5:
	s_mul_hi_u32 s0, s13, s7
	s_add_i32 s0, s7, s0
	s_lshr_b32 s0, s0, s14
	s_mul_i32 s0, s0, s15
	s_sub_i32 s19, s7, s0
.LBB60_6:
	s_load_dword s14, s[4:5], 0x78
	v_cmp_gt_u32_e32 vcc_lo, 32, v0
	v_lshl_add_u32 v5, v0, 2, 0
	s_and_saveexec_b32 s0, vcc_lo
; %bb.7:
	v_mov_b32_e32 v1, 0
	ds_write_b32 v5, v1
; %bb.8:
	s_or_b32 exec_lo, exec_lo, s0
	v_mov_b32_e32 v6, 0
	v_mov_b32_e32 v7, 0
	;; [unrolled: 1-line block ×5, first 2 shown]
	s_and_b32 s0, exec_lo, s10
	s_mov_b32 s11, 0
	s_cselect_b32 s10, s8, 0
	s_mov_b32 s13, exec_lo
	s_waitcnt lgkmcnt(0)
	s_barrier
	buffer_gl0_inv
	v_cmpx_gt_i32_e64 s12, v0
	s_cbranch_execz .LBB60_12
; %bb.9:
	s_load_dwordx4 s[0:3], s[4:5], 0x0
	s_mul_hi_u32 s15, s27, s10
	s_mul_hi_i32 s29, s21, s10
	s_mul_i32 s28, s21, s10
	s_mul_i32 s8, s9, s24
	;; [unrolled: 1-line block ×4, first 2 shown]
	s_add_i32 s15, s10, s15
	s_lshl_b64 s[28:29], s[28:29], 2
	s_ashr_i32 s9, s8, 31
	s_ashr_i32 s25, s24, 31
	s_ashr_i32 s31, s30, 31
	s_lshr_b32 s14, s15, s14
	v_lshlrev_b32_e32 v1, 3, v0
	s_mul_hi_i32 s21, s14, s20
	s_mul_i32 s20, s14, s20
	s_mov_b32 s34, s17
	v_mov_b32_e32 v10, 0
	v_mov_b32_e32 v11, v0
	;; [unrolled: 1-line block ×3, first 2 shown]
	s_waitcnt lgkmcnt(0)
	s_add_u32 s15, s2, s28
	s_addc_u32 s16, s3, s29
	s_lshl_b64 s[30:31], s[30:31], 2
	v_mov_b32_e32 v8, 0
	s_add_u32 s14, s15, s30
	s_addc_u32 s15, s16, s31
	s_lshl_b64 s[8:9], s[8:9], 2
	s_ashr_i32 s35, s17, 31
	s_add_i32 s16, s17, s17
	s_lshl_b32 s19, s17, 2
	s_lshl_b64 s[20:21], s[20:21], 2
	s_lshl_b64 s[24:25], s[24:25], 2
	s_add_u32 s0, s0, s8
	s_addc_u32 s1, s1, s9
	s_add_u32 s0, s0, s24
	s_addc_u32 s1, s1, s25
	;; [unrolled: 2-line block ×3, first 2 shown]
	v_add_co_u32 v2, s0, s0, v1
	s_lshl_b64 s[8:9], s[34:35], 3
	v_add_co_ci_u32_e64 v3, null, s1, 0, s0
	s_add_u32 s0, s2, s30
	s_addc_u32 s1, s3, s31
	s_add_u32 s0, s0, s28
	s_addc_u32 s1, s1, s29
	v_add_co_u32 v4, s0, s0, v1
	v_add_co_ci_u32_e64 v6, null, s1, 0, s0
	v_add_co_u32 v1, s0, v2, 4
	v_add_co_ci_u32_e64 v2, null, 0, v3, s0
	;; [unrolled: 2-line block ×3, first 2 shown]
	v_mov_b32_e32 v7, 0
	v_mov_b32_e32 v6, 0
	s_mul_i32 s1, s17, 3
.LBB60_10:                              ; =>This Inner Loop Header: Depth=1
	v_add_nc_u32_e32 v14, s16, v11
	v_add_nc_u32_e32 v18, s1, v11
	v_add_nc_u32_e32 v20, s19, v11
	v_add_co_u32 v16, s0, v3, s8
	v_ashrrev_i32_e32 v15, 31, v14
	v_ashrrev_i32_e32 v19, 31, v18
	;; [unrolled: 1-line block ×3, first 2 shown]
	v_add_co_ci_u32_e64 v17, null, s9, v4, s0
	v_lshlrev_b64 v[14:15], 3, v[14:15]
	v_lshlrev_b64 v[18:19], 3, v[18:19]
	;; [unrolled: 1-line block ×3, first 2 shown]
	global_load_dwordx2 v[12:13], v[1:2], off offset:-4
	v_add_nc_u32_e32 v11, 0xa0, v11
	v_add_co_u32 v14, s0, s14, v14
	v_add_co_ci_u32_e64 v15, null, s15, v15, s0
	v_add_co_u32 v18, s0, s14, v18
	v_add_co_ci_u32_e64 v19, null, s15, v19, s0
	;; [unrolled: 2-line block ×3, first 2 shown]
	s_clause 0x1
	global_load_dwordx2 v[22:23], v[3:4], off offset:-4
	global_load_dwordx2 v[16:17], v[16:17], off offset:-4
	s_clause 0x2
	global_load_dwordx2 v[14:15], v[14:15], off
	global_load_dwordx2 v[18:19], v[18:19], off
	;; [unrolled: 1-line block ×3, first 2 shown]
	v_add_co_u32 v1, s0, 0x500, v1
	v_add_co_ci_u32_e64 v2, null, 0, v2, s0
	v_add_co_u32 v3, s0, 0x500, v3
	v_add_co_ci_u32_e64 v4, null, 0, v4, s0
	v_cmp_le_i32_e64 s0, s12, v11
	s_or_b32 s11, s0, s11
	s_waitcnt vmcnt(4)
	v_fmac_f32_e32 v10, v12, v22
	s_waitcnt vmcnt(3)
	v_fmac_f32_e32 v9, v12, v16
	;; [unrolled: 2-line block ×5, first 2 shown]
	v_fmac_f32_e32 v10, v13, v23
	v_fmac_f32_e32 v9, v13, v17
	v_fmac_f32_e32 v8, v13, v15
	v_fmac_f32_e32 v7, v13, v19
	v_fmac_f32_e32 v6, v13, v21
	s_andn2_b32 exec_lo, exec_lo, s11
	s_cbranch_execnz .LBB60_10
; %bb.11:
	s_or_b32 exec_lo, exec_lo, s11
.LBB60_12:
	s_or_b32 exec_lo, exec_lo, s13
	v_mbcnt_lo_u32_b32 v2, -1, 0
	v_xor_b32_e32 v1, 16, v2
	v_xor_b32_e32 v3, 8, v2
	v_cmp_gt_i32_e64 s0, 32, v1
	v_cndmask_b32_e64 v1, v2, v1, s0
	v_cmp_gt_i32_e64 s0, 32, v3
	v_lshlrev_b32_e32 v1, 2, v1
	v_cndmask_b32_e64 v3, v2, v3, s0
	ds_bpermute_b32 v4, v1, v10
	v_lshlrev_b32_e32 v3, 2, v3
	s_waitcnt lgkmcnt(0)
	v_add_f32_e32 v10, v10, v4
	v_xor_b32_e32 v4, 4, v2
	ds_bpermute_b32 v11, v3, v10
	v_cmp_gt_i32_e64 s0, 32, v4
	v_cndmask_b32_e64 v4, v2, v4, s0
	v_lshlrev_b32_e32 v4, 2, v4
	s_waitcnt lgkmcnt(0)
	v_add_f32_e32 v11, v10, v11
	v_xor_b32_e32 v10, 2, v2
	ds_bpermute_b32 v12, v4, v11
	v_cmp_gt_i32_e64 s0, 32, v10
	v_cndmask_b32_e64 v10, v2, v10, s0
	;; [unrolled: 7-line block ×3, first 2 shown]
	v_lshlrev_b32_e32 v11, 2, v2
	s_waitcnt lgkmcnt(0)
	v_add_f32_e32 v2, v12, v13
	v_lshrrev_b32_e32 v12, 3, v0
	ds_bpermute_b32 v13, v11, v2
	v_and_b32_e32 v12, 0x7c, v12
	v_add_nc_u32_e32 v12, 0, v12
	s_waitcnt lgkmcnt(0)
	v_add_f32_e32 v2, v2, v13
	ds_write_b32 v12, v2
	s_waitcnt lgkmcnt(0)
	s_barrier
	buffer_gl0_inv
	s_and_saveexec_b32 s0, vcc_lo
	s_cbranch_execz .LBB60_14
; %bb.13:
	ds_read_b32 v2, v5
	s_waitcnt lgkmcnt(0)
	ds_bpermute_b32 v13, v1, v2
	s_waitcnt lgkmcnt(0)
	v_add_f32_e32 v2, v2, v13
	ds_bpermute_b32 v13, v3, v2
	s_waitcnt lgkmcnt(0)
	v_add_f32_e32 v2, v2, v13
	ds_bpermute_b32 v13, v4, v2
	s_waitcnt lgkmcnt(0)
	v_add_f32_e32 v2, v2, v13
	ds_bpermute_b32 v13, v10, v2
	s_waitcnt lgkmcnt(0)
	v_add_f32_e32 v2, v2, v13
	ds_bpermute_b32 v13, v11, v2
	s_waitcnt lgkmcnt(0)
	v_add_f32_e32 v2, v2, v13
.LBB60_14:
	s_or_b32 exec_lo, exec_lo, s0
	ds_bpermute_b32 v13, v1, v9
	s_waitcnt lgkmcnt(0)
	s_barrier
	buffer_gl0_inv
	v_add_f32_e32 v9, v9, v13
	ds_bpermute_b32 v13, v3, v9
	s_waitcnt lgkmcnt(0)
	v_add_f32_e32 v9, v9, v13
	ds_bpermute_b32 v13, v4, v9
	s_waitcnt lgkmcnt(0)
	v_add_f32_e32 v9, v9, v13
	ds_bpermute_b32 v13, v10, v9
	s_waitcnt lgkmcnt(0)
	v_add_f32_e32 v9, v9, v13
	ds_bpermute_b32 v13, v11, v9
	s_waitcnt lgkmcnt(0)
	v_add_f32_e32 v9, v9, v13
	ds_write_b32 v12, v9
	s_waitcnt lgkmcnt(0)
	s_barrier
	buffer_gl0_inv
	s_and_saveexec_b32 s0, vcc_lo
	s_cbranch_execz .LBB60_16
; %bb.15:
	ds_read_b32 v9, v5
	s_waitcnt lgkmcnt(0)
	ds_bpermute_b32 v13, v1, v9
	s_waitcnt lgkmcnt(0)
	v_add_f32_e32 v9, v9, v13
	ds_bpermute_b32 v13, v3, v9
	s_waitcnt lgkmcnt(0)
	v_add_f32_e32 v9, v9, v13
	ds_bpermute_b32 v13, v4, v9
	s_waitcnt lgkmcnt(0)
	v_add_f32_e32 v9, v9, v13
	ds_bpermute_b32 v13, v10, v9
	s_waitcnt lgkmcnt(0)
	v_add_f32_e32 v9, v9, v13
	ds_bpermute_b32 v13, v11, v9
	s_waitcnt lgkmcnt(0)
	v_add_f32_e32 v9, v9, v13
.LBB60_16:
	s_or_b32 exec_lo, exec_lo, s0
	ds_bpermute_b32 v13, v1, v8
	s_waitcnt lgkmcnt(0)
	s_barrier
	buffer_gl0_inv
	v_add_f32_e32 v8, v8, v13
	ds_bpermute_b32 v13, v3, v8
	s_waitcnt lgkmcnt(0)
	v_add_f32_e32 v8, v8, v13
	ds_bpermute_b32 v13, v4, v8
	s_waitcnt lgkmcnt(0)
	v_add_f32_e32 v8, v8, v13
	ds_bpermute_b32 v13, v10, v8
	s_waitcnt lgkmcnt(0)
	v_add_f32_e32 v8, v8, v13
	ds_bpermute_b32 v13, v11, v8
	;; [unrolled: 43-line block ×4, first 2 shown]
	s_waitcnt lgkmcnt(0)
	v_add_f32_e32 v6, v6, v13
	ds_write_b32 v12, v6
	s_waitcnt lgkmcnt(0)
	s_barrier
	buffer_gl0_inv
	s_and_saveexec_b32 s0, vcc_lo
	s_cbranch_execz .LBB60_22
; %bb.21:
	ds_read_b32 v5, v5
	s_waitcnt lgkmcnt(0)
	ds_bpermute_b32 v1, v1, v5
	s_waitcnt lgkmcnt(0)
	v_add_f32_e32 v1, v5, v1
	ds_bpermute_b32 v3, v3, v1
	s_waitcnt lgkmcnt(0)
	v_add_f32_e32 v1, v1, v3
	;; [unrolled: 3-line block ×5, first 2 shown]
.LBB60_22:
	s_or_b32 exec_lo, exec_lo, s0
	s_barrier
	buffer_gl0_inv
	s_mov_b32 s0, exec_lo
	v_cmpx_gt_u32_e32 5, v0
	s_cbranch_execz .LBB60_24
; %bb.23:
	s_load_dwordx2 s[0:1], s[4:5], 0x38
	v_cmp_eq_u32_e32 vcc_lo, 1, v0
	v_mad_u64_u32 v[3:4], null, s18, v0, s[6:7]
	s_mul_hi_i32 s3, s22, s10
	s_mul_i32 s2, s22, s10
	v_cndmask_b32_e32 v1, v2, v9, vcc_lo
	v_cmp_eq_u32_e32 vcc_lo, 2, v0
	s_mul_i32 s4, s26, s7
	s_lshl_b64 s[2:3], s[2:3], 2
	v_ashrrev_i32_e32 v4, 31, v3
	s_ashr_i32 s5, s4, 31
	v_cndmask_b32_e32 v1, v1, v8, vcc_lo
	v_cmp_eq_u32_e32 vcc_lo, 3, v0
	v_cndmask_b32_e32 v5, v1, v7, vcc_lo
	v_lshlrev_b64 v[1:2], 2, v[3:4]
	s_waitcnt lgkmcnt(0)
	s_add_u32 s2, s0, s2
	v_cmp_eq_u32_e32 vcc_lo, 4, v0
	s_addc_u32 s3, s1, s3
	s_lshl_b64 s[0:1], s[4:5], 2
	s_add_u32 s0, s2, s0
	v_cndmask_b32_e32 v3, v5, v6, vcc_lo
	s_addc_u32 s1, s3, s1
	v_add_co_u32 v0, vcc_lo, s0, v1
	v_add_co_ci_u32_e64 v1, null, s1, v2, vcc_lo
	global_store_dword v[0:1], v3, off
.LBB60_24:
	s_endpgm
	.section	.rodata,"a",@progbits
	.p2align	6, 0x0
	.amdhsa_kernel _ZL13mul_mat_vec_fIffLi5ELi160ELb0ELb0EEvPKT_PKfPKi31ggml_cuda_mm_fusion_args_devicePfi15HIP_vector_typeIjLj3EEiiiSA_iiiSA_iiii
		.amdhsa_group_segment_fixed_size 0
		.amdhsa_private_segment_fixed_size 0
		.amdhsa_kernarg_size 144
		.amdhsa_user_sgpr_count 6
		.amdhsa_user_sgpr_private_segment_buffer 1
		.amdhsa_user_sgpr_dispatch_ptr 0
		.amdhsa_user_sgpr_queue_ptr 0
		.amdhsa_user_sgpr_kernarg_segment_ptr 1
		.amdhsa_user_sgpr_dispatch_id 0
		.amdhsa_user_sgpr_flat_scratch_init 0
		.amdhsa_user_sgpr_private_segment_size 0
		.amdhsa_wavefront_size32 1
		.amdhsa_uses_dynamic_stack 0
		.amdhsa_system_sgpr_private_segment_wavefront_offset 0
		.amdhsa_system_sgpr_workgroup_id_x 1
		.amdhsa_system_sgpr_workgroup_id_y 1
		.amdhsa_system_sgpr_workgroup_id_z 1
		.amdhsa_system_sgpr_workgroup_info 0
		.amdhsa_system_vgpr_workitem_id 0
		.amdhsa_next_free_vgpr 24
		.amdhsa_next_free_sgpr 36
		.amdhsa_reserve_vcc 1
		.amdhsa_reserve_flat_scratch 0
		.amdhsa_float_round_mode_32 0
		.amdhsa_float_round_mode_16_64 0
		.amdhsa_float_denorm_mode_32 3
		.amdhsa_float_denorm_mode_16_64 3
		.amdhsa_dx10_clamp 1
		.amdhsa_ieee_mode 1
		.amdhsa_fp16_overflow 0
		.amdhsa_workgroup_processor_mode 1
		.amdhsa_memory_ordered 1
		.amdhsa_forward_progress 1
		.amdhsa_shared_vgpr_count 0
		.amdhsa_exception_fp_ieee_invalid_op 0
		.amdhsa_exception_fp_denorm_src 0
		.amdhsa_exception_fp_ieee_div_zero 0
		.amdhsa_exception_fp_ieee_overflow 0
		.amdhsa_exception_fp_ieee_underflow 0
		.amdhsa_exception_fp_ieee_inexact 0
		.amdhsa_exception_int_div_zero 0
	.end_amdhsa_kernel
	.section	.text._ZL13mul_mat_vec_fIffLi5ELi160ELb0ELb0EEvPKT_PKfPKi31ggml_cuda_mm_fusion_args_devicePfi15HIP_vector_typeIjLj3EEiiiSA_iiiSA_iiii,"axG",@progbits,_ZL13mul_mat_vec_fIffLi5ELi160ELb0ELb0EEvPKT_PKfPKi31ggml_cuda_mm_fusion_args_devicePfi15HIP_vector_typeIjLj3EEiiiSA_iiiSA_iiii,comdat
.Lfunc_end60:
	.size	_ZL13mul_mat_vec_fIffLi5ELi160ELb0ELb0EEvPKT_PKfPKi31ggml_cuda_mm_fusion_args_devicePfi15HIP_vector_typeIjLj3EEiiiSA_iiiSA_iiii, .Lfunc_end60-_ZL13mul_mat_vec_fIffLi5ELi160ELb0ELb0EEvPKT_PKfPKi31ggml_cuda_mm_fusion_args_devicePfi15HIP_vector_typeIjLj3EEiiiSA_iiiSA_iiii
                                        ; -- End function
	.set _ZL13mul_mat_vec_fIffLi5ELi160ELb0ELb0EEvPKT_PKfPKi31ggml_cuda_mm_fusion_args_devicePfi15HIP_vector_typeIjLj3EEiiiSA_iiiSA_iiii.num_vgpr, 24
	.set _ZL13mul_mat_vec_fIffLi5ELi160ELb0ELb0EEvPKT_PKfPKi31ggml_cuda_mm_fusion_args_devicePfi15HIP_vector_typeIjLj3EEiiiSA_iiiSA_iiii.num_agpr, 0
	.set _ZL13mul_mat_vec_fIffLi5ELi160ELb0ELb0EEvPKT_PKfPKi31ggml_cuda_mm_fusion_args_devicePfi15HIP_vector_typeIjLj3EEiiiSA_iiiSA_iiii.numbered_sgpr, 36
	.set _ZL13mul_mat_vec_fIffLi5ELi160ELb0ELb0EEvPKT_PKfPKi31ggml_cuda_mm_fusion_args_devicePfi15HIP_vector_typeIjLj3EEiiiSA_iiiSA_iiii.num_named_barrier, 0
	.set _ZL13mul_mat_vec_fIffLi5ELi160ELb0ELb0EEvPKT_PKfPKi31ggml_cuda_mm_fusion_args_devicePfi15HIP_vector_typeIjLj3EEiiiSA_iiiSA_iiii.private_seg_size, 0
	.set _ZL13mul_mat_vec_fIffLi5ELi160ELb0ELb0EEvPKT_PKfPKi31ggml_cuda_mm_fusion_args_devicePfi15HIP_vector_typeIjLj3EEiiiSA_iiiSA_iiii.uses_vcc, 1
	.set _ZL13mul_mat_vec_fIffLi5ELi160ELb0ELb0EEvPKT_PKfPKi31ggml_cuda_mm_fusion_args_devicePfi15HIP_vector_typeIjLj3EEiiiSA_iiiSA_iiii.uses_flat_scratch, 0
	.set _ZL13mul_mat_vec_fIffLi5ELi160ELb0ELb0EEvPKT_PKfPKi31ggml_cuda_mm_fusion_args_devicePfi15HIP_vector_typeIjLj3EEiiiSA_iiiSA_iiii.has_dyn_sized_stack, 0
	.set _ZL13mul_mat_vec_fIffLi5ELi160ELb0ELb0EEvPKT_PKfPKi31ggml_cuda_mm_fusion_args_devicePfi15HIP_vector_typeIjLj3EEiiiSA_iiiSA_iiii.has_recursion, 0
	.set _ZL13mul_mat_vec_fIffLi5ELi160ELb0ELb0EEvPKT_PKfPKi31ggml_cuda_mm_fusion_args_devicePfi15HIP_vector_typeIjLj3EEiiiSA_iiiSA_iiii.has_indirect_call, 0
	.section	.AMDGPU.csdata,"",@progbits
; Kernel info:
; codeLenInByte = 2212
; TotalNumSgprs: 38
; NumVgprs: 24
; ScratchSize: 0
; MemoryBound: 0
; FloatMode: 240
; IeeeMode: 1
; LDSByteSize: 0 bytes/workgroup (compile time only)
; SGPRBlocks: 0
; VGPRBlocks: 2
; NumSGPRsForWavesPerEU: 38
; NumVGPRsForWavesPerEU: 24
; Occupancy: 16
; WaveLimiterHint : 0
; COMPUTE_PGM_RSRC2:SCRATCH_EN: 0
; COMPUTE_PGM_RSRC2:USER_SGPR: 6
; COMPUTE_PGM_RSRC2:TRAP_HANDLER: 0
; COMPUTE_PGM_RSRC2:TGID_X_EN: 1
; COMPUTE_PGM_RSRC2:TGID_Y_EN: 1
; COMPUTE_PGM_RSRC2:TGID_Z_EN: 1
; COMPUTE_PGM_RSRC2:TIDIG_COMP_CNT: 0
	.section	.text._ZL13mul_mat_vec_fIffLi5ELi192ELb0ELb0EEvPKT_PKfPKi31ggml_cuda_mm_fusion_args_devicePfi15HIP_vector_typeIjLj3EEiiiSA_iiiSA_iiii,"axG",@progbits,_ZL13mul_mat_vec_fIffLi5ELi192ELb0ELb0EEvPKT_PKfPKi31ggml_cuda_mm_fusion_args_devicePfi15HIP_vector_typeIjLj3EEiiiSA_iiiSA_iiii,comdat
	.globl	_ZL13mul_mat_vec_fIffLi5ELi192ELb0ELb0EEvPKT_PKfPKi31ggml_cuda_mm_fusion_args_devicePfi15HIP_vector_typeIjLj3EEiiiSA_iiiSA_iiii ; -- Begin function _ZL13mul_mat_vec_fIffLi5ELi192ELb0ELb0EEvPKT_PKfPKi31ggml_cuda_mm_fusion_args_devicePfi15HIP_vector_typeIjLj3EEiiiSA_iiiSA_iiii
	.p2align	8
	.type	_ZL13mul_mat_vec_fIffLi5ELi192ELb0ELb0EEvPKT_PKfPKi31ggml_cuda_mm_fusion_args_devicePfi15HIP_vector_typeIjLj3EEiiiSA_iiiSA_iiii,@function
_ZL13mul_mat_vec_fIffLi5ELi192ELb0ELb0EEvPKT_PKfPKi31ggml_cuda_mm_fusion_args_devicePfi15HIP_vector_typeIjLj3EEiiiSA_iiiSA_iiii: ; @_ZL13mul_mat_vec_fIffLi5ELi192ELb0ELb0EEvPKT_PKfPKi31ggml_cuda_mm_fusion_args_devicePfi15HIP_vector_typeIjLj3EEiiiSA_iiiSA_iiii
; %bb.0:
	s_clause 0x2
	s_load_dwordx2 s[0:1], s[4:5], 0x10
	s_load_dwordx8 s[12:19], s[4:5], 0x40
	s_load_dwordx4 s[20:23], s[4:5], 0x80
	s_waitcnt lgkmcnt(0)
	s_cmp_eq_u64 s[0:1], 0
	s_cselect_b32 s10, -1, 0
	s_cmp_lg_u64 s[0:1], 0
	s_cselect_b32 s11, -1, 0
	s_and_b32 vcc_lo, exec_lo, s10
	s_cbranch_vccnz .LBB61_2
; %bb.1:
	s_mul_i32 s2, s23, s8
	s_mov_b32 s3, 0
	s_add_i32 s2, s2, s7
	s_lshl_b64 s[24:25], s[2:3], 2
	s_add_u32 s0, s0, s24
	s_addc_u32 s1, s1, s25
	s_load_dword s9, s[0:1], 0x0
	s_cbranch_execz .LBB61_3
	s_branch .LBB61_4
.LBB61_2:
                                        ; implicit-def: $sgpr9
.LBB61_3:
	s_load_dwordx2 s[0:1], s[4:5], 0x5c
	s_waitcnt lgkmcnt(0)
	s_mul_hi_u32 s0, s0, s7
	s_add_i32 s0, s7, s0
	s_lshr_b32 s9, s0, s1
.LBB61_4:
	s_load_dwordx4 s[24:27], s[4:5], 0x68
	s_andn2_b32 vcc_lo, exec_lo, s11
	s_mov_b32 s19, s7
	s_cbranch_vccnz .LBB61_6
; %bb.5:
	s_mul_hi_u32 s0, s13, s7
	s_add_i32 s0, s7, s0
	s_lshr_b32 s0, s0, s14
	s_mul_i32 s0, s0, s15
	s_sub_i32 s19, s7, s0
.LBB61_6:
	s_load_dword s14, s[4:5], 0x78
	v_cmp_gt_u32_e32 vcc_lo, 32, v0
	v_lshl_add_u32 v5, v0, 2, 0
	s_and_saveexec_b32 s0, vcc_lo
; %bb.7:
	v_mov_b32_e32 v1, 0
	ds_write_b32 v5, v1
; %bb.8:
	s_or_b32 exec_lo, exec_lo, s0
	v_mov_b32_e32 v6, 0
	v_mov_b32_e32 v7, 0
	;; [unrolled: 1-line block ×5, first 2 shown]
	s_and_b32 s0, exec_lo, s10
	s_mov_b32 s11, 0
	s_cselect_b32 s10, s8, 0
	s_mov_b32 s13, exec_lo
	s_waitcnt lgkmcnt(0)
	s_barrier
	buffer_gl0_inv
	v_cmpx_gt_i32_e64 s12, v0
	s_cbranch_execz .LBB61_12
; %bb.9:
	s_load_dwordx4 s[0:3], s[4:5], 0x0
	s_mul_hi_u32 s15, s27, s10
	s_mul_hi_i32 s29, s21, s10
	s_mul_i32 s28, s21, s10
	s_mul_i32 s8, s9, s24
	;; [unrolled: 1-line block ×4, first 2 shown]
	s_add_i32 s15, s10, s15
	s_lshl_b64 s[28:29], s[28:29], 2
	s_ashr_i32 s9, s8, 31
	s_ashr_i32 s25, s24, 31
	;; [unrolled: 1-line block ×3, first 2 shown]
	s_lshr_b32 s14, s15, s14
	v_lshlrev_b32_e32 v1, 3, v0
	s_mul_hi_i32 s21, s14, s20
	s_mul_i32 s20, s14, s20
	s_mov_b32 s34, s17
	v_mov_b32_e32 v10, 0
	v_mov_b32_e32 v11, v0
	;; [unrolled: 1-line block ×3, first 2 shown]
	s_waitcnt lgkmcnt(0)
	s_add_u32 s15, s2, s28
	s_addc_u32 s16, s3, s29
	s_lshl_b64 s[30:31], s[30:31], 2
	v_mov_b32_e32 v8, 0
	s_add_u32 s14, s15, s30
	s_addc_u32 s15, s16, s31
	s_lshl_b64 s[8:9], s[8:9], 2
	s_ashr_i32 s35, s17, 31
	s_add_i32 s16, s17, s17
	s_lshl_b32 s19, s17, 2
	s_lshl_b64 s[20:21], s[20:21], 2
	s_lshl_b64 s[24:25], s[24:25], 2
	s_add_u32 s0, s0, s8
	s_addc_u32 s1, s1, s9
	s_add_u32 s0, s0, s24
	s_addc_u32 s1, s1, s25
	;; [unrolled: 2-line block ×3, first 2 shown]
	v_add_co_u32 v2, s0, s0, v1
	s_lshl_b64 s[8:9], s[34:35], 3
	v_add_co_ci_u32_e64 v3, null, s1, 0, s0
	s_add_u32 s0, s2, s30
	s_addc_u32 s1, s3, s31
	s_add_u32 s0, s0, s28
	s_addc_u32 s1, s1, s29
	v_add_co_u32 v4, s0, s0, v1
	v_add_co_ci_u32_e64 v6, null, s1, 0, s0
	v_add_co_u32 v1, s0, v2, 4
	v_add_co_ci_u32_e64 v2, null, 0, v3, s0
	;; [unrolled: 2-line block ×3, first 2 shown]
	v_mov_b32_e32 v7, 0
	v_mov_b32_e32 v6, 0
	s_mul_i32 s1, s17, 3
.LBB61_10:                              ; =>This Inner Loop Header: Depth=1
	v_add_nc_u32_e32 v14, s16, v11
	v_add_nc_u32_e32 v18, s1, v11
	v_add_nc_u32_e32 v20, s19, v11
	v_add_co_u32 v16, s0, v3, s8
	v_ashrrev_i32_e32 v15, 31, v14
	v_ashrrev_i32_e32 v19, 31, v18
	;; [unrolled: 1-line block ×3, first 2 shown]
	v_add_co_ci_u32_e64 v17, null, s9, v4, s0
	v_lshlrev_b64 v[14:15], 3, v[14:15]
	v_lshlrev_b64 v[18:19], 3, v[18:19]
	v_lshlrev_b64 v[20:21], 3, v[20:21]
	global_load_dwordx2 v[12:13], v[1:2], off offset:-4
	v_add_nc_u32_e32 v11, 0xc0, v11
	v_add_co_u32 v14, s0, s14, v14
	v_add_co_ci_u32_e64 v15, null, s15, v15, s0
	v_add_co_u32 v18, s0, s14, v18
	v_add_co_ci_u32_e64 v19, null, s15, v19, s0
	;; [unrolled: 2-line block ×3, first 2 shown]
	s_clause 0x1
	global_load_dwordx2 v[22:23], v[3:4], off offset:-4
	global_load_dwordx2 v[16:17], v[16:17], off offset:-4
	s_clause 0x2
	global_load_dwordx2 v[14:15], v[14:15], off
	global_load_dwordx2 v[18:19], v[18:19], off
	;; [unrolled: 1-line block ×3, first 2 shown]
	v_add_co_u32 v1, s0, 0x600, v1
	v_add_co_ci_u32_e64 v2, null, 0, v2, s0
	v_add_co_u32 v3, s0, 0x600, v3
	v_add_co_ci_u32_e64 v4, null, 0, v4, s0
	v_cmp_le_i32_e64 s0, s12, v11
	s_or_b32 s11, s0, s11
	s_waitcnt vmcnt(4)
	v_fmac_f32_e32 v10, v12, v22
	s_waitcnt vmcnt(3)
	v_fmac_f32_e32 v9, v12, v16
	;; [unrolled: 2-line block ×5, first 2 shown]
	v_fmac_f32_e32 v10, v13, v23
	v_fmac_f32_e32 v9, v13, v17
	;; [unrolled: 1-line block ×5, first 2 shown]
	s_andn2_b32 exec_lo, exec_lo, s11
	s_cbranch_execnz .LBB61_10
; %bb.11:
	s_or_b32 exec_lo, exec_lo, s11
.LBB61_12:
	s_or_b32 exec_lo, exec_lo, s13
	v_mbcnt_lo_u32_b32 v2, -1, 0
	v_xor_b32_e32 v1, 16, v2
	v_xor_b32_e32 v3, 8, v2
	v_cmp_gt_i32_e64 s0, 32, v1
	v_cndmask_b32_e64 v1, v2, v1, s0
	v_cmp_gt_i32_e64 s0, 32, v3
	v_lshlrev_b32_e32 v1, 2, v1
	v_cndmask_b32_e64 v3, v2, v3, s0
	ds_bpermute_b32 v4, v1, v10
	v_lshlrev_b32_e32 v3, 2, v3
	s_waitcnt lgkmcnt(0)
	v_add_f32_e32 v10, v10, v4
	v_xor_b32_e32 v4, 4, v2
	ds_bpermute_b32 v11, v3, v10
	v_cmp_gt_i32_e64 s0, 32, v4
	v_cndmask_b32_e64 v4, v2, v4, s0
	v_lshlrev_b32_e32 v4, 2, v4
	s_waitcnt lgkmcnt(0)
	v_add_f32_e32 v11, v10, v11
	v_xor_b32_e32 v10, 2, v2
	ds_bpermute_b32 v12, v4, v11
	v_cmp_gt_i32_e64 s0, 32, v10
	v_cndmask_b32_e64 v10, v2, v10, s0
	v_lshlrev_b32_e32 v10, 2, v10
	s_waitcnt lgkmcnt(0)
	v_add_f32_e32 v12, v11, v12
	v_xor_b32_e32 v11, 1, v2
	ds_bpermute_b32 v13, v10, v12
	v_cmp_gt_i32_e64 s0, 32, v11
	v_cndmask_b32_e64 v2, v2, v11, s0
	v_lshlrev_b32_e32 v11, 2, v2
	s_waitcnt lgkmcnt(0)
	v_add_f32_e32 v2, v12, v13
	v_lshrrev_b32_e32 v12, 3, v0
	ds_bpermute_b32 v13, v11, v2
	v_and_b32_e32 v12, 0x7c, v12
	v_add_nc_u32_e32 v12, 0, v12
	s_waitcnt lgkmcnt(0)
	v_add_f32_e32 v2, v2, v13
	ds_write_b32 v12, v2
	s_waitcnt lgkmcnt(0)
	s_barrier
	buffer_gl0_inv
	s_and_saveexec_b32 s0, vcc_lo
	s_cbranch_execz .LBB61_14
; %bb.13:
	ds_read_b32 v2, v5
	s_waitcnt lgkmcnt(0)
	ds_bpermute_b32 v13, v1, v2
	s_waitcnt lgkmcnt(0)
	v_add_f32_e32 v2, v2, v13
	ds_bpermute_b32 v13, v3, v2
	s_waitcnt lgkmcnt(0)
	v_add_f32_e32 v2, v2, v13
	ds_bpermute_b32 v13, v4, v2
	s_waitcnt lgkmcnt(0)
	v_add_f32_e32 v2, v2, v13
	ds_bpermute_b32 v13, v10, v2
	s_waitcnt lgkmcnt(0)
	v_add_f32_e32 v2, v2, v13
	ds_bpermute_b32 v13, v11, v2
	s_waitcnt lgkmcnt(0)
	v_add_f32_e32 v2, v2, v13
.LBB61_14:
	s_or_b32 exec_lo, exec_lo, s0
	ds_bpermute_b32 v13, v1, v9
	s_waitcnt lgkmcnt(0)
	s_barrier
	buffer_gl0_inv
	v_add_f32_e32 v9, v9, v13
	ds_bpermute_b32 v13, v3, v9
	s_waitcnt lgkmcnt(0)
	v_add_f32_e32 v9, v9, v13
	ds_bpermute_b32 v13, v4, v9
	s_waitcnt lgkmcnt(0)
	v_add_f32_e32 v9, v9, v13
	ds_bpermute_b32 v13, v10, v9
	s_waitcnt lgkmcnt(0)
	v_add_f32_e32 v9, v9, v13
	ds_bpermute_b32 v13, v11, v9
	s_waitcnt lgkmcnt(0)
	v_add_f32_e32 v9, v9, v13
	ds_write_b32 v12, v9
	s_waitcnt lgkmcnt(0)
	s_barrier
	buffer_gl0_inv
	s_and_saveexec_b32 s0, vcc_lo
	s_cbranch_execz .LBB61_16
; %bb.15:
	ds_read_b32 v9, v5
	s_waitcnt lgkmcnt(0)
	ds_bpermute_b32 v13, v1, v9
	s_waitcnt lgkmcnt(0)
	v_add_f32_e32 v9, v9, v13
	ds_bpermute_b32 v13, v3, v9
	s_waitcnt lgkmcnt(0)
	v_add_f32_e32 v9, v9, v13
	ds_bpermute_b32 v13, v4, v9
	s_waitcnt lgkmcnt(0)
	v_add_f32_e32 v9, v9, v13
	ds_bpermute_b32 v13, v10, v9
	s_waitcnt lgkmcnt(0)
	v_add_f32_e32 v9, v9, v13
	ds_bpermute_b32 v13, v11, v9
	s_waitcnt lgkmcnt(0)
	v_add_f32_e32 v9, v9, v13
.LBB61_16:
	s_or_b32 exec_lo, exec_lo, s0
	ds_bpermute_b32 v13, v1, v8
	s_waitcnt lgkmcnt(0)
	s_barrier
	buffer_gl0_inv
	v_add_f32_e32 v8, v8, v13
	ds_bpermute_b32 v13, v3, v8
	s_waitcnt lgkmcnt(0)
	v_add_f32_e32 v8, v8, v13
	ds_bpermute_b32 v13, v4, v8
	s_waitcnt lgkmcnt(0)
	v_add_f32_e32 v8, v8, v13
	ds_bpermute_b32 v13, v10, v8
	s_waitcnt lgkmcnt(0)
	v_add_f32_e32 v8, v8, v13
	ds_bpermute_b32 v13, v11, v8
	;; [unrolled: 43-line block ×4, first 2 shown]
	s_waitcnt lgkmcnt(0)
	v_add_f32_e32 v6, v6, v13
	ds_write_b32 v12, v6
	s_waitcnt lgkmcnt(0)
	s_barrier
	buffer_gl0_inv
	s_and_saveexec_b32 s0, vcc_lo
	s_cbranch_execz .LBB61_22
; %bb.21:
	ds_read_b32 v5, v5
	s_waitcnt lgkmcnt(0)
	ds_bpermute_b32 v1, v1, v5
	s_waitcnt lgkmcnt(0)
	v_add_f32_e32 v1, v5, v1
	ds_bpermute_b32 v3, v3, v1
	s_waitcnt lgkmcnt(0)
	v_add_f32_e32 v1, v1, v3
	;; [unrolled: 3-line block ×5, first 2 shown]
.LBB61_22:
	s_or_b32 exec_lo, exec_lo, s0
	s_barrier
	buffer_gl0_inv
	s_mov_b32 s0, exec_lo
	v_cmpx_gt_u32_e32 5, v0
	s_cbranch_execz .LBB61_24
; %bb.23:
	s_load_dwordx2 s[0:1], s[4:5], 0x38
	v_cmp_eq_u32_e32 vcc_lo, 1, v0
	v_mad_u64_u32 v[3:4], null, s18, v0, s[6:7]
	s_mul_hi_i32 s3, s22, s10
	s_mul_i32 s2, s22, s10
	v_cndmask_b32_e32 v1, v2, v9, vcc_lo
	v_cmp_eq_u32_e32 vcc_lo, 2, v0
	s_mul_i32 s4, s26, s7
	s_lshl_b64 s[2:3], s[2:3], 2
	v_ashrrev_i32_e32 v4, 31, v3
	s_ashr_i32 s5, s4, 31
	v_cndmask_b32_e32 v1, v1, v8, vcc_lo
	v_cmp_eq_u32_e32 vcc_lo, 3, v0
	v_cndmask_b32_e32 v5, v1, v7, vcc_lo
	v_lshlrev_b64 v[1:2], 2, v[3:4]
	s_waitcnt lgkmcnt(0)
	s_add_u32 s2, s0, s2
	v_cmp_eq_u32_e32 vcc_lo, 4, v0
	s_addc_u32 s3, s1, s3
	s_lshl_b64 s[0:1], s[4:5], 2
	s_add_u32 s0, s2, s0
	v_cndmask_b32_e32 v3, v5, v6, vcc_lo
	s_addc_u32 s1, s3, s1
	v_add_co_u32 v0, vcc_lo, s0, v1
	v_add_co_ci_u32_e64 v1, null, s1, v2, vcc_lo
	global_store_dword v[0:1], v3, off
.LBB61_24:
	s_endpgm
	.section	.rodata,"a",@progbits
	.p2align	6, 0x0
	.amdhsa_kernel _ZL13mul_mat_vec_fIffLi5ELi192ELb0ELb0EEvPKT_PKfPKi31ggml_cuda_mm_fusion_args_devicePfi15HIP_vector_typeIjLj3EEiiiSA_iiiSA_iiii
		.amdhsa_group_segment_fixed_size 0
		.amdhsa_private_segment_fixed_size 0
		.amdhsa_kernarg_size 144
		.amdhsa_user_sgpr_count 6
		.amdhsa_user_sgpr_private_segment_buffer 1
		.amdhsa_user_sgpr_dispatch_ptr 0
		.amdhsa_user_sgpr_queue_ptr 0
		.amdhsa_user_sgpr_kernarg_segment_ptr 1
		.amdhsa_user_sgpr_dispatch_id 0
		.amdhsa_user_sgpr_flat_scratch_init 0
		.amdhsa_user_sgpr_private_segment_size 0
		.amdhsa_wavefront_size32 1
		.amdhsa_uses_dynamic_stack 0
		.amdhsa_system_sgpr_private_segment_wavefront_offset 0
		.amdhsa_system_sgpr_workgroup_id_x 1
		.amdhsa_system_sgpr_workgroup_id_y 1
		.amdhsa_system_sgpr_workgroup_id_z 1
		.amdhsa_system_sgpr_workgroup_info 0
		.amdhsa_system_vgpr_workitem_id 0
		.amdhsa_next_free_vgpr 24
		.amdhsa_next_free_sgpr 36
		.amdhsa_reserve_vcc 1
		.amdhsa_reserve_flat_scratch 0
		.amdhsa_float_round_mode_32 0
		.amdhsa_float_round_mode_16_64 0
		.amdhsa_float_denorm_mode_32 3
		.amdhsa_float_denorm_mode_16_64 3
		.amdhsa_dx10_clamp 1
		.amdhsa_ieee_mode 1
		.amdhsa_fp16_overflow 0
		.amdhsa_workgroup_processor_mode 1
		.amdhsa_memory_ordered 1
		.amdhsa_forward_progress 1
		.amdhsa_shared_vgpr_count 0
		.amdhsa_exception_fp_ieee_invalid_op 0
		.amdhsa_exception_fp_denorm_src 0
		.amdhsa_exception_fp_ieee_div_zero 0
		.amdhsa_exception_fp_ieee_overflow 0
		.amdhsa_exception_fp_ieee_underflow 0
		.amdhsa_exception_fp_ieee_inexact 0
		.amdhsa_exception_int_div_zero 0
	.end_amdhsa_kernel
	.section	.text._ZL13mul_mat_vec_fIffLi5ELi192ELb0ELb0EEvPKT_PKfPKi31ggml_cuda_mm_fusion_args_devicePfi15HIP_vector_typeIjLj3EEiiiSA_iiiSA_iiii,"axG",@progbits,_ZL13mul_mat_vec_fIffLi5ELi192ELb0ELb0EEvPKT_PKfPKi31ggml_cuda_mm_fusion_args_devicePfi15HIP_vector_typeIjLj3EEiiiSA_iiiSA_iiii,comdat
.Lfunc_end61:
	.size	_ZL13mul_mat_vec_fIffLi5ELi192ELb0ELb0EEvPKT_PKfPKi31ggml_cuda_mm_fusion_args_devicePfi15HIP_vector_typeIjLj3EEiiiSA_iiiSA_iiii, .Lfunc_end61-_ZL13mul_mat_vec_fIffLi5ELi192ELb0ELb0EEvPKT_PKfPKi31ggml_cuda_mm_fusion_args_devicePfi15HIP_vector_typeIjLj3EEiiiSA_iiiSA_iiii
                                        ; -- End function
	.set _ZL13mul_mat_vec_fIffLi5ELi192ELb0ELb0EEvPKT_PKfPKi31ggml_cuda_mm_fusion_args_devicePfi15HIP_vector_typeIjLj3EEiiiSA_iiiSA_iiii.num_vgpr, 24
	.set _ZL13mul_mat_vec_fIffLi5ELi192ELb0ELb0EEvPKT_PKfPKi31ggml_cuda_mm_fusion_args_devicePfi15HIP_vector_typeIjLj3EEiiiSA_iiiSA_iiii.num_agpr, 0
	.set _ZL13mul_mat_vec_fIffLi5ELi192ELb0ELb0EEvPKT_PKfPKi31ggml_cuda_mm_fusion_args_devicePfi15HIP_vector_typeIjLj3EEiiiSA_iiiSA_iiii.numbered_sgpr, 36
	.set _ZL13mul_mat_vec_fIffLi5ELi192ELb0ELb0EEvPKT_PKfPKi31ggml_cuda_mm_fusion_args_devicePfi15HIP_vector_typeIjLj3EEiiiSA_iiiSA_iiii.num_named_barrier, 0
	.set _ZL13mul_mat_vec_fIffLi5ELi192ELb0ELb0EEvPKT_PKfPKi31ggml_cuda_mm_fusion_args_devicePfi15HIP_vector_typeIjLj3EEiiiSA_iiiSA_iiii.private_seg_size, 0
	.set _ZL13mul_mat_vec_fIffLi5ELi192ELb0ELb0EEvPKT_PKfPKi31ggml_cuda_mm_fusion_args_devicePfi15HIP_vector_typeIjLj3EEiiiSA_iiiSA_iiii.uses_vcc, 1
	.set _ZL13mul_mat_vec_fIffLi5ELi192ELb0ELb0EEvPKT_PKfPKi31ggml_cuda_mm_fusion_args_devicePfi15HIP_vector_typeIjLj3EEiiiSA_iiiSA_iiii.uses_flat_scratch, 0
	.set _ZL13mul_mat_vec_fIffLi5ELi192ELb0ELb0EEvPKT_PKfPKi31ggml_cuda_mm_fusion_args_devicePfi15HIP_vector_typeIjLj3EEiiiSA_iiiSA_iiii.has_dyn_sized_stack, 0
	.set _ZL13mul_mat_vec_fIffLi5ELi192ELb0ELb0EEvPKT_PKfPKi31ggml_cuda_mm_fusion_args_devicePfi15HIP_vector_typeIjLj3EEiiiSA_iiiSA_iiii.has_recursion, 0
	.set _ZL13mul_mat_vec_fIffLi5ELi192ELb0ELb0EEvPKT_PKfPKi31ggml_cuda_mm_fusion_args_devicePfi15HIP_vector_typeIjLj3EEiiiSA_iiiSA_iiii.has_indirect_call, 0
	.section	.AMDGPU.csdata,"",@progbits
; Kernel info:
; codeLenInByte = 2212
; TotalNumSgprs: 38
; NumVgprs: 24
; ScratchSize: 0
; MemoryBound: 0
; FloatMode: 240
; IeeeMode: 1
; LDSByteSize: 0 bytes/workgroup (compile time only)
; SGPRBlocks: 0
; VGPRBlocks: 2
; NumSGPRsForWavesPerEU: 38
; NumVGPRsForWavesPerEU: 24
; Occupancy: 16
; WaveLimiterHint : 0
; COMPUTE_PGM_RSRC2:SCRATCH_EN: 0
; COMPUTE_PGM_RSRC2:USER_SGPR: 6
; COMPUTE_PGM_RSRC2:TRAP_HANDLER: 0
; COMPUTE_PGM_RSRC2:TGID_X_EN: 1
; COMPUTE_PGM_RSRC2:TGID_Y_EN: 1
; COMPUTE_PGM_RSRC2:TGID_Z_EN: 1
; COMPUTE_PGM_RSRC2:TIDIG_COMP_CNT: 0
	.section	.text._ZL13mul_mat_vec_fIffLi5ELi224ELb0ELb0EEvPKT_PKfPKi31ggml_cuda_mm_fusion_args_devicePfi15HIP_vector_typeIjLj3EEiiiSA_iiiSA_iiii,"axG",@progbits,_ZL13mul_mat_vec_fIffLi5ELi224ELb0ELb0EEvPKT_PKfPKi31ggml_cuda_mm_fusion_args_devicePfi15HIP_vector_typeIjLj3EEiiiSA_iiiSA_iiii,comdat
	.globl	_ZL13mul_mat_vec_fIffLi5ELi224ELb0ELb0EEvPKT_PKfPKi31ggml_cuda_mm_fusion_args_devicePfi15HIP_vector_typeIjLj3EEiiiSA_iiiSA_iiii ; -- Begin function _ZL13mul_mat_vec_fIffLi5ELi224ELb0ELb0EEvPKT_PKfPKi31ggml_cuda_mm_fusion_args_devicePfi15HIP_vector_typeIjLj3EEiiiSA_iiiSA_iiii
	.p2align	8
	.type	_ZL13mul_mat_vec_fIffLi5ELi224ELb0ELb0EEvPKT_PKfPKi31ggml_cuda_mm_fusion_args_devicePfi15HIP_vector_typeIjLj3EEiiiSA_iiiSA_iiii,@function
_ZL13mul_mat_vec_fIffLi5ELi224ELb0ELb0EEvPKT_PKfPKi31ggml_cuda_mm_fusion_args_devicePfi15HIP_vector_typeIjLj3EEiiiSA_iiiSA_iiii: ; @_ZL13mul_mat_vec_fIffLi5ELi224ELb0ELb0EEvPKT_PKfPKi31ggml_cuda_mm_fusion_args_devicePfi15HIP_vector_typeIjLj3EEiiiSA_iiiSA_iiii
; %bb.0:
	s_clause 0x2
	s_load_dwordx2 s[0:1], s[4:5], 0x10
	s_load_dwordx8 s[12:19], s[4:5], 0x40
	s_load_dwordx4 s[20:23], s[4:5], 0x80
	s_waitcnt lgkmcnt(0)
	s_cmp_eq_u64 s[0:1], 0
	s_cselect_b32 s10, -1, 0
	s_cmp_lg_u64 s[0:1], 0
	s_cselect_b32 s11, -1, 0
	s_and_b32 vcc_lo, exec_lo, s10
	s_cbranch_vccnz .LBB62_2
; %bb.1:
	s_mul_i32 s2, s23, s8
	s_mov_b32 s3, 0
	s_add_i32 s2, s2, s7
	s_lshl_b64 s[24:25], s[2:3], 2
	s_add_u32 s0, s0, s24
	s_addc_u32 s1, s1, s25
	s_load_dword s9, s[0:1], 0x0
	s_cbranch_execz .LBB62_3
	s_branch .LBB62_4
.LBB62_2:
                                        ; implicit-def: $sgpr9
.LBB62_3:
	s_load_dwordx2 s[0:1], s[4:5], 0x5c
	s_waitcnt lgkmcnt(0)
	s_mul_hi_u32 s0, s0, s7
	s_add_i32 s0, s7, s0
	s_lshr_b32 s9, s0, s1
.LBB62_4:
	s_load_dwordx4 s[24:27], s[4:5], 0x68
	s_andn2_b32 vcc_lo, exec_lo, s11
	s_mov_b32 s19, s7
	s_cbranch_vccnz .LBB62_6
; %bb.5:
	s_mul_hi_u32 s0, s13, s7
	s_add_i32 s0, s7, s0
	s_lshr_b32 s0, s0, s14
	s_mul_i32 s0, s0, s15
	s_sub_i32 s19, s7, s0
.LBB62_6:
	s_load_dword s14, s[4:5], 0x78
	v_cmp_gt_u32_e32 vcc_lo, 32, v0
	v_lshl_add_u32 v5, v0, 2, 0
	s_and_saveexec_b32 s0, vcc_lo
; %bb.7:
	v_mov_b32_e32 v1, 0
	ds_write_b32 v5, v1
; %bb.8:
	s_or_b32 exec_lo, exec_lo, s0
	v_mov_b32_e32 v6, 0
	v_mov_b32_e32 v7, 0
	;; [unrolled: 1-line block ×5, first 2 shown]
	s_and_b32 s0, exec_lo, s10
	s_mov_b32 s11, 0
	s_cselect_b32 s10, s8, 0
	s_mov_b32 s13, exec_lo
	s_waitcnt lgkmcnt(0)
	s_barrier
	buffer_gl0_inv
	v_cmpx_gt_i32_e64 s12, v0
	s_cbranch_execz .LBB62_12
; %bb.9:
	s_load_dwordx4 s[0:3], s[4:5], 0x0
	s_mul_hi_u32 s15, s27, s10
	s_mul_hi_i32 s29, s21, s10
	s_mul_i32 s28, s21, s10
	s_mul_i32 s8, s9, s24
	;; [unrolled: 1-line block ×4, first 2 shown]
	s_add_i32 s15, s10, s15
	s_lshl_b64 s[28:29], s[28:29], 2
	s_ashr_i32 s9, s8, 31
	s_ashr_i32 s25, s24, 31
	;; [unrolled: 1-line block ×3, first 2 shown]
	s_lshr_b32 s14, s15, s14
	v_lshlrev_b32_e32 v1, 3, v0
	s_mul_hi_i32 s21, s14, s20
	s_mul_i32 s20, s14, s20
	s_mov_b32 s34, s17
	v_mov_b32_e32 v10, 0
	v_mov_b32_e32 v11, v0
	;; [unrolled: 1-line block ×3, first 2 shown]
	s_waitcnt lgkmcnt(0)
	s_add_u32 s15, s2, s28
	s_addc_u32 s16, s3, s29
	s_lshl_b64 s[30:31], s[30:31], 2
	v_mov_b32_e32 v8, 0
	s_add_u32 s14, s15, s30
	s_addc_u32 s15, s16, s31
	s_lshl_b64 s[8:9], s[8:9], 2
	s_ashr_i32 s35, s17, 31
	s_add_i32 s16, s17, s17
	s_lshl_b32 s19, s17, 2
	s_lshl_b64 s[20:21], s[20:21], 2
	s_lshl_b64 s[24:25], s[24:25], 2
	s_add_u32 s0, s0, s8
	s_addc_u32 s1, s1, s9
	s_add_u32 s0, s0, s24
	s_addc_u32 s1, s1, s25
	;; [unrolled: 2-line block ×3, first 2 shown]
	v_add_co_u32 v2, s0, s0, v1
	s_lshl_b64 s[8:9], s[34:35], 3
	v_add_co_ci_u32_e64 v3, null, s1, 0, s0
	s_add_u32 s0, s2, s30
	s_addc_u32 s1, s3, s31
	s_add_u32 s0, s0, s28
	s_addc_u32 s1, s1, s29
	v_add_co_u32 v4, s0, s0, v1
	v_add_co_ci_u32_e64 v6, null, s1, 0, s0
	v_add_co_u32 v1, s0, v2, 4
	v_add_co_ci_u32_e64 v2, null, 0, v3, s0
	;; [unrolled: 2-line block ×3, first 2 shown]
	v_mov_b32_e32 v7, 0
	v_mov_b32_e32 v6, 0
	s_mul_i32 s1, s17, 3
.LBB62_10:                              ; =>This Inner Loop Header: Depth=1
	v_add_nc_u32_e32 v14, s16, v11
	v_add_nc_u32_e32 v18, s1, v11
	;; [unrolled: 1-line block ×3, first 2 shown]
	v_add_co_u32 v16, s0, v3, s8
	v_ashrrev_i32_e32 v15, 31, v14
	v_ashrrev_i32_e32 v19, 31, v18
	;; [unrolled: 1-line block ×3, first 2 shown]
	v_add_co_ci_u32_e64 v17, null, s9, v4, s0
	v_lshlrev_b64 v[14:15], 3, v[14:15]
	v_lshlrev_b64 v[18:19], 3, v[18:19]
	;; [unrolled: 1-line block ×3, first 2 shown]
	global_load_dwordx2 v[12:13], v[1:2], off offset:-4
	v_add_nc_u32_e32 v11, 0xe0, v11
	v_add_co_u32 v14, s0, s14, v14
	v_add_co_ci_u32_e64 v15, null, s15, v15, s0
	v_add_co_u32 v18, s0, s14, v18
	v_add_co_ci_u32_e64 v19, null, s15, v19, s0
	;; [unrolled: 2-line block ×3, first 2 shown]
	s_clause 0x1
	global_load_dwordx2 v[22:23], v[3:4], off offset:-4
	global_load_dwordx2 v[16:17], v[16:17], off offset:-4
	s_clause 0x2
	global_load_dwordx2 v[14:15], v[14:15], off
	global_load_dwordx2 v[18:19], v[18:19], off
	;; [unrolled: 1-line block ×3, first 2 shown]
	v_add_co_u32 v1, s0, 0x700, v1
	v_add_co_ci_u32_e64 v2, null, 0, v2, s0
	v_add_co_u32 v3, s0, 0x700, v3
	v_add_co_ci_u32_e64 v4, null, 0, v4, s0
	v_cmp_le_i32_e64 s0, s12, v11
	s_or_b32 s11, s0, s11
	s_waitcnt vmcnt(4)
	v_fmac_f32_e32 v10, v12, v22
	s_waitcnt vmcnt(3)
	v_fmac_f32_e32 v9, v12, v16
	;; [unrolled: 2-line block ×5, first 2 shown]
	v_fmac_f32_e32 v10, v13, v23
	v_fmac_f32_e32 v9, v13, v17
	;; [unrolled: 1-line block ×5, first 2 shown]
	s_andn2_b32 exec_lo, exec_lo, s11
	s_cbranch_execnz .LBB62_10
; %bb.11:
	s_or_b32 exec_lo, exec_lo, s11
.LBB62_12:
	s_or_b32 exec_lo, exec_lo, s13
	v_mbcnt_lo_u32_b32 v2, -1, 0
	v_xor_b32_e32 v1, 16, v2
	v_xor_b32_e32 v3, 8, v2
	v_cmp_gt_i32_e64 s0, 32, v1
	v_cndmask_b32_e64 v1, v2, v1, s0
	v_cmp_gt_i32_e64 s0, 32, v3
	v_lshlrev_b32_e32 v1, 2, v1
	v_cndmask_b32_e64 v3, v2, v3, s0
	ds_bpermute_b32 v4, v1, v10
	v_lshlrev_b32_e32 v3, 2, v3
	s_waitcnt lgkmcnt(0)
	v_add_f32_e32 v10, v10, v4
	v_xor_b32_e32 v4, 4, v2
	ds_bpermute_b32 v11, v3, v10
	v_cmp_gt_i32_e64 s0, 32, v4
	v_cndmask_b32_e64 v4, v2, v4, s0
	v_lshlrev_b32_e32 v4, 2, v4
	s_waitcnt lgkmcnt(0)
	v_add_f32_e32 v11, v10, v11
	v_xor_b32_e32 v10, 2, v2
	ds_bpermute_b32 v12, v4, v11
	v_cmp_gt_i32_e64 s0, 32, v10
	v_cndmask_b32_e64 v10, v2, v10, s0
	;; [unrolled: 7-line block ×3, first 2 shown]
	v_lshlrev_b32_e32 v11, 2, v2
	s_waitcnt lgkmcnt(0)
	v_add_f32_e32 v2, v12, v13
	v_lshrrev_b32_e32 v12, 3, v0
	ds_bpermute_b32 v13, v11, v2
	v_and_b32_e32 v12, 0x7c, v12
	v_add_nc_u32_e32 v12, 0, v12
	s_waitcnt lgkmcnt(0)
	v_add_f32_e32 v2, v2, v13
	ds_write_b32 v12, v2
	s_waitcnt lgkmcnt(0)
	s_barrier
	buffer_gl0_inv
	s_and_saveexec_b32 s0, vcc_lo
	s_cbranch_execz .LBB62_14
; %bb.13:
	ds_read_b32 v2, v5
	s_waitcnt lgkmcnt(0)
	ds_bpermute_b32 v13, v1, v2
	s_waitcnt lgkmcnt(0)
	v_add_f32_e32 v2, v2, v13
	ds_bpermute_b32 v13, v3, v2
	s_waitcnt lgkmcnt(0)
	v_add_f32_e32 v2, v2, v13
	ds_bpermute_b32 v13, v4, v2
	s_waitcnt lgkmcnt(0)
	v_add_f32_e32 v2, v2, v13
	ds_bpermute_b32 v13, v10, v2
	s_waitcnt lgkmcnt(0)
	v_add_f32_e32 v2, v2, v13
	ds_bpermute_b32 v13, v11, v2
	s_waitcnt lgkmcnt(0)
	v_add_f32_e32 v2, v2, v13
.LBB62_14:
	s_or_b32 exec_lo, exec_lo, s0
	ds_bpermute_b32 v13, v1, v9
	s_waitcnt lgkmcnt(0)
	s_barrier
	buffer_gl0_inv
	v_add_f32_e32 v9, v9, v13
	ds_bpermute_b32 v13, v3, v9
	s_waitcnt lgkmcnt(0)
	v_add_f32_e32 v9, v9, v13
	ds_bpermute_b32 v13, v4, v9
	s_waitcnt lgkmcnt(0)
	v_add_f32_e32 v9, v9, v13
	ds_bpermute_b32 v13, v10, v9
	s_waitcnt lgkmcnt(0)
	v_add_f32_e32 v9, v9, v13
	ds_bpermute_b32 v13, v11, v9
	s_waitcnt lgkmcnt(0)
	v_add_f32_e32 v9, v9, v13
	ds_write_b32 v12, v9
	s_waitcnt lgkmcnt(0)
	s_barrier
	buffer_gl0_inv
	s_and_saveexec_b32 s0, vcc_lo
	s_cbranch_execz .LBB62_16
; %bb.15:
	ds_read_b32 v9, v5
	s_waitcnt lgkmcnt(0)
	ds_bpermute_b32 v13, v1, v9
	s_waitcnt lgkmcnt(0)
	v_add_f32_e32 v9, v9, v13
	ds_bpermute_b32 v13, v3, v9
	s_waitcnt lgkmcnt(0)
	v_add_f32_e32 v9, v9, v13
	ds_bpermute_b32 v13, v4, v9
	s_waitcnt lgkmcnt(0)
	v_add_f32_e32 v9, v9, v13
	ds_bpermute_b32 v13, v10, v9
	s_waitcnt lgkmcnt(0)
	v_add_f32_e32 v9, v9, v13
	ds_bpermute_b32 v13, v11, v9
	s_waitcnt lgkmcnt(0)
	v_add_f32_e32 v9, v9, v13
.LBB62_16:
	s_or_b32 exec_lo, exec_lo, s0
	ds_bpermute_b32 v13, v1, v8
	s_waitcnt lgkmcnt(0)
	s_barrier
	buffer_gl0_inv
	v_add_f32_e32 v8, v8, v13
	ds_bpermute_b32 v13, v3, v8
	s_waitcnt lgkmcnt(0)
	v_add_f32_e32 v8, v8, v13
	ds_bpermute_b32 v13, v4, v8
	s_waitcnt lgkmcnt(0)
	v_add_f32_e32 v8, v8, v13
	ds_bpermute_b32 v13, v10, v8
	s_waitcnt lgkmcnt(0)
	v_add_f32_e32 v8, v8, v13
	ds_bpermute_b32 v13, v11, v8
	;; [unrolled: 43-line block ×4, first 2 shown]
	s_waitcnt lgkmcnt(0)
	v_add_f32_e32 v6, v6, v13
	ds_write_b32 v12, v6
	s_waitcnt lgkmcnt(0)
	s_barrier
	buffer_gl0_inv
	s_and_saveexec_b32 s0, vcc_lo
	s_cbranch_execz .LBB62_22
; %bb.21:
	ds_read_b32 v5, v5
	s_waitcnt lgkmcnt(0)
	ds_bpermute_b32 v1, v1, v5
	s_waitcnt lgkmcnt(0)
	v_add_f32_e32 v1, v5, v1
	ds_bpermute_b32 v3, v3, v1
	s_waitcnt lgkmcnt(0)
	v_add_f32_e32 v1, v1, v3
	;; [unrolled: 3-line block ×5, first 2 shown]
.LBB62_22:
	s_or_b32 exec_lo, exec_lo, s0
	s_barrier
	buffer_gl0_inv
	s_mov_b32 s0, exec_lo
	v_cmpx_gt_u32_e32 5, v0
	s_cbranch_execz .LBB62_24
; %bb.23:
	s_load_dwordx2 s[0:1], s[4:5], 0x38
	v_cmp_eq_u32_e32 vcc_lo, 1, v0
	v_mad_u64_u32 v[3:4], null, s18, v0, s[6:7]
	s_mul_hi_i32 s3, s22, s10
	s_mul_i32 s2, s22, s10
	v_cndmask_b32_e32 v1, v2, v9, vcc_lo
	v_cmp_eq_u32_e32 vcc_lo, 2, v0
	s_mul_i32 s4, s26, s7
	s_lshl_b64 s[2:3], s[2:3], 2
	v_ashrrev_i32_e32 v4, 31, v3
	s_ashr_i32 s5, s4, 31
	v_cndmask_b32_e32 v1, v1, v8, vcc_lo
	v_cmp_eq_u32_e32 vcc_lo, 3, v0
	v_cndmask_b32_e32 v5, v1, v7, vcc_lo
	v_lshlrev_b64 v[1:2], 2, v[3:4]
	s_waitcnt lgkmcnt(0)
	s_add_u32 s2, s0, s2
	v_cmp_eq_u32_e32 vcc_lo, 4, v0
	s_addc_u32 s3, s1, s3
	s_lshl_b64 s[0:1], s[4:5], 2
	s_add_u32 s0, s2, s0
	v_cndmask_b32_e32 v3, v5, v6, vcc_lo
	s_addc_u32 s1, s3, s1
	v_add_co_u32 v0, vcc_lo, s0, v1
	v_add_co_ci_u32_e64 v1, null, s1, v2, vcc_lo
	global_store_dword v[0:1], v3, off
.LBB62_24:
	s_endpgm
	.section	.rodata,"a",@progbits
	.p2align	6, 0x0
	.amdhsa_kernel _ZL13mul_mat_vec_fIffLi5ELi224ELb0ELb0EEvPKT_PKfPKi31ggml_cuda_mm_fusion_args_devicePfi15HIP_vector_typeIjLj3EEiiiSA_iiiSA_iiii
		.amdhsa_group_segment_fixed_size 0
		.amdhsa_private_segment_fixed_size 0
		.amdhsa_kernarg_size 144
		.amdhsa_user_sgpr_count 6
		.amdhsa_user_sgpr_private_segment_buffer 1
		.amdhsa_user_sgpr_dispatch_ptr 0
		.amdhsa_user_sgpr_queue_ptr 0
		.amdhsa_user_sgpr_kernarg_segment_ptr 1
		.amdhsa_user_sgpr_dispatch_id 0
		.amdhsa_user_sgpr_flat_scratch_init 0
		.amdhsa_user_sgpr_private_segment_size 0
		.amdhsa_wavefront_size32 1
		.amdhsa_uses_dynamic_stack 0
		.amdhsa_system_sgpr_private_segment_wavefront_offset 0
		.amdhsa_system_sgpr_workgroup_id_x 1
		.amdhsa_system_sgpr_workgroup_id_y 1
		.amdhsa_system_sgpr_workgroup_id_z 1
		.amdhsa_system_sgpr_workgroup_info 0
		.amdhsa_system_vgpr_workitem_id 0
		.amdhsa_next_free_vgpr 24
		.amdhsa_next_free_sgpr 36
		.amdhsa_reserve_vcc 1
		.amdhsa_reserve_flat_scratch 0
		.amdhsa_float_round_mode_32 0
		.amdhsa_float_round_mode_16_64 0
		.amdhsa_float_denorm_mode_32 3
		.amdhsa_float_denorm_mode_16_64 3
		.amdhsa_dx10_clamp 1
		.amdhsa_ieee_mode 1
		.amdhsa_fp16_overflow 0
		.amdhsa_workgroup_processor_mode 1
		.amdhsa_memory_ordered 1
		.amdhsa_forward_progress 1
		.amdhsa_shared_vgpr_count 0
		.amdhsa_exception_fp_ieee_invalid_op 0
		.amdhsa_exception_fp_denorm_src 0
		.amdhsa_exception_fp_ieee_div_zero 0
		.amdhsa_exception_fp_ieee_overflow 0
		.amdhsa_exception_fp_ieee_underflow 0
		.amdhsa_exception_fp_ieee_inexact 0
		.amdhsa_exception_int_div_zero 0
	.end_amdhsa_kernel
	.section	.text._ZL13mul_mat_vec_fIffLi5ELi224ELb0ELb0EEvPKT_PKfPKi31ggml_cuda_mm_fusion_args_devicePfi15HIP_vector_typeIjLj3EEiiiSA_iiiSA_iiii,"axG",@progbits,_ZL13mul_mat_vec_fIffLi5ELi224ELb0ELb0EEvPKT_PKfPKi31ggml_cuda_mm_fusion_args_devicePfi15HIP_vector_typeIjLj3EEiiiSA_iiiSA_iiii,comdat
.Lfunc_end62:
	.size	_ZL13mul_mat_vec_fIffLi5ELi224ELb0ELb0EEvPKT_PKfPKi31ggml_cuda_mm_fusion_args_devicePfi15HIP_vector_typeIjLj3EEiiiSA_iiiSA_iiii, .Lfunc_end62-_ZL13mul_mat_vec_fIffLi5ELi224ELb0ELb0EEvPKT_PKfPKi31ggml_cuda_mm_fusion_args_devicePfi15HIP_vector_typeIjLj3EEiiiSA_iiiSA_iiii
                                        ; -- End function
	.set _ZL13mul_mat_vec_fIffLi5ELi224ELb0ELb0EEvPKT_PKfPKi31ggml_cuda_mm_fusion_args_devicePfi15HIP_vector_typeIjLj3EEiiiSA_iiiSA_iiii.num_vgpr, 24
	.set _ZL13mul_mat_vec_fIffLi5ELi224ELb0ELb0EEvPKT_PKfPKi31ggml_cuda_mm_fusion_args_devicePfi15HIP_vector_typeIjLj3EEiiiSA_iiiSA_iiii.num_agpr, 0
	.set _ZL13mul_mat_vec_fIffLi5ELi224ELb0ELb0EEvPKT_PKfPKi31ggml_cuda_mm_fusion_args_devicePfi15HIP_vector_typeIjLj3EEiiiSA_iiiSA_iiii.numbered_sgpr, 36
	.set _ZL13mul_mat_vec_fIffLi5ELi224ELb0ELb0EEvPKT_PKfPKi31ggml_cuda_mm_fusion_args_devicePfi15HIP_vector_typeIjLj3EEiiiSA_iiiSA_iiii.num_named_barrier, 0
	.set _ZL13mul_mat_vec_fIffLi5ELi224ELb0ELb0EEvPKT_PKfPKi31ggml_cuda_mm_fusion_args_devicePfi15HIP_vector_typeIjLj3EEiiiSA_iiiSA_iiii.private_seg_size, 0
	.set _ZL13mul_mat_vec_fIffLi5ELi224ELb0ELb0EEvPKT_PKfPKi31ggml_cuda_mm_fusion_args_devicePfi15HIP_vector_typeIjLj3EEiiiSA_iiiSA_iiii.uses_vcc, 1
	.set _ZL13mul_mat_vec_fIffLi5ELi224ELb0ELb0EEvPKT_PKfPKi31ggml_cuda_mm_fusion_args_devicePfi15HIP_vector_typeIjLj3EEiiiSA_iiiSA_iiii.uses_flat_scratch, 0
	.set _ZL13mul_mat_vec_fIffLi5ELi224ELb0ELb0EEvPKT_PKfPKi31ggml_cuda_mm_fusion_args_devicePfi15HIP_vector_typeIjLj3EEiiiSA_iiiSA_iiii.has_dyn_sized_stack, 0
	.set _ZL13mul_mat_vec_fIffLi5ELi224ELb0ELb0EEvPKT_PKfPKi31ggml_cuda_mm_fusion_args_devicePfi15HIP_vector_typeIjLj3EEiiiSA_iiiSA_iiii.has_recursion, 0
	.set _ZL13mul_mat_vec_fIffLi5ELi224ELb0ELb0EEvPKT_PKfPKi31ggml_cuda_mm_fusion_args_devicePfi15HIP_vector_typeIjLj3EEiiiSA_iiiSA_iiii.has_indirect_call, 0
	.section	.AMDGPU.csdata,"",@progbits
; Kernel info:
; codeLenInByte = 2212
; TotalNumSgprs: 38
; NumVgprs: 24
; ScratchSize: 0
; MemoryBound: 0
; FloatMode: 240
; IeeeMode: 1
; LDSByteSize: 0 bytes/workgroup (compile time only)
; SGPRBlocks: 0
; VGPRBlocks: 2
; NumSGPRsForWavesPerEU: 38
; NumVGPRsForWavesPerEU: 24
; Occupancy: 16
; WaveLimiterHint : 0
; COMPUTE_PGM_RSRC2:SCRATCH_EN: 0
; COMPUTE_PGM_RSRC2:USER_SGPR: 6
; COMPUTE_PGM_RSRC2:TRAP_HANDLER: 0
; COMPUTE_PGM_RSRC2:TGID_X_EN: 1
; COMPUTE_PGM_RSRC2:TGID_Y_EN: 1
; COMPUTE_PGM_RSRC2:TGID_Z_EN: 1
; COMPUTE_PGM_RSRC2:TIDIG_COMP_CNT: 0
	.section	.text._ZL13mul_mat_vec_fIffLi5ELi256ELb0ELb0EEvPKT_PKfPKi31ggml_cuda_mm_fusion_args_devicePfi15HIP_vector_typeIjLj3EEiiiSA_iiiSA_iiii,"axG",@progbits,_ZL13mul_mat_vec_fIffLi5ELi256ELb0ELb0EEvPKT_PKfPKi31ggml_cuda_mm_fusion_args_devicePfi15HIP_vector_typeIjLj3EEiiiSA_iiiSA_iiii,comdat
	.globl	_ZL13mul_mat_vec_fIffLi5ELi256ELb0ELb0EEvPKT_PKfPKi31ggml_cuda_mm_fusion_args_devicePfi15HIP_vector_typeIjLj3EEiiiSA_iiiSA_iiii ; -- Begin function _ZL13mul_mat_vec_fIffLi5ELi256ELb0ELb0EEvPKT_PKfPKi31ggml_cuda_mm_fusion_args_devicePfi15HIP_vector_typeIjLj3EEiiiSA_iiiSA_iiii
	.p2align	8
	.type	_ZL13mul_mat_vec_fIffLi5ELi256ELb0ELb0EEvPKT_PKfPKi31ggml_cuda_mm_fusion_args_devicePfi15HIP_vector_typeIjLj3EEiiiSA_iiiSA_iiii,@function
_ZL13mul_mat_vec_fIffLi5ELi256ELb0ELb0EEvPKT_PKfPKi31ggml_cuda_mm_fusion_args_devicePfi15HIP_vector_typeIjLj3EEiiiSA_iiiSA_iiii: ; @_ZL13mul_mat_vec_fIffLi5ELi256ELb0ELb0EEvPKT_PKfPKi31ggml_cuda_mm_fusion_args_devicePfi15HIP_vector_typeIjLj3EEiiiSA_iiiSA_iiii
; %bb.0:
	s_clause 0x2
	s_load_dwordx2 s[0:1], s[4:5], 0x10
	s_load_dwordx8 s[12:19], s[4:5], 0x40
	s_load_dwordx4 s[20:23], s[4:5], 0x80
	s_waitcnt lgkmcnt(0)
	s_cmp_eq_u64 s[0:1], 0
	s_cselect_b32 s10, -1, 0
	s_cmp_lg_u64 s[0:1], 0
	s_cselect_b32 s11, -1, 0
	s_and_b32 vcc_lo, exec_lo, s10
	s_cbranch_vccnz .LBB63_2
; %bb.1:
	s_mul_i32 s2, s23, s8
	s_mov_b32 s3, 0
	s_add_i32 s2, s2, s7
	s_lshl_b64 s[24:25], s[2:3], 2
	s_add_u32 s0, s0, s24
	s_addc_u32 s1, s1, s25
	s_load_dword s9, s[0:1], 0x0
	s_cbranch_execz .LBB63_3
	s_branch .LBB63_4
.LBB63_2:
                                        ; implicit-def: $sgpr9
.LBB63_3:
	s_load_dwordx2 s[0:1], s[4:5], 0x5c
	s_waitcnt lgkmcnt(0)
	s_mul_hi_u32 s0, s0, s7
	s_add_i32 s0, s7, s0
	s_lshr_b32 s9, s0, s1
.LBB63_4:
	s_load_dwordx4 s[24:27], s[4:5], 0x68
	s_andn2_b32 vcc_lo, exec_lo, s11
	s_mov_b32 s19, s7
	s_cbranch_vccnz .LBB63_6
; %bb.5:
	s_mul_hi_u32 s0, s13, s7
	s_add_i32 s0, s7, s0
	s_lshr_b32 s0, s0, s14
	s_mul_i32 s0, s0, s15
	s_sub_i32 s19, s7, s0
.LBB63_6:
	s_load_dword s14, s[4:5], 0x78
	v_cmp_gt_u32_e32 vcc_lo, 32, v0
	v_lshl_add_u32 v5, v0, 2, 0
	s_and_saveexec_b32 s0, vcc_lo
; %bb.7:
	v_mov_b32_e32 v1, 0
	ds_write_b32 v5, v1
; %bb.8:
	s_or_b32 exec_lo, exec_lo, s0
	v_mov_b32_e32 v6, 0
	v_mov_b32_e32 v7, 0
	;; [unrolled: 1-line block ×5, first 2 shown]
	s_and_b32 s0, exec_lo, s10
	s_mov_b32 s11, 0
	s_cselect_b32 s10, s8, 0
	s_mov_b32 s13, exec_lo
	s_waitcnt lgkmcnt(0)
	s_barrier
	buffer_gl0_inv
	v_cmpx_gt_i32_e64 s12, v0
	s_cbranch_execz .LBB63_12
; %bb.9:
	s_load_dwordx4 s[0:3], s[4:5], 0x0
	s_mul_hi_u32 s15, s27, s10
	s_mul_hi_i32 s29, s21, s10
	s_mul_i32 s28, s21, s10
	s_mul_i32 s8, s9, s24
	;; [unrolled: 1-line block ×4, first 2 shown]
	s_add_i32 s15, s10, s15
	s_lshl_b64 s[28:29], s[28:29], 2
	s_ashr_i32 s9, s8, 31
	s_ashr_i32 s25, s24, 31
	;; [unrolled: 1-line block ×3, first 2 shown]
	s_lshr_b32 s14, s15, s14
	v_lshlrev_b32_e32 v1, 3, v0
	s_mul_hi_i32 s21, s14, s20
	s_mul_i32 s20, s14, s20
	s_mov_b32 s34, s17
	v_mov_b32_e32 v10, 0
	v_mov_b32_e32 v11, v0
	;; [unrolled: 1-line block ×3, first 2 shown]
	s_waitcnt lgkmcnt(0)
	s_add_u32 s15, s2, s28
	s_addc_u32 s16, s3, s29
	s_lshl_b64 s[30:31], s[30:31], 2
	v_mov_b32_e32 v8, 0
	s_add_u32 s14, s15, s30
	s_addc_u32 s15, s16, s31
	s_lshl_b64 s[8:9], s[8:9], 2
	s_ashr_i32 s35, s17, 31
	s_add_i32 s16, s17, s17
	s_lshl_b32 s19, s17, 2
	s_lshl_b64 s[20:21], s[20:21], 2
	s_lshl_b64 s[24:25], s[24:25], 2
	s_add_u32 s0, s0, s8
	s_addc_u32 s1, s1, s9
	s_add_u32 s0, s0, s24
	s_addc_u32 s1, s1, s25
	;; [unrolled: 2-line block ×3, first 2 shown]
	v_add_co_u32 v2, s0, s0, v1
	s_lshl_b64 s[8:9], s[34:35], 3
	v_add_co_ci_u32_e64 v3, null, s1, 0, s0
	s_add_u32 s0, s2, s30
	s_addc_u32 s1, s3, s31
	s_add_u32 s0, s0, s28
	s_addc_u32 s1, s1, s29
	v_add_co_u32 v4, s0, s0, v1
	v_add_co_ci_u32_e64 v6, null, s1, 0, s0
	v_add_co_u32 v1, s0, v2, 4
	v_add_co_ci_u32_e64 v2, null, 0, v3, s0
	;; [unrolled: 2-line block ×3, first 2 shown]
	v_mov_b32_e32 v7, 0
	v_mov_b32_e32 v6, 0
	s_mul_i32 s1, s17, 3
.LBB63_10:                              ; =>This Inner Loop Header: Depth=1
	v_add_nc_u32_e32 v14, s16, v11
	v_add_nc_u32_e32 v18, s1, v11
	;; [unrolled: 1-line block ×3, first 2 shown]
	v_add_co_u32 v16, s0, v3, s8
	v_ashrrev_i32_e32 v15, 31, v14
	v_ashrrev_i32_e32 v19, 31, v18
	;; [unrolled: 1-line block ×3, first 2 shown]
	v_add_co_ci_u32_e64 v17, null, s9, v4, s0
	v_lshlrev_b64 v[14:15], 3, v[14:15]
	v_lshlrev_b64 v[18:19], 3, v[18:19]
	;; [unrolled: 1-line block ×3, first 2 shown]
	global_load_dwordx2 v[12:13], v[1:2], off offset:-4
	v_add_nc_u32_e32 v11, 0x100, v11
	v_add_co_u32 v14, s0, s14, v14
	v_add_co_ci_u32_e64 v15, null, s15, v15, s0
	v_add_co_u32 v18, s0, s14, v18
	v_add_co_ci_u32_e64 v19, null, s15, v19, s0
	;; [unrolled: 2-line block ×3, first 2 shown]
	s_clause 0x1
	global_load_dwordx2 v[22:23], v[3:4], off offset:-4
	global_load_dwordx2 v[16:17], v[16:17], off offset:-4
	s_clause 0x2
	global_load_dwordx2 v[14:15], v[14:15], off
	global_load_dwordx2 v[18:19], v[18:19], off
	;; [unrolled: 1-line block ×3, first 2 shown]
	v_add_co_u32 v1, s0, 0x800, v1
	v_add_co_ci_u32_e64 v2, null, 0, v2, s0
	v_add_co_u32 v3, s0, 0x800, v3
	v_add_co_ci_u32_e64 v4, null, 0, v4, s0
	v_cmp_le_i32_e64 s0, s12, v11
	s_or_b32 s11, s0, s11
	s_waitcnt vmcnt(4)
	v_fmac_f32_e32 v10, v12, v22
	s_waitcnt vmcnt(3)
	v_fmac_f32_e32 v9, v12, v16
	;; [unrolled: 2-line block ×5, first 2 shown]
	v_fmac_f32_e32 v10, v13, v23
	v_fmac_f32_e32 v9, v13, v17
	;; [unrolled: 1-line block ×5, first 2 shown]
	s_andn2_b32 exec_lo, exec_lo, s11
	s_cbranch_execnz .LBB63_10
; %bb.11:
	s_or_b32 exec_lo, exec_lo, s11
.LBB63_12:
	s_or_b32 exec_lo, exec_lo, s13
	v_mbcnt_lo_u32_b32 v2, -1, 0
	v_xor_b32_e32 v1, 16, v2
	v_xor_b32_e32 v3, 8, v2
	v_cmp_gt_i32_e64 s0, 32, v1
	v_cndmask_b32_e64 v1, v2, v1, s0
	v_cmp_gt_i32_e64 s0, 32, v3
	v_lshlrev_b32_e32 v1, 2, v1
	v_cndmask_b32_e64 v3, v2, v3, s0
	ds_bpermute_b32 v4, v1, v10
	v_lshlrev_b32_e32 v3, 2, v3
	s_waitcnt lgkmcnt(0)
	v_add_f32_e32 v10, v10, v4
	v_xor_b32_e32 v4, 4, v2
	ds_bpermute_b32 v11, v3, v10
	v_cmp_gt_i32_e64 s0, 32, v4
	v_cndmask_b32_e64 v4, v2, v4, s0
	v_lshlrev_b32_e32 v4, 2, v4
	s_waitcnt lgkmcnt(0)
	v_add_f32_e32 v11, v10, v11
	v_xor_b32_e32 v10, 2, v2
	ds_bpermute_b32 v12, v4, v11
	v_cmp_gt_i32_e64 s0, 32, v10
	v_cndmask_b32_e64 v10, v2, v10, s0
	;; [unrolled: 7-line block ×3, first 2 shown]
	v_lshlrev_b32_e32 v11, 2, v2
	s_waitcnt lgkmcnt(0)
	v_add_f32_e32 v2, v12, v13
	v_lshrrev_b32_e32 v12, 3, v0
	ds_bpermute_b32 v13, v11, v2
	v_and_b32_e32 v12, 0x7c, v12
	v_add_nc_u32_e32 v12, 0, v12
	s_waitcnt lgkmcnt(0)
	v_add_f32_e32 v2, v2, v13
	ds_write_b32 v12, v2
	s_waitcnt lgkmcnt(0)
	s_barrier
	buffer_gl0_inv
	s_and_saveexec_b32 s0, vcc_lo
	s_cbranch_execz .LBB63_14
; %bb.13:
	ds_read_b32 v2, v5
	s_waitcnt lgkmcnt(0)
	ds_bpermute_b32 v13, v1, v2
	s_waitcnt lgkmcnt(0)
	v_add_f32_e32 v2, v2, v13
	ds_bpermute_b32 v13, v3, v2
	s_waitcnt lgkmcnt(0)
	v_add_f32_e32 v2, v2, v13
	ds_bpermute_b32 v13, v4, v2
	s_waitcnt lgkmcnt(0)
	v_add_f32_e32 v2, v2, v13
	ds_bpermute_b32 v13, v10, v2
	s_waitcnt lgkmcnt(0)
	v_add_f32_e32 v2, v2, v13
	ds_bpermute_b32 v13, v11, v2
	s_waitcnt lgkmcnt(0)
	v_add_f32_e32 v2, v2, v13
.LBB63_14:
	s_or_b32 exec_lo, exec_lo, s0
	ds_bpermute_b32 v13, v1, v9
	s_waitcnt lgkmcnt(0)
	s_barrier
	buffer_gl0_inv
	v_add_f32_e32 v9, v9, v13
	ds_bpermute_b32 v13, v3, v9
	s_waitcnt lgkmcnt(0)
	v_add_f32_e32 v9, v9, v13
	ds_bpermute_b32 v13, v4, v9
	s_waitcnt lgkmcnt(0)
	v_add_f32_e32 v9, v9, v13
	ds_bpermute_b32 v13, v10, v9
	s_waitcnt lgkmcnt(0)
	v_add_f32_e32 v9, v9, v13
	ds_bpermute_b32 v13, v11, v9
	s_waitcnt lgkmcnt(0)
	v_add_f32_e32 v9, v9, v13
	ds_write_b32 v12, v9
	s_waitcnt lgkmcnt(0)
	s_barrier
	buffer_gl0_inv
	s_and_saveexec_b32 s0, vcc_lo
	s_cbranch_execz .LBB63_16
; %bb.15:
	ds_read_b32 v9, v5
	s_waitcnt lgkmcnt(0)
	ds_bpermute_b32 v13, v1, v9
	s_waitcnt lgkmcnt(0)
	v_add_f32_e32 v9, v9, v13
	ds_bpermute_b32 v13, v3, v9
	s_waitcnt lgkmcnt(0)
	v_add_f32_e32 v9, v9, v13
	ds_bpermute_b32 v13, v4, v9
	s_waitcnt lgkmcnt(0)
	v_add_f32_e32 v9, v9, v13
	ds_bpermute_b32 v13, v10, v9
	s_waitcnt lgkmcnt(0)
	v_add_f32_e32 v9, v9, v13
	ds_bpermute_b32 v13, v11, v9
	s_waitcnt lgkmcnt(0)
	v_add_f32_e32 v9, v9, v13
.LBB63_16:
	s_or_b32 exec_lo, exec_lo, s0
	ds_bpermute_b32 v13, v1, v8
	s_waitcnt lgkmcnt(0)
	s_barrier
	buffer_gl0_inv
	v_add_f32_e32 v8, v8, v13
	ds_bpermute_b32 v13, v3, v8
	s_waitcnt lgkmcnt(0)
	v_add_f32_e32 v8, v8, v13
	ds_bpermute_b32 v13, v4, v8
	s_waitcnt lgkmcnt(0)
	v_add_f32_e32 v8, v8, v13
	ds_bpermute_b32 v13, v10, v8
	s_waitcnt lgkmcnt(0)
	v_add_f32_e32 v8, v8, v13
	ds_bpermute_b32 v13, v11, v8
	;; [unrolled: 43-line block ×4, first 2 shown]
	s_waitcnt lgkmcnt(0)
	v_add_f32_e32 v6, v6, v13
	ds_write_b32 v12, v6
	s_waitcnt lgkmcnt(0)
	s_barrier
	buffer_gl0_inv
	s_and_saveexec_b32 s0, vcc_lo
	s_cbranch_execz .LBB63_22
; %bb.21:
	ds_read_b32 v5, v5
	s_waitcnt lgkmcnt(0)
	ds_bpermute_b32 v1, v1, v5
	s_waitcnt lgkmcnt(0)
	v_add_f32_e32 v1, v5, v1
	ds_bpermute_b32 v3, v3, v1
	s_waitcnt lgkmcnt(0)
	v_add_f32_e32 v1, v1, v3
	;; [unrolled: 3-line block ×5, first 2 shown]
.LBB63_22:
	s_or_b32 exec_lo, exec_lo, s0
	s_barrier
	buffer_gl0_inv
	s_mov_b32 s0, exec_lo
	v_cmpx_gt_u32_e32 5, v0
	s_cbranch_execz .LBB63_24
; %bb.23:
	s_load_dwordx2 s[0:1], s[4:5], 0x38
	v_cmp_eq_u32_e32 vcc_lo, 1, v0
	v_mad_u64_u32 v[3:4], null, s18, v0, s[6:7]
	s_mul_hi_i32 s3, s22, s10
	s_mul_i32 s2, s22, s10
	v_cndmask_b32_e32 v1, v2, v9, vcc_lo
	v_cmp_eq_u32_e32 vcc_lo, 2, v0
	s_mul_i32 s4, s26, s7
	s_lshl_b64 s[2:3], s[2:3], 2
	v_ashrrev_i32_e32 v4, 31, v3
	s_ashr_i32 s5, s4, 31
	v_cndmask_b32_e32 v1, v1, v8, vcc_lo
	v_cmp_eq_u32_e32 vcc_lo, 3, v0
	v_cndmask_b32_e32 v5, v1, v7, vcc_lo
	v_lshlrev_b64 v[1:2], 2, v[3:4]
	s_waitcnt lgkmcnt(0)
	s_add_u32 s2, s0, s2
	v_cmp_eq_u32_e32 vcc_lo, 4, v0
	s_addc_u32 s3, s1, s3
	s_lshl_b64 s[0:1], s[4:5], 2
	s_add_u32 s0, s2, s0
	v_cndmask_b32_e32 v3, v5, v6, vcc_lo
	s_addc_u32 s1, s3, s1
	v_add_co_u32 v0, vcc_lo, s0, v1
	v_add_co_ci_u32_e64 v1, null, s1, v2, vcc_lo
	global_store_dword v[0:1], v3, off
.LBB63_24:
	s_endpgm
	.section	.rodata,"a",@progbits
	.p2align	6, 0x0
	.amdhsa_kernel _ZL13mul_mat_vec_fIffLi5ELi256ELb0ELb0EEvPKT_PKfPKi31ggml_cuda_mm_fusion_args_devicePfi15HIP_vector_typeIjLj3EEiiiSA_iiiSA_iiii
		.amdhsa_group_segment_fixed_size 0
		.amdhsa_private_segment_fixed_size 0
		.amdhsa_kernarg_size 144
		.amdhsa_user_sgpr_count 6
		.amdhsa_user_sgpr_private_segment_buffer 1
		.amdhsa_user_sgpr_dispatch_ptr 0
		.amdhsa_user_sgpr_queue_ptr 0
		.amdhsa_user_sgpr_kernarg_segment_ptr 1
		.amdhsa_user_sgpr_dispatch_id 0
		.amdhsa_user_sgpr_flat_scratch_init 0
		.amdhsa_user_sgpr_private_segment_size 0
		.amdhsa_wavefront_size32 1
		.amdhsa_uses_dynamic_stack 0
		.amdhsa_system_sgpr_private_segment_wavefront_offset 0
		.amdhsa_system_sgpr_workgroup_id_x 1
		.amdhsa_system_sgpr_workgroup_id_y 1
		.amdhsa_system_sgpr_workgroup_id_z 1
		.amdhsa_system_sgpr_workgroup_info 0
		.amdhsa_system_vgpr_workitem_id 0
		.amdhsa_next_free_vgpr 24
		.amdhsa_next_free_sgpr 36
		.amdhsa_reserve_vcc 1
		.amdhsa_reserve_flat_scratch 0
		.amdhsa_float_round_mode_32 0
		.amdhsa_float_round_mode_16_64 0
		.amdhsa_float_denorm_mode_32 3
		.amdhsa_float_denorm_mode_16_64 3
		.amdhsa_dx10_clamp 1
		.amdhsa_ieee_mode 1
		.amdhsa_fp16_overflow 0
		.amdhsa_workgroup_processor_mode 1
		.amdhsa_memory_ordered 1
		.amdhsa_forward_progress 1
		.amdhsa_shared_vgpr_count 0
		.amdhsa_exception_fp_ieee_invalid_op 0
		.amdhsa_exception_fp_denorm_src 0
		.amdhsa_exception_fp_ieee_div_zero 0
		.amdhsa_exception_fp_ieee_overflow 0
		.amdhsa_exception_fp_ieee_underflow 0
		.amdhsa_exception_fp_ieee_inexact 0
		.amdhsa_exception_int_div_zero 0
	.end_amdhsa_kernel
	.section	.text._ZL13mul_mat_vec_fIffLi5ELi256ELb0ELb0EEvPKT_PKfPKi31ggml_cuda_mm_fusion_args_devicePfi15HIP_vector_typeIjLj3EEiiiSA_iiiSA_iiii,"axG",@progbits,_ZL13mul_mat_vec_fIffLi5ELi256ELb0ELb0EEvPKT_PKfPKi31ggml_cuda_mm_fusion_args_devicePfi15HIP_vector_typeIjLj3EEiiiSA_iiiSA_iiii,comdat
.Lfunc_end63:
	.size	_ZL13mul_mat_vec_fIffLi5ELi256ELb0ELb0EEvPKT_PKfPKi31ggml_cuda_mm_fusion_args_devicePfi15HIP_vector_typeIjLj3EEiiiSA_iiiSA_iiii, .Lfunc_end63-_ZL13mul_mat_vec_fIffLi5ELi256ELb0ELb0EEvPKT_PKfPKi31ggml_cuda_mm_fusion_args_devicePfi15HIP_vector_typeIjLj3EEiiiSA_iiiSA_iiii
                                        ; -- End function
	.set _ZL13mul_mat_vec_fIffLi5ELi256ELb0ELb0EEvPKT_PKfPKi31ggml_cuda_mm_fusion_args_devicePfi15HIP_vector_typeIjLj3EEiiiSA_iiiSA_iiii.num_vgpr, 24
	.set _ZL13mul_mat_vec_fIffLi5ELi256ELb0ELb0EEvPKT_PKfPKi31ggml_cuda_mm_fusion_args_devicePfi15HIP_vector_typeIjLj3EEiiiSA_iiiSA_iiii.num_agpr, 0
	.set _ZL13mul_mat_vec_fIffLi5ELi256ELb0ELb0EEvPKT_PKfPKi31ggml_cuda_mm_fusion_args_devicePfi15HIP_vector_typeIjLj3EEiiiSA_iiiSA_iiii.numbered_sgpr, 36
	.set _ZL13mul_mat_vec_fIffLi5ELi256ELb0ELb0EEvPKT_PKfPKi31ggml_cuda_mm_fusion_args_devicePfi15HIP_vector_typeIjLj3EEiiiSA_iiiSA_iiii.num_named_barrier, 0
	.set _ZL13mul_mat_vec_fIffLi5ELi256ELb0ELb0EEvPKT_PKfPKi31ggml_cuda_mm_fusion_args_devicePfi15HIP_vector_typeIjLj3EEiiiSA_iiiSA_iiii.private_seg_size, 0
	.set _ZL13mul_mat_vec_fIffLi5ELi256ELb0ELb0EEvPKT_PKfPKi31ggml_cuda_mm_fusion_args_devicePfi15HIP_vector_typeIjLj3EEiiiSA_iiiSA_iiii.uses_vcc, 1
	.set _ZL13mul_mat_vec_fIffLi5ELi256ELb0ELb0EEvPKT_PKfPKi31ggml_cuda_mm_fusion_args_devicePfi15HIP_vector_typeIjLj3EEiiiSA_iiiSA_iiii.uses_flat_scratch, 0
	.set _ZL13mul_mat_vec_fIffLi5ELi256ELb0ELb0EEvPKT_PKfPKi31ggml_cuda_mm_fusion_args_devicePfi15HIP_vector_typeIjLj3EEiiiSA_iiiSA_iiii.has_dyn_sized_stack, 0
	.set _ZL13mul_mat_vec_fIffLi5ELi256ELb0ELb0EEvPKT_PKfPKi31ggml_cuda_mm_fusion_args_devicePfi15HIP_vector_typeIjLj3EEiiiSA_iiiSA_iiii.has_recursion, 0
	.set _ZL13mul_mat_vec_fIffLi5ELi256ELb0ELb0EEvPKT_PKfPKi31ggml_cuda_mm_fusion_args_devicePfi15HIP_vector_typeIjLj3EEiiiSA_iiiSA_iiii.has_indirect_call, 0
	.section	.AMDGPU.csdata,"",@progbits
; Kernel info:
; codeLenInByte = 2212
; TotalNumSgprs: 38
; NumVgprs: 24
; ScratchSize: 0
; MemoryBound: 0
; FloatMode: 240
; IeeeMode: 1
; LDSByteSize: 0 bytes/workgroup (compile time only)
; SGPRBlocks: 0
; VGPRBlocks: 2
; NumSGPRsForWavesPerEU: 38
; NumVGPRsForWavesPerEU: 24
; Occupancy: 16
; WaveLimiterHint : 0
; COMPUTE_PGM_RSRC2:SCRATCH_EN: 0
; COMPUTE_PGM_RSRC2:USER_SGPR: 6
; COMPUTE_PGM_RSRC2:TRAP_HANDLER: 0
; COMPUTE_PGM_RSRC2:TGID_X_EN: 1
; COMPUTE_PGM_RSRC2:TGID_Y_EN: 1
; COMPUTE_PGM_RSRC2:TGID_Z_EN: 1
; COMPUTE_PGM_RSRC2:TIDIG_COMP_CNT: 0
	.section	.text._ZL13mul_mat_vec_fIffLi6ELi32ELb0ELb0EEvPKT_PKfPKi31ggml_cuda_mm_fusion_args_devicePfi15HIP_vector_typeIjLj3EEiiiSA_iiiSA_iiii,"axG",@progbits,_ZL13mul_mat_vec_fIffLi6ELi32ELb0ELb0EEvPKT_PKfPKi31ggml_cuda_mm_fusion_args_devicePfi15HIP_vector_typeIjLj3EEiiiSA_iiiSA_iiii,comdat
	.globl	_ZL13mul_mat_vec_fIffLi6ELi32ELb0ELb0EEvPKT_PKfPKi31ggml_cuda_mm_fusion_args_devicePfi15HIP_vector_typeIjLj3EEiiiSA_iiiSA_iiii ; -- Begin function _ZL13mul_mat_vec_fIffLi6ELi32ELb0ELb0EEvPKT_PKfPKi31ggml_cuda_mm_fusion_args_devicePfi15HIP_vector_typeIjLj3EEiiiSA_iiiSA_iiii
	.p2align	8
	.type	_ZL13mul_mat_vec_fIffLi6ELi32ELb0ELb0EEvPKT_PKfPKi31ggml_cuda_mm_fusion_args_devicePfi15HIP_vector_typeIjLj3EEiiiSA_iiiSA_iiii,@function
_ZL13mul_mat_vec_fIffLi6ELi32ELb0ELb0EEvPKT_PKfPKi31ggml_cuda_mm_fusion_args_devicePfi15HIP_vector_typeIjLj3EEiiiSA_iiiSA_iiii: ; @_ZL13mul_mat_vec_fIffLi6ELi32ELb0ELb0EEvPKT_PKfPKi31ggml_cuda_mm_fusion_args_devicePfi15HIP_vector_typeIjLj3EEiiiSA_iiiSA_iiii
; %bb.0:
	s_clause 0x2
	s_load_dwordx2 s[0:1], s[4:5], 0x10
	s_load_dwordx8 s[12:19], s[4:5], 0x40
	s_load_dwordx4 s[20:23], s[4:5], 0x80
	s_waitcnt lgkmcnt(0)
	s_cmp_eq_u64 s[0:1], 0
	s_cselect_b32 s9, -1, 0
	s_cmp_lg_u64 s[0:1], 0
	s_cselect_b32 s24, -1, 0
	s_and_b32 vcc_lo, exec_lo, s9
	s_cbranch_vccnz .LBB64_2
; %bb.1:
	s_mul_i32 s2, s23, s8
	s_mov_b32 s11, 0
	s_add_i32 s10, s2, s7
	s_lshl_b64 s[2:3], s[10:11], 2
	s_add_u32 s0, s0, s2
	s_addc_u32 s1, s1, s3
	s_load_dword s23, s[0:1], 0x0
	s_load_dwordx4 s[0:3], s[4:5], 0x68
	s_cbranch_execz .LBB64_3
	s_branch .LBB64_4
.LBB64_2:
                                        ; implicit-def: $sgpr23
	s_load_dwordx4 s[0:3], s[4:5], 0x68
.LBB64_3:
	s_load_dwordx2 s[10:11], s[4:5], 0x5c
	s_waitcnt lgkmcnt(0)
	s_mul_hi_u32 s10, s10, s7
	s_add_i32 s10, s7, s10
	s_lshr_b32 s23, s10, s11
.LBB64_4:
	s_load_dword s19, s[4:5], 0x78
	s_andn2_b32 vcc_lo, exec_lo, s24
	s_mov_b32 s24, s7
	s_cbranch_vccnz .LBB64_6
; %bb.5:
	s_mul_hi_u32 s10, s13, s7
	s_add_i32 s10, s7, s10
	s_lshr_b32 s10, s10, s14
	s_mul_i32 s10, s10, s15
	s_sub_i32 s24, s7, s10
.LBB64_6:
	v_mov_b32_e32 v6, 0
	v_mov_b32_e32 v7, 0
	;; [unrolled: 1-line block ×6, first 2 shown]
	s_and_b32 s9, exec_lo, s9
	s_mov_b32 s15, 0
	s_cselect_b32 s13, s8, 0
	s_mov_b32 s14, exec_lo
	v_cmpx_gt_i32_e64 s12, v0
	s_cbranch_execz .LBB64_10
; %bb.7:
	s_load_dwordx4 s[8:11], s[4:5], 0x0
	s_waitcnt lgkmcnt(0)
	s_mul_hi_u32 s3, s3, s13
	s_mul_hi_i32 s29, s21, s13
	s_mul_i32 s28, s21, s13
	s_mul_i32 s0, s23, s0
	;; [unrolled: 1-line block ×4, first 2 shown]
	s_add_i32 s3, s13, s3
	s_lshl_b64 s[28:29], s[28:29], 2
	s_ashr_i32 s1, s0, 31
	s_ashr_i32 s27, s26, 31
	;; [unrolled: 1-line block ×3, first 2 shown]
	s_lshr_b32 s3, s3, s19
	v_lshlrev_b32_e32 v1, 3, v0
	s_mul_hi_i32 s35, s3, s20
	s_mul_i32 s34, s3, s20
	s_mov_b32 s30, s17
	v_mov_b32_e32 v5, 0
	v_mov_b32_e32 v11, v0
	;; [unrolled: 1-line block ×3, first 2 shown]
	s_add_u32 s16, s10, s28
	s_addc_u32 s19, s11, s29
	s_lshl_b64 s[24:25], s[24:25], 2
	v_mov_b32_e32 v9, 0
	s_add_u32 s3, s16, s24
	s_addc_u32 s16, s19, s25
	s_lshl_b64 s[0:1], s[0:1], 2
	s_ashr_i32 s31, s17, 31
	s_add_i32 s19, s17, s17
	s_lshl_b32 s20, s17, 2
	s_lshl_b64 s[34:35], s[34:35], 2
	s_lshl_b64 s[26:27], s[26:27], 2
	s_add_u32 s0, s8, s0
	s_addc_u32 s1, s9, s1
	s_add_u32 s0, s0, s26
	s_addc_u32 s1, s1, s27
	;; [unrolled: 2-line block ×3, first 2 shown]
	v_add_co_u32 v2, s0, s0, v1
	v_add_co_ci_u32_e64 v3, null, s1, 0, s0
	s_lshl_b64 s[0:1], s[30:31], 3
	s_add_u32 s8, s10, s24
	s_addc_u32 s9, s11, s25
	s_add_u32 s8, s8, s28
	s_addc_u32 s9, s9, s29
	v_add_co_u32 v4, s8, s8, v1
	v_add_co_ci_u32_e64 v6, null, s9, 0, s8
	v_add_co_u32 v1, vcc_lo, v2, 4
	v_add_co_ci_u32_e64 v2, null, 0, v3, vcc_lo
	v_add_co_u32 v3, vcc_lo, v4, 4
	v_add_co_ci_u32_e64 v4, null, 0, v6, vcc_lo
	v_mov_b32_e32 v8, 0
	v_mov_b32_e32 v7, 0
	;; [unrolled: 1-line block ×3, first 2 shown]
	s_mul_i32 s8, s17, 3
	s_mul_i32 s9, s17, 5
.LBB64_8:                               ; =>This Inner Loop Header: Depth=1
	v_add_nc_u32_e32 v16, s19, v11
	v_add_nc_u32_e32 v20, s8, v11
	;; [unrolled: 1-line block ×4, first 2 shown]
	v_add_co_u32 v18, vcc_lo, v3, s0
	v_ashrrev_i32_e32 v17, 31, v16
	v_ashrrev_i32_e32 v21, 31, v20
	;; [unrolled: 1-line block ×4, first 2 shown]
	v_add_co_ci_u32_e64 v19, null, s1, v4, vcc_lo
	v_lshlrev_b64 v[16:17], 3, v[16:17]
	v_lshlrev_b64 v[20:21], 3, v[20:21]
	;; [unrolled: 1-line block ×4, first 2 shown]
	global_load_dwordx2 v[12:13], v[1:2], off offset:-4
	global_load_dwordx2 v[14:15], v[3:4], off offset:-4
	v_add_nc_u32_e32 v11, 32, v11
	v_add_co_u32 v16, vcc_lo, s3, v16
	v_add_co_ci_u32_e64 v17, null, s16, v17, vcc_lo
	v_add_co_u32 v20, vcc_lo, s3, v20
	v_add_co_ci_u32_e64 v21, null, s16, v21, vcc_lo
	;; [unrolled: 2-line block ×4, first 2 shown]
	global_load_dwordx2 v[18:19], v[18:19], off offset:-4
	s_clause 0x3
	global_load_dwordx2 v[16:17], v[16:17], off
	global_load_dwordx2 v[20:21], v[20:21], off
	;; [unrolled: 1-line block ×4, first 2 shown]
	v_add_co_u32 v1, vcc_lo, 0x100, v1
	v_add_co_ci_u32_e64 v2, null, 0, v2, vcc_lo
	v_add_co_u32 v3, vcc_lo, 0x100, v3
	v_add_co_ci_u32_e64 v4, null, 0, v4, vcc_lo
	v_cmp_le_i32_e32 vcc_lo, s12, v11
	s_or_b32 s15, vcc_lo, s15
	s_waitcnt vmcnt(5)
	v_fmac_f32_e32 v5, v12, v14
	v_fmac_f32_e32 v5, v13, v15
	s_waitcnt vmcnt(4)
	v_fmac_f32_e32 v10, v12, v18
	s_waitcnt vmcnt(3)
	;; [unrolled: 2-line block ×5, first 2 shown]
	v_fmac_f32_e32 v6, v12, v24
	v_fmac_f32_e32 v10, v13, v19
	;; [unrolled: 1-line block ×6, first 2 shown]
	s_andn2_b32 exec_lo, exec_lo, s15
	s_cbranch_execnz .LBB64_8
; %bb.9:
	s_or_b32 exec_lo, exec_lo, s15
.LBB64_10:
	s_or_b32 exec_lo, exec_lo, s14
	v_mbcnt_lo_u32_b32 v1, -1, 0
	s_waitcnt lgkmcnt(0)
	s_mov_b32 s0, exec_lo
	v_xor_b32_e32 v2, 16, v1
	v_xor_b32_e32 v14, 8, v1
	v_cmp_gt_i32_e32 vcc_lo, 32, v2
	v_cndmask_b32_e32 v2, v1, v2, vcc_lo
	v_cmp_gt_i32_e32 vcc_lo, 32, v14
	v_lshlrev_b32_e32 v2, 2, v2
	v_cndmask_b32_e32 v14, v1, v14, vcc_lo
	ds_bpermute_b32 v3, v2, v5
	ds_bpermute_b32 v4, v2, v10
	;; [unrolled: 1-line block ×6, first 2 shown]
	v_lshlrev_b32_e32 v14, 2, v14
	s_waitcnt lgkmcnt(5)
	v_add_f32_e32 v3, v5, v3
	s_waitcnt lgkmcnt(4)
	v_add_f32_e32 v4, v10, v4
	s_waitcnt lgkmcnt(3)
	v_add_f32_e32 v5, v9, v11
	s_waitcnt lgkmcnt(2)
	v_add_f32_e32 v8, v8, v12
	s_waitcnt lgkmcnt(1)
	v_add_f32_e32 v7, v7, v13
	s_waitcnt lgkmcnt(0)
	v_add_f32_e32 v2, v6, v2
	ds_bpermute_b32 v6, v14, v3
	ds_bpermute_b32 v9, v14, v4
	ds_bpermute_b32 v10, v14, v5
	ds_bpermute_b32 v11, v14, v8
	ds_bpermute_b32 v12, v14, v7
	ds_bpermute_b32 v13, v14, v2
	v_xor_b32_e32 v14, 4, v1
	v_cmp_gt_i32_e32 vcc_lo, 32, v14
	v_cndmask_b32_e32 v14, v1, v14, vcc_lo
	s_waitcnt lgkmcnt(5)
	v_add_f32_e32 v3, v3, v6
	v_lshlrev_b32_e32 v14, 2, v14
	s_waitcnt lgkmcnt(4)
	v_add_f32_e32 v4, v4, v9
	s_waitcnt lgkmcnt(3)
	v_add_f32_e32 v5, v5, v10
	s_waitcnt lgkmcnt(2)
	v_add_f32_e32 v6, v8, v11
	s_waitcnt lgkmcnt(1)
	v_add_f32_e32 v7, v7, v12
	s_waitcnt lgkmcnt(0)
	v_add_f32_e32 v2, v2, v13
	ds_bpermute_b32 v8, v14, v3
	ds_bpermute_b32 v9, v14, v4
	ds_bpermute_b32 v10, v14, v5
	ds_bpermute_b32 v11, v14, v6
	ds_bpermute_b32 v12, v14, v7
	ds_bpermute_b32 v13, v14, v2
	v_xor_b32_e32 v14, 2, v1
	v_cmp_gt_i32_e32 vcc_lo, 32, v14
	v_cndmask_b32_e32 v14, v1, v14, vcc_lo
	s_waitcnt lgkmcnt(5)
	v_add_f32_e32 v3, v3, v8
	v_lshlrev_b32_e32 v14, 2, v14
	s_waitcnt lgkmcnt(4)
	v_add_f32_e32 v4, v4, v9
	s_waitcnt lgkmcnt(3)
	v_add_f32_e32 v5, v5, v10
	s_waitcnt lgkmcnt(2)
	v_add_f32_e32 v6, v6, v11
	s_waitcnt lgkmcnt(1)
	v_add_f32_e32 v10, v7, v12
	s_waitcnt lgkmcnt(0)
	v_add_f32_e32 v2, v2, v13
	ds_bpermute_b32 v7, v14, v3
	ds_bpermute_b32 v8, v14, v4
	ds_bpermute_b32 v9, v14, v5
	ds_bpermute_b32 v11, v14, v6
	ds_bpermute_b32 v12, v14, v10
	ds_bpermute_b32 v13, v14, v2
	v_xor_b32_e32 v14, 1, v1
	v_cmp_gt_i32_e32 vcc_lo, 32, v14
	v_cndmask_b32_e32 v1, v1, v14, vcc_lo
	s_waitcnt lgkmcnt(5)
	v_add_f32_e32 v7, v3, v7
	v_lshlrev_b32_e32 v14, 2, v1
	s_waitcnt lgkmcnt(4)
	v_add_f32_e32 v8, v4, v8
	s_waitcnt lgkmcnt(3)
	v_add_f32_e32 v9, v5, v9
	s_waitcnt lgkmcnt(2)
	v_add_f32_e32 v3, v6, v11
	s_waitcnt lgkmcnt(1)
	v_add_f32_e32 v4, v10, v12
	s_waitcnt lgkmcnt(0)
	v_add_f32_e32 v1, v2, v13
	ds_bpermute_b32 v10, v14, v7
	ds_bpermute_b32 v11, v14, v8
	;; [unrolled: 1-line block ×6, first 2 shown]
	v_cmpx_gt_u32_e32 6, v0
	s_cbranch_execz .LBB64_12
; %bb.11:
	s_load_dwordx2 s[0:1], s[4:5], 0x38
	s_waitcnt lgkmcnt(0)
	v_add_f32_e32 v10, v7, v10
	v_add_f32_e32 v11, v8, v11
	v_cmp_eq_u32_e32 vcc_lo, 1, v0
	v_mad_u64_u32 v[7:8], null, s18, v0, s[6:7]
	v_add_f32_e32 v9, v9, v12
	v_add_f32_e32 v3, v3, v5
	v_cndmask_b32_e32 v8, v10, v11, vcc_lo
	v_cmp_eq_u32_e32 vcc_lo, 2, v0
	v_add_f32_e32 v4, v4, v6
	s_mul_hi_i32 s5, s22, s13
	s_mul_i32 s4, s22, s13
	s_mul_i32 s2, s2, s7
	v_cndmask_b32_e32 v5, v8, v9, vcc_lo
	v_cmp_eq_u32_e32 vcc_lo, 3, v0
	v_ashrrev_i32_e32 v8, 31, v7
	s_lshl_b64 s[4:5], s[4:5], 2
	s_ashr_i32 s3, s2, 31
	v_cndmask_b32_e32 v3, v5, v3, vcc_lo
	v_cmp_eq_u32_e32 vcc_lo, 4, v0
	v_add_f32_e32 v5, v1, v2
	v_lshlrev_b64 v[1:2], 2, v[7:8]
	s_add_u32 s4, s0, s4
	s_addc_u32 s5, s1, s5
	v_cndmask_b32_e32 v3, v3, v4, vcc_lo
	v_cmp_eq_u32_e32 vcc_lo, 5, v0
	s_lshl_b64 s[0:1], s[2:3], 2
	s_add_u32 s0, s4, s0
	s_addc_u32 s1, s5, s1
	v_cndmask_b32_e32 v3, v3, v5, vcc_lo
	v_add_co_u32 v0, vcc_lo, s0, v1
	v_add_co_ci_u32_e64 v1, null, s1, v2, vcc_lo
	global_store_dword v[0:1], v3, off
.LBB64_12:
	s_endpgm
	.section	.rodata,"a",@progbits
	.p2align	6, 0x0
	.amdhsa_kernel _ZL13mul_mat_vec_fIffLi6ELi32ELb0ELb0EEvPKT_PKfPKi31ggml_cuda_mm_fusion_args_devicePfi15HIP_vector_typeIjLj3EEiiiSA_iiiSA_iiii
		.amdhsa_group_segment_fixed_size 0
		.amdhsa_private_segment_fixed_size 0
		.amdhsa_kernarg_size 144
		.amdhsa_user_sgpr_count 6
		.amdhsa_user_sgpr_private_segment_buffer 1
		.amdhsa_user_sgpr_dispatch_ptr 0
		.amdhsa_user_sgpr_queue_ptr 0
		.amdhsa_user_sgpr_kernarg_segment_ptr 1
		.amdhsa_user_sgpr_dispatch_id 0
		.amdhsa_user_sgpr_flat_scratch_init 0
		.amdhsa_user_sgpr_private_segment_size 0
		.amdhsa_wavefront_size32 1
		.amdhsa_uses_dynamic_stack 0
		.amdhsa_system_sgpr_private_segment_wavefront_offset 0
		.amdhsa_system_sgpr_workgroup_id_x 1
		.amdhsa_system_sgpr_workgroup_id_y 1
		.amdhsa_system_sgpr_workgroup_id_z 1
		.amdhsa_system_sgpr_workgroup_info 0
		.amdhsa_system_vgpr_workitem_id 0
		.amdhsa_next_free_vgpr 26
		.amdhsa_next_free_sgpr 36
		.amdhsa_reserve_vcc 1
		.amdhsa_reserve_flat_scratch 0
		.amdhsa_float_round_mode_32 0
		.amdhsa_float_round_mode_16_64 0
		.amdhsa_float_denorm_mode_32 3
		.amdhsa_float_denorm_mode_16_64 3
		.amdhsa_dx10_clamp 1
		.amdhsa_ieee_mode 1
		.amdhsa_fp16_overflow 0
		.amdhsa_workgroup_processor_mode 1
		.amdhsa_memory_ordered 1
		.amdhsa_forward_progress 1
		.amdhsa_shared_vgpr_count 0
		.amdhsa_exception_fp_ieee_invalid_op 0
		.amdhsa_exception_fp_denorm_src 0
		.amdhsa_exception_fp_ieee_div_zero 0
		.amdhsa_exception_fp_ieee_overflow 0
		.amdhsa_exception_fp_ieee_underflow 0
		.amdhsa_exception_fp_ieee_inexact 0
		.amdhsa_exception_int_div_zero 0
	.end_amdhsa_kernel
	.section	.text._ZL13mul_mat_vec_fIffLi6ELi32ELb0ELb0EEvPKT_PKfPKi31ggml_cuda_mm_fusion_args_devicePfi15HIP_vector_typeIjLj3EEiiiSA_iiiSA_iiii,"axG",@progbits,_ZL13mul_mat_vec_fIffLi6ELi32ELb0ELb0EEvPKT_PKfPKi31ggml_cuda_mm_fusion_args_devicePfi15HIP_vector_typeIjLj3EEiiiSA_iiiSA_iiii,comdat
.Lfunc_end64:
	.size	_ZL13mul_mat_vec_fIffLi6ELi32ELb0ELb0EEvPKT_PKfPKi31ggml_cuda_mm_fusion_args_devicePfi15HIP_vector_typeIjLj3EEiiiSA_iiiSA_iiii, .Lfunc_end64-_ZL13mul_mat_vec_fIffLi6ELi32ELb0ELb0EEvPKT_PKfPKi31ggml_cuda_mm_fusion_args_devicePfi15HIP_vector_typeIjLj3EEiiiSA_iiiSA_iiii
                                        ; -- End function
	.set _ZL13mul_mat_vec_fIffLi6ELi32ELb0ELb0EEvPKT_PKfPKi31ggml_cuda_mm_fusion_args_devicePfi15HIP_vector_typeIjLj3EEiiiSA_iiiSA_iiii.num_vgpr, 26
	.set _ZL13mul_mat_vec_fIffLi6ELi32ELb0ELb0EEvPKT_PKfPKi31ggml_cuda_mm_fusion_args_devicePfi15HIP_vector_typeIjLj3EEiiiSA_iiiSA_iiii.num_agpr, 0
	.set _ZL13mul_mat_vec_fIffLi6ELi32ELb0ELb0EEvPKT_PKfPKi31ggml_cuda_mm_fusion_args_devicePfi15HIP_vector_typeIjLj3EEiiiSA_iiiSA_iiii.numbered_sgpr, 36
	.set _ZL13mul_mat_vec_fIffLi6ELi32ELb0ELb0EEvPKT_PKfPKi31ggml_cuda_mm_fusion_args_devicePfi15HIP_vector_typeIjLj3EEiiiSA_iiiSA_iiii.num_named_barrier, 0
	.set _ZL13mul_mat_vec_fIffLi6ELi32ELb0ELb0EEvPKT_PKfPKi31ggml_cuda_mm_fusion_args_devicePfi15HIP_vector_typeIjLj3EEiiiSA_iiiSA_iiii.private_seg_size, 0
	.set _ZL13mul_mat_vec_fIffLi6ELi32ELb0ELb0EEvPKT_PKfPKi31ggml_cuda_mm_fusion_args_devicePfi15HIP_vector_typeIjLj3EEiiiSA_iiiSA_iiii.uses_vcc, 1
	.set _ZL13mul_mat_vec_fIffLi6ELi32ELb0ELb0EEvPKT_PKfPKi31ggml_cuda_mm_fusion_args_devicePfi15HIP_vector_typeIjLj3EEiiiSA_iiiSA_iiii.uses_flat_scratch, 0
	.set _ZL13mul_mat_vec_fIffLi6ELi32ELb0ELb0EEvPKT_PKfPKi31ggml_cuda_mm_fusion_args_devicePfi15HIP_vector_typeIjLj3EEiiiSA_iiiSA_iiii.has_dyn_sized_stack, 0
	.set _ZL13mul_mat_vec_fIffLi6ELi32ELb0ELb0EEvPKT_PKfPKi31ggml_cuda_mm_fusion_args_devicePfi15HIP_vector_typeIjLj3EEiiiSA_iiiSA_iiii.has_recursion, 0
	.set _ZL13mul_mat_vec_fIffLi6ELi32ELb0ELb0EEvPKT_PKfPKi31ggml_cuda_mm_fusion_args_devicePfi15HIP_vector_typeIjLj3EEiiiSA_iiiSA_iiii.has_indirect_call, 0
	.section	.AMDGPU.csdata,"",@progbits
; Kernel info:
; codeLenInByte = 1536
; TotalNumSgprs: 38
; NumVgprs: 26
; ScratchSize: 0
; MemoryBound: 0
; FloatMode: 240
; IeeeMode: 1
; LDSByteSize: 0 bytes/workgroup (compile time only)
; SGPRBlocks: 0
; VGPRBlocks: 3
; NumSGPRsForWavesPerEU: 38
; NumVGPRsForWavesPerEU: 26
; Occupancy: 16
; WaveLimiterHint : 0
; COMPUTE_PGM_RSRC2:SCRATCH_EN: 0
; COMPUTE_PGM_RSRC2:USER_SGPR: 6
; COMPUTE_PGM_RSRC2:TRAP_HANDLER: 0
; COMPUTE_PGM_RSRC2:TGID_X_EN: 1
; COMPUTE_PGM_RSRC2:TGID_Y_EN: 1
; COMPUTE_PGM_RSRC2:TGID_Z_EN: 1
; COMPUTE_PGM_RSRC2:TIDIG_COMP_CNT: 0
	.section	.text._ZL13mul_mat_vec_fIffLi6ELi64ELb0ELb0EEvPKT_PKfPKi31ggml_cuda_mm_fusion_args_devicePfi15HIP_vector_typeIjLj3EEiiiSA_iiiSA_iiii,"axG",@progbits,_ZL13mul_mat_vec_fIffLi6ELi64ELb0ELb0EEvPKT_PKfPKi31ggml_cuda_mm_fusion_args_devicePfi15HIP_vector_typeIjLj3EEiiiSA_iiiSA_iiii,comdat
	.globl	_ZL13mul_mat_vec_fIffLi6ELi64ELb0ELb0EEvPKT_PKfPKi31ggml_cuda_mm_fusion_args_devicePfi15HIP_vector_typeIjLj3EEiiiSA_iiiSA_iiii ; -- Begin function _ZL13mul_mat_vec_fIffLi6ELi64ELb0ELb0EEvPKT_PKfPKi31ggml_cuda_mm_fusion_args_devicePfi15HIP_vector_typeIjLj3EEiiiSA_iiiSA_iiii
	.p2align	8
	.type	_ZL13mul_mat_vec_fIffLi6ELi64ELb0ELb0EEvPKT_PKfPKi31ggml_cuda_mm_fusion_args_devicePfi15HIP_vector_typeIjLj3EEiiiSA_iiiSA_iiii,@function
_ZL13mul_mat_vec_fIffLi6ELi64ELb0ELb0EEvPKT_PKfPKi31ggml_cuda_mm_fusion_args_devicePfi15HIP_vector_typeIjLj3EEiiiSA_iiiSA_iiii: ; @_ZL13mul_mat_vec_fIffLi6ELi64ELb0ELb0EEvPKT_PKfPKi31ggml_cuda_mm_fusion_args_devicePfi15HIP_vector_typeIjLj3EEiiiSA_iiiSA_iiii
; %bb.0:
	s_clause 0x2
	s_load_dwordx2 s[0:1], s[4:5], 0x10
	s_load_dwordx8 s[12:19], s[4:5], 0x40
	s_load_dwordx4 s[20:23], s[4:5], 0x80
	s_waitcnt lgkmcnt(0)
	s_cmp_eq_u64 s[0:1], 0
	s_cselect_b32 s10, -1, 0
	s_cmp_lg_u64 s[0:1], 0
	s_cselect_b32 s11, -1, 0
	s_and_b32 vcc_lo, exec_lo, s10
	s_cbranch_vccnz .LBB65_2
; %bb.1:
	s_mul_i32 s2, s23, s8
	s_mov_b32 s3, 0
	s_add_i32 s2, s2, s7
	s_lshl_b64 s[24:25], s[2:3], 2
	s_add_u32 s0, s0, s24
	s_addc_u32 s1, s1, s25
	s_load_dword s9, s[0:1], 0x0
	s_cbranch_execz .LBB65_3
	s_branch .LBB65_4
.LBB65_2:
                                        ; implicit-def: $sgpr9
.LBB65_3:
	s_load_dwordx2 s[0:1], s[4:5], 0x5c
	s_waitcnt lgkmcnt(0)
	s_mul_hi_u32 s0, s0, s7
	s_add_i32 s0, s7, s0
	s_lshr_b32 s9, s0, s1
.LBB65_4:
	s_load_dwordx4 s[24:27], s[4:5], 0x68
	s_andn2_b32 vcc_lo, exec_lo, s11
	s_mov_b32 s19, s7
	s_cbranch_vccnz .LBB65_6
; %bb.5:
	s_mul_hi_u32 s0, s13, s7
	s_add_i32 s0, s7, s0
	s_lshr_b32 s0, s0, s14
	s_mul_i32 s0, s0, s15
	s_sub_i32 s19, s7, s0
.LBB65_6:
	s_load_dword s14, s[4:5], 0x78
	v_cmp_gt_u32_e32 vcc_lo, 32, v0
	v_lshl_add_u32 v5, v0, 2, 0
	s_and_saveexec_b32 s0, vcc_lo
; %bb.7:
	v_mov_b32_e32 v1, 0
	ds_write_b32 v5, v1
; %bb.8:
	s_or_b32 exec_lo, exec_lo, s0
	v_mov_b32_e32 v6, 0
	v_mov_b32_e32 v7, 0
	;; [unrolled: 1-line block ×6, first 2 shown]
	s_and_b32 s0, exec_lo, s10
	s_mov_b32 s11, 0
	s_cselect_b32 s10, s8, 0
	s_mov_b32 s13, exec_lo
	s_waitcnt lgkmcnt(0)
	s_barrier
	buffer_gl0_inv
	v_cmpx_gt_i32_e64 s12, v0
	s_cbranch_execz .LBB65_12
; %bb.9:
	s_load_dwordx4 s[0:3], s[4:5], 0x0
	s_mul_hi_u32 s15, s27, s10
	s_mul_hi_i32 s29, s21, s10
	s_mul_i32 s28, s21, s10
	s_mul_i32 s8, s9, s24
	;; [unrolled: 1-line block ×4, first 2 shown]
	s_add_i32 s15, s10, s15
	s_lshl_b64 s[28:29], s[28:29], 2
	s_ashr_i32 s9, s8, 31
	s_ashr_i32 s25, s24, 31
	;; [unrolled: 1-line block ×3, first 2 shown]
	s_lshr_b32 s14, s15, s14
	v_lshlrev_b32_e32 v1, 3, v0
	s_mul_hi_i32 s21, s14, s20
	s_mul_i32 s20, s14, s20
	s_mov_b32 s34, s17
	v_mov_b32_e32 v11, 0
	v_mov_b32_e32 v12, v0
	;; [unrolled: 1-line block ×3, first 2 shown]
	s_waitcnt lgkmcnt(0)
	s_add_u32 s15, s2, s28
	s_addc_u32 s16, s3, s29
	s_lshl_b64 s[30:31], s[30:31], 2
	v_mov_b32_e32 v9, 0
	s_add_u32 s14, s15, s30
	s_addc_u32 s15, s16, s31
	s_lshl_b64 s[8:9], s[8:9], 2
	s_ashr_i32 s35, s17, 31
	s_add_i32 s16, s17, s17
	s_lshl_b32 s19, s17, 2
	s_lshl_b64 s[20:21], s[20:21], 2
	s_lshl_b64 s[24:25], s[24:25], 2
	s_add_u32 s0, s0, s8
	s_addc_u32 s1, s1, s9
	s_add_u32 s0, s0, s24
	s_addc_u32 s1, s1, s25
	;; [unrolled: 2-line block ×3, first 2 shown]
	v_add_co_u32 v2, s0, s0, v1
	s_lshl_b64 s[8:9], s[34:35], 3
	v_add_co_ci_u32_e64 v3, null, s1, 0, s0
	s_add_u32 s0, s2, s30
	s_addc_u32 s1, s3, s31
	s_add_u32 s0, s0, s28
	s_addc_u32 s1, s1, s29
	v_add_co_u32 v4, s0, s0, v1
	v_add_co_ci_u32_e64 v6, null, s1, 0, s0
	v_add_co_u32 v1, s0, v2, 4
	v_add_co_ci_u32_e64 v2, null, 0, v3, s0
	;; [unrolled: 2-line block ×3, first 2 shown]
	v_mov_b32_e32 v8, 0
	v_mov_b32_e32 v7, 0
	;; [unrolled: 1-line block ×3, first 2 shown]
	s_mul_i32 s1, s17, 3
	s_mul_i32 s2, s17, 5
.LBB65_10:                              ; =>This Inner Loop Header: Depth=1
	v_add_nc_u32_e32 v17, s16, v12
	v_add_nc_u32_e32 v21, s1, v12
	;; [unrolled: 1-line block ×4, first 2 shown]
	v_add_co_u32 v19, s0, v3, s8
	v_ashrrev_i32_e32 v18, 31, v17
	v_ashrrev_i32_e32 v22, 31, v21
	;; [unrolled: 1-line block ×4, first 2 shown]
	v_add_co_ci_u32_e64 v20, null, s9, v4, s0
	v_lshlrev_b64 v[17:18], 3, v[17:18]
	v_lshlrev_b64 v[21:22], 3, v[21:22]
	;; [unrolled: 1-line block ×4, first 2 shown]
	global_load_dwordx2 v[13:14], v[1:2], off offset:-4
	global_load_dwordx2 v[15:16], v[3:4], off offset:-4
	v_add_nc_u32_e32 v12, 64, v12
	v_add_co_u32 v17, s0, s14, v17
	v_add_co_ci_u32_e64 v18, null, s15, v18, s0
	v_add_co_u32 v21, s0, s14, v21
	v_add_co_ci_u32_e64 v22, null, s15, v22, s0
	;; [unrolled: 2-line block ×4, first 2 shown]
	global_load_dwordx2 v[19:20], v[19:20], off offset:-4
	s_clause 0x3
	global_load_dwordx2 v[17:18], v[17:18], off
	global_load_dwordx2 v[21:22], v[21:22], off
	;; [unrolled: 1-line block ×4, first 2 shown]
	v_add_co_u32 v1, s0, 0x200, v1
	v_add_co_ci_u32_e64 v2, null, 0, v2, s0
	v_add_co_u32 v3, s0, 0x200, v3
	v_add_co_ci_u32_e64 v4, null, 0, v4, s0
	v_cmp_le_i32_e64 s0, s12, v12
	s_or_b32 s11, s0, s11
	s_waitcnt vmcnt(5)
	v_fmac_f32_e32 v11, v13, v15
	v_fmac_f32_e32 v11, v14, v16
	s_waitcnt vmcnt(4)
	v_fmac_f32_e32 v10, v13, v19
	s_waitcnt vmcnt(3)
	;; [unrolled: 2-line block ×5, first 2 shown]
	v_fmac_f32_e32 v6, v13, v25
	v_fmac_f32_e32 v10, v14, v20
	;; [unrolled: 1-line block ×6, first 2 shown]
	s_andn2_b32 exec_lo, exec_lo, s11
	s_cbranch_execnz .LBB65_10
; %bb.11:
	s_or_b32 exec_lo, exec_lo, s11
.LBB65_12:
	s_or_b32 exec_lo, exec_lo, s13
	v_mbcnt_lo_u32_b32 v2, -1, 0
	v_xor_b32_e32 v1, 16, v2
	v_xor_b32_e32 v3, 8, v2
	v_cmp_gt_i32_e64 s0, 32, v1
	v_cndmask_b32_e64 v1, v2, v1, s0
	v_cmp_gt_i32_e64 s0, 32, v3
	v_lshlrev_b32_e32 v1, 2, v1
	v_cndmask_b32_e64 v3, v2, v3, s0
	ds_bpermute_b32 v4, v1, v11
	v_lshlrev_b32_e32 v3, 2, v3
	s_waitcnt lgkmcnt(0)
	v_add_f32_e32 v11, v11, v4
	v_xor_b32_e32 v4, 4, v2
	ds_bpermute_b32 v12, v3, v11
	v_cmp_gt_i32_e64 s0, 32, v4
	v_cndmask_b32_e64 v4, v2, v4, s0
	v_lshlrev_b32_e32 v4, 2, v4
	s_waitcnt lgkmcnt(0)
	v_add_f32_e32 v12, v11, v12
	v_xor_b32_e32 v11, 2, v2
	ds_bpermute_b32 v13, v4, v12
	v_cmp_gt_i32_e64 s0, 32, v11
	v_cndmask_b32_e64 v11, v2, v11, s0
	;; [unrolled: 7-line block ×3, first 2 shown]
	v_lshlrev_b32_e32 v12, 2, v2
	s_waitcnt lgkmcnt(0)
	v_add_f32_e32 v2, v13, v14
	v_lshrrev_b32_e32 v13, 3, v0
	ds_bpermute_b32 v14, v12, v2
	v_and_b32_e32 v13, 0x7c, v13
	v_add_nc_u32_e32 v13, 0, v13
	s_waitcnt lgkmcnt(0)
	v_add_f32_e32 v2, v2, v14
	ds_write_b32 v13, v2
	s_waitcnt lgkmcnt(0)
	s_barrier
	buffer_gl0_inv
	s_and_saveexec_b32 s0, vcc_lo
	s_cbranch_execz .LBB65_14
; %bb.13:
	ds_read_b32 v2, v5
	s_waitcnt lgkmcnt(0)
	ds_bpermute_b32 v14, v1, v2
	s_waitcnt lgkmcnt(0)
	v_add_f32_e32 v2, v2, v14
	ds_bpermute_b32 v14, v3, v2
	s_waitcnt lgkmcnt(0)
	v_add_f32_e32 v2, v2, v14
	ds_bpermute_b32 v14, v4, v2
	s_waitcnt lgkmcnt(0)
	v_add_f32_e32 v2, v2, v14
	ds_bpermute_b32 v14, v11, v2
	s_waitcnt lgkmcnt(0)
	v_add_f32_e32 v2, v2, v14
	ds_bpermute_b32 v14, v12, v2
	s_waitcnt lgkmcnt(0)
	v_add_f32_e32 v2, v2, v14
.LBB65_14:
	s_or_b32 exec_lo, exec_lo, s0
	ds_bpermute_b32 v14, v1, v10
	s_waitcnt lgkmcnt(0)
	s_barrier
	buffer_gl0_inv
	v_add_f32_e32 v10, v10, v14
	ds_bpermute_b32 v14, v3, v10
	s_waitcnt lgkmcnt(0)
	v_add_f32_e32 v10, v10, v14
	ds_bpermute_b32 v14, v4, v10
	s_waitcnt lgkmcnt(0)
	v_add_f32_e32 v10, v10, v14
	ds_bpermute_b32 v14, v11, v10
	s_waitcnt lgkmcnt(0)
	v_add_f32_e32 v10, v10, v14
	ds_bpermute_b32 v14, v12, v10
	s_waitcnt lgkmcnt(0)
	v_add_f32_e32 v10, v10, v14
	ds_write_b32 v13, v10
	s_waitcnt lgkmcnt(0)
	s_barrier
	buffer_gl0_inv
	s_and_saveexec_b32 s0, vcc_lo
	s_cbranch_execz .LBB65_16
; %bb.15:
	ds_read_b32 v10, v5
	s_waitcnt lgkmcnt(0)
	ds_bpermute_b32 v14, v1, v10
	s_waitcnt lgkmcnt(0)
	v_add_f32_e32 v10, v10, v14
	ds_bpermute_b32 v14, v3, v10
	s_waitcnt lgkmcnt(0)
	v_add_f32_e32 v10, v10, v14
	ds_bpermute_b32 v14, v4, v10
	s_waitcnt lgkmcnt(0)
	v_add_f32_e32 v10, v10, v14
	ds_bpermute_b32 v14, v11, v10
	s_waitcnt lgkmcnt(0)
	v_add_f32_e32 v10, v10, v14
	ds_bpermute_b32 v14, v12, v10
	s_waitcnt lgkmcnt(0)
	v_add_f32_e32 v10, v10, v14
.LBB65_16:
	s_or_b32 exec_lo, exec_lo, s0
	ds_bpermute_b32 v14, v1, v9
	s_waitcnt lgkmcnt(0)
	s_barrier
	buffer_gl0_inv
	v_add_f32_e32 v9, v9, v14
	ds_bpermute_b32 v14, v3, v9
	s_waitcnt lgkmcnt(0)
	v_add_f32_e32 v9, v9, v14
	ds_bpermute_b32 v14, v4, v9
	s_waitcnt lgkmcnt(0)
	v_add_f32_e32 v9, v9, v14
	ds_bpermute_b32 v14, v11, v9
	s_waitcnt lgkmcnt(0)
	v_add_f32_e32 v9, v9, v14
	ds_bpermute_b32 v14, v12, v9
	;; [unrolled: 43-line block ×5, first 2 shown]
	s_waitcnt lgkmcnt(0)
	v_add_f32_e32 v6, v6, v14
	ds_write_b32 v13, v6
	s_waitcnt lgkmcnt(0)
	s_barrier
	buffer_gl0_inv
	s_and_saveexec_b32 s0, vcc_lo
	s_cbranch_execz .LBB65_24
; %bb.23:
	ds_read_b32 v5, v5
	s_waitcnt lgkmcnt(0)
	ds_bpermute_b32 v1, v1, v5
	s_waitcnt lgkmcnt(0)
	v_add_f32_e32 v1, v5, v1
	ds_bpermute_b32 v3, v3, v1
	s_waitcnt lgkmcnt(0)
	v_add_f32_e32 v1, v1, v3
	;; [unrolled: 3-line block ×5, first 2 shown]
.LBB65_24:
	s_or_b32 exec_lo, exec_lo, s0
	s_barrier
	buffer_gl0_inv
	s_mov_b32 s0, exec_lo
	v_cmpx_gt_u32_e32 6, v0
	s_cbranch_execz .LBB65_26
; %bb.25:
	s_load_dwordx2 s[0:1], s[4:5], 0x38
	v_cmp_eq_u32_e32 vcc_lo, 1, v0
	s_mul_hi_i32 s3, s22, s10
	s_mul_i32 s2, s22, s10
	s_mul_i32 s4, s26, s7
	s_lshl_b64 s[2:3], s[2:3], 2
	v_cndmask_b32_e32 v3, v2, v10, vcc_lo
	v_cmp_eq_u32_e32 vcc_lo, 2, v0
	v_mad_u64_u32 v[1:2], null, s18, v0, s[6:7]
	s_ashr_i32 s5, s4, 31
	v_cndmask_b32_e32 v3, v3, v9, vcc_lo
	v_cmp_eq_u32_e32 vcc_lo, 3, v0
	v_ashrrev_i32_e32 v2, 31, v1
	v_cndmask_b32_e32 v3, v3, v8, vcc_lo
	v_cmp_eq_u32_e32 vcc_lo, 4, v0
	s_waitcnt lgkmcnt(0)
	s_add_u32 s2, s0, s2
	v_lshlrev_b64 v[1:2], 2, v[1:2]
	s_addc_u32 s3, s1, s3
	s_lshl_b64 s[0:1], s[4:5], 2
	v_cndmask_b32_e32 v3, v3, v7, vcc_lo
	v_cmp_eq_u32_e32 vcc_lo, 5, v0
	s_add_u32 s0, s2, s0
	s_addc_u32 s1, s3, s1
	v_cndmask_b32_e32 v3, v3, v6, vcc_lo
	v_add_co_u32 v0, vcc_lo, s0, v1
	v_add_co_ci_u32_e64 v1, null, s1, v2, vcc_lo
	global_store_dword v[0:1], v3, off
.LBB65_26:
	s_endpgm
	.section	.rodata,"a",@progbits
	.p2align	6, 0x0
	.amdhsa_kernel _ZL13mul_mat_vec_fIffLi6ELi64ELb0ELb0EEvPKT_PKfPKi31ggml_cuda_mm_fusion_args_devicePfi15HIP_vector_typeIjLj3EEiiiSA_iiiSA_iiii
		.amdhsa_group_segment_fixed_size 0
		.amdhsa_private_segment_fixed_size 0
		.amdhsa_kernarg_size 144
		.amdhsa_user_sgpr_count 6
		.amdhsa_user_sgpr_private_segment_buffer 1
		.amdhsa_user_sgpr_dispatch_ptr 0
		.amdhsa_user_sgpr_queue_ptr 0
		.amdhsa_user_sgpr_kernarg_segment_ptr 1
		.amdhsa_user_sgpr_dispatch_id 0
		.amdhsa_user_sgpr_flat_scratch_init 0
		.amdhsa_user_sgpr_private_segment_size 0
		.amdhsa_wavefront_size32 1
		.amdhsa_uses_dynamic_stack 0
		.amdhsa_system_sgpr_private_segment_wavefront_offset 0
		.amdhsa_system_sgpr_workgroup_id_x 1
		.amdhsa_system_sgpr_workgroup_id_y 1
		.amdhsa_system_sgpr_workgroup_id_z 1
		.amdhsa_system_sgpr_workgroup_info 0
		.amdhsa_system_vgpr_workitem_id 0
		.amdhsa_next_free_vgpr 27
		.amdhsa_next_free_sgpr 36
		.amdhsa_reserve_vcc 1
		.amdhsa_reserve_flat_scratch 0
		.amdhsa_float_round_mode_32 0
		.amdhsa_float_round_mode_16_64 0
		.amdhsa_float_denorm_mode_32 3
		.amdhsa_float_denorm_mode_16_64 3
		.amdhsa_dx10_clamp 1
		.amdhsa_ieee_mode 1
		.amdhsa_fp16_overflow 0
		.amdhsa_workgroup_processor_mode 1
		.amdhsa_memory_ordered 1
		.amdhsa_forward_progress 1
		.amdhsa_shared_vgpr_count 0
		.amdhsa_exception_fp_ieee_invalid_op 0
		.amdhsa_exception_fp_denorm_src 0
		.amdhsa_exception_fp_ieee_div_zero 0
		.amdhsa_exception_fp_ieee_overflow 0
		.amdhsa_exception_fp_ieee_underflow 0
		.amdhsa_exception_fp_ieee_inexact 0
		.amdhsa_exception_int_div_zero 0
	.end_amdhsa_kernel
	.section	.text._ZL13mul_mat_vec_fIffLi6ELi64ELb0ELb0EEvPKT_PKfPKi31ggml_cuda_mm_fusion_args_devicePfi15HIP_vector_typeIjLj3EEiiiSA_iiiSA_iiii,"axG",@progbits,_ZL13mul_mat_vec_fIffLi6ELi64ELb0ELb0EEvPKT_PKfPKi31ggml_cuda_mm_fusion_args_devicePfi15HIP_vector_typeIjLj3EEiiiSA_iiiSA_iiii,comdat
.Lfunc_end65:
	.size	_ZL13mul_mat_vec_fIffLi6ELi64ELb0ELb0EEvPKT_PKfPKi31ggml_cuda_mm_fusion_args_devicePfi15HIP_vector_typeIjLj3EEiiiSA_iiiSA_iiii, .Lfunc_end65-_ZL13mul_mat_vec_fIffLi6ELi64ELb0ELb0EEvPKT_PKfPKi31ggml_cuda_mm_fusion_args_devicePfi15HIP_vector_typeIjLj3EEiiiSA_iiiSA_iiii
                                        ; -- End function
	.set _ZL13mul_mat_vec_fIffLi6ELi64ELb0ELb0EEvPKT_PKfPKi31ggml_cuda_mm_fusion_args_devicePfi15HIP_vector_typeIjLj3EEiiiSA_iiiSA_iiii.num_vgpr, 27
	.set _ZL13mul_mat_vec_fIffLi6ELi64ELb0ELb0EEvPKT_PKfPKi31ggml_cuda_mm_fusion_args_devicePfi15HIP_vector_typeIjLj3EEiiiSA_iiiSA_iiii.num_agpr, 0
	.set _ZL13mul_mat_vec_fIffLi6ELi64ELb0ELb0EEvPKT_PKfPKi31ggml_cuda_mm_fusion_args_devicePfi15HIP_vector_typeIjLj3EEiiiSA_iiiSA_iiii.numbered_sgpr, 36
	.set _ZL13mul_mat_vec_fIffLi6ELi64ELb0ELb0EEvPKT_PKfPKi31ggml_cuda_mm_fusion_args_devicePfi15HIP_vector_typeIjLj3EEiiiSA_iiiSA_iiii.num_named_barrier, 0
	.set _ZL13mul_mat_vec_fIffLi6ELi64ELb0ELb0EEvPKT_PKfPKi31ggml_cuda_mm_fusion_args_devicePfi15HIP_vector_typeIjLj3EEiiiSA_iiiSA_iiii.private_seg_size, 0
	.set _ZL13mul_mat_vec_fIffLi6ELi64ELb0ELb0EEvPKT_PKfPKi31ggml_cuda_mm_fusion_args_devicePfi15HIP_vector_typeIjLj3EEiiiSA_iiiSA_iiii.uses_vcc, 1
	.set _ZL13mul_mat_vec_fIffLi6ELi64ELb0ELb0EEvPKT_PKfPKi31ggml_cuda_mm_fusion_args_devicePfi15HIP_vector_typeIjLj3EEiiiSA_iiiSA_iiii.uses_flat_scratch, 0
	.set _ZL13mul_mat_vec_fIffLi6ELi64ELb0ELb0EEvPKT_PKfPKi31ggml_cuda_mm_fusion_args_devicePfi15HIP_vector_typeIjLj3EEiiiSA_iiiSA_iiii.has_dyn_sized_stack, 0
	.set _ZL13mul_mat_vec_fIffLi6ELi64ELb0ELb0EEvPKT_PKfPKi31ggml_cuda_mm_fusion_args_devicePfi15HIP_vector_typeIjLj3EEiiiSA_iiiSA_iiii.has_recursion, 0
	.set _ZL13mul_mat_vec_fIffLi6ELi64ELb0ELb0EEvPKT_PKfPKi31ggml_cuda_mm_fusion_args_devicePfi15HIP_vector_typeIjLj3EEiiiSA_iiiSA_iiii.has_indirect_call, 0
	.section	.AMDGPU.csdata,"",@progbits
; Kernel info:
; codeLenInByte = 2496
; TotalNumSgprs: 38
; NumVgprs: 27
; ScratchSize: 0
; MemoryBound: 0
; FloatMode: 240
; IeeeMode: 1
; LDSByteSize: 0 bytes/workgroup (compile time only)
; SGPRBlocks: 0
; VGPRBlocks: 3
; NumSGPRsForWavesPerEU: 38
; NumVGPRsForWavesPerEU: 27
; Occupancy: 16
; WaveLimiterHint : 0
; COMPUTE_PGM_RSRC2:SCRATCH_EN: 0
; COMPUTE_PGM_RSRC2:USER_SGPR: 6
; COMPUTE_PGM_RSRC2:TRAP_HANDLER: 0
; COMPUTE_PGM_RSRC2:TGID_X_EN: 1
; COMPUTE_PGM_RSRC2:TGID_Y_EN: 1
; COMPUTE_PGM_RSRC2:TGID_Z_EN: 1
; COMPUTE_PGM_RSRC2:TIDIG_COMP_CNT: 0
	.section	.text._ZL13mul_mat_vec_fIffLi6ELi96ELb0ELb0EEvPKT_PKfPKi31ggml_cuda_mm_fusion_args_devicePfi15HIP_vector_typeIjLj3EEiiiSA_iiiSA_iiii,"axG",@progbits,_ZL13mul_mat_vec_fIffLi6ELi96ELb0ELb0EEvPKT_PKfPKi31ggml_cuda_mm_fusion_args_devicePfi15HIP_vector_typeIjLj3EEiiiSA_iiiSA_iiii,comdat
	.globl	_ZL13mul_mat_vec_fIffLi6ELi96ELb0ELb0EEvPKT_PKfPKi31ggml_cuda_mm_fusion_args_devicePfi15HIP_vector_typeIjLj3EEiiiSA_iiiSA_iiii ; -- Begin function _ZL13mul_mat_vec_fIffLi6ELi96ELb0ELb0EEvPKT_PKfPKi31ggml_cuda_mm_fusion_args_devicePfi15HIP_vector_typeIjLj3EEiiiSA_iiiSA_iiii
	.p2align	8
	.type	_ZL13mul_mat_vec_fIffLi6ELi96ELb0ELb0EEvPKT_PKfPKi31ggml_cuda_mm_fusion_args_devicePfi15HIP_vector_typeIjLj3EEiiiSA_iiiSA_iiii,@function
_ZL13mul_mat_vec_fIffLi6ELi96ELb0ELb0EEvPKT_PKfPKi31ggml_cuda_mm_fusion_args_devicePfi15HIP_vector_typeIjLj3EEiiiSA_iiiSA_iiii: ; @_ZL13mul_mat_vec_fIffLi6ELi96ELb0ELb0EEvPKT_PKfPKi31ggml_cuda_mm_fusion_args_devicePfi15HIP_vector_typeIjLj3EEiiiSA_iiiSA_iiii
; %bb.0:
	s_clause 0x2
	s_load_dwordx2 s[0:1], s[4:5], 0x10
	s_load_dwordx8 s[12:19], s[4:5], 0x40
	s_load_dwordx4 s[20:23], s[4:5], 0x80
	s_waitcnt lgkmcnt(0)
	s_cmp_eq_u64 s[0:1], 0
	s_cselect_b32 s10, -1, 0
	s_cmp_lg_u64 s[0:1], 0
	s_cselect_b32 s11, -1, 0
	s_and_b32 vcc_lo, exec_lo, s10
	s_cbranch_vccnz .LBB66_2
; %bb.1:
	s_mul_i32 s2, s23, s8
	s_mov_b32 s3, 0
	s_add_i32 s2, s2, s7
	s_lshl_b64 s[24:25], s[2:3], 2
	s_add_u32 s0, s0, s24
	s_addc_u32 s1, s1, s25
	s_load_dword s9, s[0:1], 0x0
	s_cbranch_execz .LBB66_3
	s_branch .LBB66_4
.LBB66_2:
                                        ; implicit-def: $sgpr9
.LBB66_3:
	s_load_dwordx2 s[0:1], s[4:5], 0x5c
	s_waitcnt lgkmcnt(0)
	s_mul_hi_u32 s0, s0, s7
	s_add_i32 s0, s7, s0
	s_lshr_b32 s9, s0, s1
.LBB66_4:
	s_load_dwordx4 s[24:27], s[4:5], 0x68
	s_andn2_b32 vcc_lo, exec_lo, s11
	s_mov_b32 s19, s7
	s_cbranch_vccnz .LBB66_6
; %bb.5:
	s_mul_hi_u32 s0, s13, s7
	s_add_i32 s0, s7, s0
	s_lshr_b32 s0, s0, s14
	s_mul_i32 s0, s0, s15
	s_sub_i32 s19, s7, s0
.LBB66_6:
	s_load_dword s14, s[4:5], 0x78
	v_cmp_gt_u32_e32 vcc_lo, 32, v0
	v_lshl_add_u32 v5, v0, 2, 0
	s_and_saveexec_b32 s0, vcc_lo
; %bb.7:
	v_mov_b32_e32 v1, 0
	ds_write_b32 v5, v1
; %bb.8:
	s_or_b32 exec_lo, exec_lo, s0
	v_mov_b32_e32 v6, 0
	v_mov_b32_e32 v7, 0
	;; [unrolled: 1-line block ×6, first 2 shown]
	s_and_b32 s0, exec_lo, s10
	s_mov_b32 s11, 0
	s_cselect_b32 s10, s8, 0
	s_mov_b32 s13, exec_lo
	s_waitcnt lgkmcnt(0)
	s_barrier
	buffer_gl0_inv
	v_cmpx_gt_i32_e64 s12, v0
	s_cbranch_execz .LBB66_12
; %bb.9:
	s_load_dwordx4 s[0:3], s[4:5], 0x0
	s_mul_hi_u32 s15, s27, s10
	s_mul_hi_i32 s29, s21, s10
	s_mul_i32 s28, s21, s10
	s_mul_i32 s8, s9, s24
	;; [unrolled: 1-line block ×4, first 2 shown]
	s_add_i32 s15, s10, s15
	s_lshl_b64 s[28:29], s[28:29], 2
	s_ashr_i32 s9, s8, 31
	s_ashr_i32 s25, s24, 31
	;; [unrolled: 1-line block ×3, first 2 shown]
	s_lshr_b32 s14, s15, s14
	v_lshlrev_b32_e32 v1, 3, v0
	s_mul_hi_i32 s21, s14, s20
	s_mul_i32 s20, s14, s20
	s_mov_b32 s34, s17
	v_mov_b32_e32 v11, 0
	v_mov_b32_e32 v12, v0
	;; [unrolled: 1-line block ×3, first 2 shown]
	s_waitcnt lgkmcnt(0)
	s_add_u32 s15, s2, s28
	s_addc_u32 s16, s3, s29
	s_lshl_b64 s[30:31], s[30:31], 2
	v_mov_b32_e32 v9, 0
	s_add_u32 s14, s15, s30
	s_addc_u32 s15, s16, s31
	s_lshl_b64 s[8:9], s[8:9], 2
	s_ashr_i32 s35, s17, 31
	s_add_i32 s16, s17, s17
	s_lshl_b32 s19, s17, 2
	s_lshl_b64 s[20:21], s[20:21], 2
	s_lshl_b64 s[24:25], s[24:25], 2
	s_add_u32 s0, s0, s8
	s_addc_u32 s1, s1, s9
	s_add_u32 s0, s0, s24
	s_addc_u32 s1, s1, s25
	;; [unrolled: 2-line block ×3, first 2 shown]
	v_add_co_u32 v2, s0, s0, v1
	s_lshl_b64 s[8:9], s[34:35], 3
	v_add_co_ci_u32_e64 v3, null, s1, 0, s0
	s_add_u32 s0, s2, s30
	s_addc_u32 s1, s3, s31
	s_add_u32 s0, s0, s28
	s_addc_u32 s1, s1, s29
	v_add_co_u32 v4, s0, s0, v1
	v_add_co_ci_u32_e64 v6, null, s1, 0, s0
	v_add_co_u32 v1, s0, v2, 4
	v_add_co_ci_u32_e64 v2, null, 0, v3, s0
	;; [unrolled: 2-line block ×3, first 2 shown]
	v_mov_b32_e32 v8, 0
	v_mov_b32_e32 v7, 0
	;; [unrolled: 1-line block ×3, first 2 shown]
	s_mul_i32 s1, s17, 3
	s_mul_i32 s2, s17, 5
.LBB66_10:                              ; =>This Inner Loop Header: Depth=1
	v_add_nc_u32_e32 v17, s16, v12
	v_add_nc_u32_e32 v21, s1, v12
	;; [unrolled: 1-line block ×4, first 2 shown]
	v_add_co_u32 v19, s0, v3, s8
	v_ashrrev_i32_e32 v18, 31, v17
	v_ashrrev_i32_e32 v22, 31, v21
	;; [unrolled: 1-line block ×4, first 2 shown]
	v_add_co_ci_u32_e64 v20, null, s9, v4, s0
	v_lshlrev_b64 v[17:18], 3, v[17:18]
	v_lshlrev_b64 v[21:22], 3, v[21:22]
	;; [unrolled: 1-line block ×4, first 2 shown]
	global_load_dwordx2 v[13:14], v[1:2], off offset:-4
	global_load_dwordx2 v[15:16], v[3:4], off offset:-4
	v_add_nc_u32_e32 v12, 0x60, v12
	v_add_co_u32 v17, s0, s14, v17
	v_add_co_ci_u32_e64 v18, null, s15, v18, s0
	v_add_co_u32 v21, s0, s14, v21
	v_add_co_ci_u32_e64 v22, null, s15, v22, s0
	;; [unrolled: 2-line block ×4, first 2 shown]
	global_load_dwordx2 v[19:20], v[19:20], off offset:-4
	s_clause 0x3
	global_load_dwordx2 v[17:18], v[17:18], off
	global_load_dwordx2 v[21:22], v[21:22], off
	global_load_dwordx2 v[23:24], v[23:24], off
	global_load_dwordx2 v[25:26], v[25:26], off
	v_add_co_u32 v1, s0, 0x300, v1
	v_add_co_ci_u32_e64 v2, null, 0, v2, s0
	v_add_co_u32 v3, s0, 0x300, v3
	v_add_co_ci_u32_e64 v4, null, 0, v4, s0
	v_cmp_le_i32_e64 s0, s12, v12
	s_or_b32 s11, s0, s11
	s_waitcnt vmcnt(5)
	v_fmac_f32_e32 v11, v13, v15
	v_fmac_f32_e32 v11, v14, v16
	s_waitcnt vmcnt(4)
	v_fmac_f32_e32 v10, v13, v19
	s_waitcnt vmcnt(3)
	;; [unrolled: 2-line block ×5, first 2 shown]
	v_fmac_f32_e32 v6, v13, v25
	v_fmac_f32_e32 v10, v14, v20
	;; [unrolled: 1-line block ×6, first 2 shown]
	s_andn2_b32 exec_lo, exec_lo, s11
	s_cbranch_execnz .LBB66_10
; %bb.11:
	s_or_b32 exec_lo, exec_lo, s11
.LBB66_12:
	s_or_b32 exec_lo, exec_lo, s13
	v_mbcnt_lo_u32_b32 v2, -1, 0
	v_xor_b32_e32 v1, 16, v2
	v_xor_b32_e32 v3, 8, v2
	v_cmp_gt_i32_e64 s0, 32, v1
	v_cndmask_b32_e64 v1, v2, v1, s0
	v_cmp_gt_i32_e64 s0, 32, v3
	v_lshlrev_b32_e32 v1, 2, v1
	v_cndmask_b32_e64 v3, v2, v3, s0
	ds_bpermute_b32 v4, v1, v11
	v_lshlrev_b32_e32 v3, 2, v3
	s_waitcnt lgkmcnt(0)
	v_add_f32_e32 v11, v11, v4
	v_xor_b32_e32 v4, 4, v2
	ds_bpermute_b32 v12, v3, v11
	v_cmp_gt_i32_e64 s0, 32, v4
	v_cndmask_b32_e64 v4, v2, v4, s0
	v_lshlrev_b32_e32 v4, 2, v4
	s_waitcnt lgkmcnt(0)
	v_add_f32_e32 v12, v11, v12
	v_xor_b32_e32 v11, 2, v2
	ds_bpermute_b32 v13, v4, v12
	v_cmp_gt_i32_e64 s0, 32, v11
	v_cndmask_b32_e64 v11, v2, v11, s0
	;; [unrolled: 7-line block ×3, first 2 shown]
	v_lshlrev_b32_e32 v12, 2, v2
	s_waitcnt lgkmcnt(0)
	v_add_f32_e32 v2, v13, v14
	v_lshrrev_b32_e32 v13, 3, v0
	ds_bpermute_b32 v14, v12, v2
	v_and_b32_e32 v13, 0x7c, v13
	v_add_nc_u32_e32 v13, 0, v13
	s_waitcnt lgkmcnt(0)
	v_add_f32_e32 v2, v2, v14
	ds_write_b32 v13, v2
	s_waitcnt lgkmcnt(0)
	s_barrier
	buffer_gl0_inv
	s_and_saveexec_b32 s0, vcc_lo
	s_cbranch_execz .LBB66_14
; %bb.13:
	ds_read_b32 v2, v5
	s_waitcnt lgkmcnt(0)
	ds_bpermute_b32 v14, v1, v2
	s_waitcnt lgkmcnt(0)
	v_add_f32_e32 v2, v2, v14
	ds_bpermute_b32 v14, v3, v2
	s_waitcnt lgkmcnt(0)
	v_add_f32_e32 v2, v2, v14
	ds_bpermute_b32 v14, v4, v2
	s_waitcnt lgkmcnt(0)
	v_add_f32_e32 v2, v2, v14
	ds_bpermute_b32 v14, v11, v2
	s_waitcnt lgkmcnt(0)
	v_add_f32_e32 v2, v2, v14
	ds_bpermute_b32 v14, v12, v2
	s_waitcnt lgkmcnt(0)
	v_add_f32_e32 v2, v2, v14
.LBB66_14:
	s_or_b32 exec_lo, exec_lo, s0
	ds_bpermute_b32 v14, v1, v10
	s_waitcnt lgkmcnt(0)
	s_barrier
	buffer_gl0_inv
	v_add_f32_e32 v10, v10, v14
	ds_bpermute_b32 v14, v3, v10
	s_waitcnt lgkmcnt(0)
	v_add_f32_e32 v10, v10, v14
	ds_bpermute_b32 v14, v4, v10
	s_waitcnt lgkmcnt(0)
	v_add_f32_e32 v10, v10, v14
	ds_bpermute_b32 v14, v11, v10
	s_waitcnt lgkmcnt(0)
	v_add_f32_e32 v10, v10, v14
	ds_bpermute_b32 v14, v12, v10
	s_waitcnt lgkmcnt(0)
	v_add_f32_e32 v10, v10, v14
	ds_write_b32 v13, v10
	s_waitcnt lgkmcnt(0)
	s_barrier
	buffer_gl0_inv
	s_and_saveexec_b32 s0, vcc_lo
	s_cbranch_execz .LBB66_16
; %bb.15:
	ds_read_b32 v10, v5
	s_waitcnt lgkmcnt(0)
	ds_bpermute_b32 v14, v1, v10
	s_waitcnt lgkmcnt(0)
	v_add_f32_e32 v10, v10, v14
	ds_bpermute_b32 v14, v3, v10
	s_waitcnt lgkmcnt(0)
	v_add_f32_e32 v10, v10, v14
	ds_bpermute_b32 v14, v4, v10
	s_waitcnt lgkmcnt(0)
	v_add_f32_e32 v10, v10, v14
	ds_bpermute_b32 v14, v11, v10
	s_waitcnt lgkmcnt(0)
	v_add_f32_e32 v10, v10, v14
	ds_bpermute_b32 v14, v12, v10
	s_waitcnt lgkmcnt(0)
	v_add_f32_e32 v10, v10, v14
.LBB66_16:
	s_or_b32 exec_lo, exec_lo, s0
	ds_bpermute_b32 v14, v1, v9
	s_waitcnt lgkmcnt(0)
	s_barrier
	buffer_gl0_inv
	v_add_f32_e32 v9, v9, v14
	ds_bpermute_b32 v14, v3, v9
	s_waitcnt lgkmcnt(0)
	v_add_f32_e32 v9, v9, v14
	ds_bpermute_b32 v14, v4, v9
	s_waitcnt lgkmcnt(0)
	v_add_f32_e32 v9, v9, v14
	ds_bpermute_b32 v14, v11, v9
	s_waitcnt lgkmcnt(0)
	v_add_f32_e32 v9, v9, v14
	ds_bpermute_b32 v14, v12, v9
	;; [unrolled: 43-line block ×5, first 2 shown]
	s_waitcnt lgkmcnt(0)
	v_add_f32_e32 v6, v6, v14
	ds_write_b32 v13, v6
	s_waitcnt lgkmcnt(0)
	s_barrier
	buffer_gl0_inv
	s_and_saveexec_b32 s0, vcc_lo
	s_cbranch_execz .LBB66_24
; %bb.23:
	ds_read_b32 v5, v5
	s_waitcnt lgkmcnt(0)
	ds_bpermute_b32 v1, v1, v5
	s_waitcnt lgkmcnt(0)
	v_add_f32_e32 v1, v5, v1
	ds_bpermute_b32 v3, v3, v1
	s_waitcnt lgkmcnt(0)
	v_add_f32_e32 v1, v1, v3
	;; [unrolled: 3-line block ×5, first 2 shown]
.LBB66_24:
	s_or_b32 exec_lo, exec_lo, s0
	s_barrier
	buffer_gl0_inv
	s_mov_b32 s0, exec_lo
	v_cmpx_gt_u32_e32 6, v0
	s_cbranch_execz .LBB66_26
; %bb.25:
	s_load_dwordx2 s[0:1], s[4:5], 0x38
	v_cmp_eq_u32_e32 vcc_lo, 1, v0
	s_mul_hi_i32 s3, s22, s10
	s_mul_i32 s2, s22, s10
	s_mul_i32 s4, s26, s7
	s_lshl_b64 s[2:3], s[2:3], 2
	v_cndmask_b32_e32 v3, v2, v10, vcc_lo
	v_cmp_eq_u32_e32 vcc_lo, 2, v0
	v_mad_u64_u32 v[1:2], null, s18, v0, s[6:7]
	s_ashr_i32 s5, s4, 31
	v_cndmask_b32_e32 v3, v3, v9, vcc_lo
	v_cmp_eq_u32_e32 vcc_lo, 3, v0
	v_ashrrev_i32_e32 v2, 31, v1
	v_cndmask_b32_e32 v3, v3, v8, vcc_lo
	v_cmp_eq_u32_e32 vcc_lo, 4, v0
	s_waitcnt lgkmcnt(0)
	s_add_u32 s2, s0, s2
	v_lshlrev_b64 v[1:2], 2, v[1:2]
	s_addc_u32 s3, s1, s3
	s_lshl_b64 s[0:1], s[4:5], 2
	v_cndmask_b32_e32 v3, v3, v7, vcc_lo
	v_cmp_eq_u32_e32 vcc_lo, 5, v0
	s_add_u32 s0, s2, s0
	s_addc_u32 s1, s3, s1
	v_cndmask_b32_e32 v3, v3, v6, vcc_lo
	v_add_co_u32 v0, vcc_lo, s0, v1
	v_add_co_ci_u32_e64 v1, null, s1, v2, vcc_lo
	global_store_dword v[0:1], v3, off
.LBB66_26:
	s_endpgm
	.section	.rodata,"a",@progbits
	.p2align	6, 0x0
	.amdhsa_kernel _ZL13mul_mat_vec_fIffLi6ELi96ELb0ELb0EEvPKT_PKfPKi31ggml_cuda_mm_fusion_args_devicePfi15HIP_vector_typeIjLj3EEiiiSA_iiiSA_iiii
		.amdhsa_group_segment_fixed_size 0
		.amdhsa_private_segment_fixed_size 0
		.amdhsa_kernarg_size 144
		.amdhsa_user_sgpr_count 6
		.amdhsa_user_sgpr_private_segment_buffer 1
		.amdhsa_user_sgpr_dispatch_ptr 0
		.amdhsa_user_sgpr_queue_ptr 0
		.amdhsa_user_sgpr_kernarg_segment_ptr 1
		.amdhsa_user_sgpr_dispatch_id 0
		.amdhsa_user_sgpr_flat_scratch_init 0
		.amdhsa_user_sgpr_private_segment_size 0
		.amdhsa_wavefront_size32 1
		.amdhsa_uses_dynamic_stack 0
		.amdhsa_system_sgpr_private_segment_wavefront_offset 0
		.amdhsa_system_sgpr_workgroup_id_x 1
		.amdhsa_system_sgpr_workgroup_id_y 1
		.amdhsa_system_sgpr_workgroup_id_z 1
		.amdhsa_system_sgpr_workgroup_info 0
		.amdhsa_system_vgpr_workitem_id 0
		.amdhsa_next_free_vgpr 27
		.amdhsa_next_free_sgpr 36
		.amdhsa_reserve_vcc 1
		.amdhsa_reserve_flat_scratch 0
		.amdhsa_float_round_mode_32 0
		.amdhsa_float_round_mode_16_64 0
		.amdhsa_float_denorm_mode_32 3
		.amdhsa_float_denorm_mode_16_64 3
		.amdhsa_dx10_clamp 1
		.amdhsa_ieee_mode 1
		.amdhsa_fp16_overflow 0
		.amdhsa_workgroup_processor_mode 1
		.amdhsa_memory_ordered 1
		.amdhsa_forward_progress 1
		.amdhsa_shared_vgpr_count 0
		.amdhsa_exception_fp_ieee_invalid_op 0
		.amdhsa_exception_fp_denorm_src 0
		.amdhsa_exception_fp_ieee_div_zero 0
		.amdhsa_exception_fp_ieee_overflow 0
		.amdhsa_exception_fp_ieee_underflow 0
		.amdhsa_exception_fp_ieee_inexact 0
		.amdhsa_exception_int_div_zero 0
	.end_amdhsa_kernel
	.section	.text._ZL13mul_mat_vec_fIffLi6ELi96ELb0ELb0EEvPKT_PKfPKi31ggml_cuda_mm_fusion_args_devicePfi15HIP_vector_typeIjLj3EEiiiSA_iiiSA_iiii,"axG",@progbits,_ZL13mul_mat_vec_fIffLi6ELi96ELb0ELb0EEvPKT_PKfPKi31ggml_cuda_mm_fusion_args_devicePfi15HIP_vector_typeIjLj3EEiiiSA_iiiSA_iiii,comdat
.Lfunc_end66:
	.size	_ZL13mul_mat_vec_fIffLi6ELi96ELb0ELb0EEvPKT_PKfPKi31ggml_cuda_mm_fusion_args_devicePfi15HIP_vector_typeIjLj3EEiiiSA_iiiSA_iiii, .Lfunc_end66-_ZL13mul_mat_vec_fIffLi6ELi96ELb0ELb0EEvPKT_PKfPKi31ggml_cuda_mm_fusion_args_devicePfi15HIP_vector_typeIjLj3EEiiiSA_iiiSA_iiii
                                        ; -- End function
	.set _ZL13mul_mat_vec_fIffLi6ELi96ELb0ELb0EEvPKT_PKfPKi31ggml_cuda_mm_fusion_args_devicePfi15HIP_vector_typeIjLj3EEiiiSA_iiiSA_iiii.num_vgpr, 27
	.set _ZL13mul_mat_vec_fIffLi6ELi96ELb0ELb0EEvPKT_PKfPKi31ggml_cuda_mm_fusion_args_devicePfi15HIP_vector_typeIjLj3EEiiiSA_iiiSA_iiii.num_agpr, 0
	.set _ZL13mul_mat_vec_fIffLi6ELi96ELb0ELb0EEvPKT_PKfPKi31ggml_cuda_mm_fusion_args_devicePfi15HIP_vector_typeIjLj3EEiiiSA_iiiSA_iiii.numbered_sgpr, 36
	.set _ZL13mul_mat_vec_fIffLi6ELi96ELb0ELb0EEvPKT_PKfPKi31ggml_cuda_mm_fusion_args_devicePfi15HIP_vector_typeIjLj3EEiiiSA_iiiSA_iiii.num_named_barrier, 0
	.set _ZL13mul_mat_vec_fIffLi6ELi96ELb0ELb0EEvPKT_PKfPKi31ggml_cuda_mm_fusion_args_devicePfi15HIP_vector_typeIjLj3EEiiiSA_iiiSA_iiii.private_seg_size, 0
	.set _ZL13mul_mat_vec_fIffLi6ELi96ELb0ELb0EEvPKT_PKfPKi31ggml_cuda_mm_fusion_args_devicePfi15HIP_vector_typeIjLj3EEiiiSA_iiiSA_iiii.uses_vcc, 1
	.set _ZL13mul_mat_vec_fIffLi6ELi96ELb0ELb0EEvPKT_PKfPKi31ggml_cuda_mm_fusion_args_devicePfi15HIP_vector_typeIjLj3EEiiiSA_iiiSA_iiii.uses_flat_scratch, 0
	.set _ZL13mul_mat_vec_fIffLi6ELi96ELb0ELb0EEvPKT_PKfPKi31ggml_cuda_mm_fusion_args_devicePfi15HIP_vector_typeIjLj3EEiiiSA_iiiSA_iiii.has_dyn_sized_stack, 0
	.set _ZL13mul_mat_vec_fIffLi6ELi96ELb0ELb0EEvPKT_PKfPKi31ggml_cuda_mm_fusion_args_devicePfi15HIP_vector_typeIjLj3EEiiiSA_iiiSA_iiii.has_recursion, 0
	.set _ZL13mul_mat_vec_fIffLi6ELi96ELb0ELb0EEvPKT_PKfPKi31ggml_cuda_mm_fusion_args_devicePfi15HIP_vector_typeIjLj3EEiiiSA_iiiSA_iiii.has_indirect_call, 0
	.section	.AMDGPU.csdata,"",@progbits
; Kernel info:
; codeLenInByte = 2500
; TotalNumSgprs: 38
; NumVgprs: 27
; ScratchSize: 0
; MemoryBound: 0
; FloatMode: 240
; IeeeMode: 1
; LDSByteSize: 0 bytes/workgroup (compile time only)
; SGPRBlocks: 0
; VGPRBlocks: 3
; NumSGPRsForWavesPerEU: 38
; NumVGPRsForWavesPerEU: 27
; Occupancy: 16
; WaveLimiterHint : 0
; COMPUTE_PGM_RSRC2:SCRATCH_EN: 0
; COMPUTE_PGM_RSRC2:USER_SGPR: 6
; COMPUTE_PGM_RSRC2:TRAP_HANDLER: 0
; COMPUTE_PGM_RSRC2:TGID_X_EN: 1
; COMPUTE_PGM_RSRC2:TGID_Y_EN: 1
; COMPUTE_PGM_RSRC2:TGID_Z_EN: 1
; COMPUTE_PGM_RSRC2:TIDIG_COMP_CNT: 0
	.section	.text._ZL13mul_mat_vec_fIffLi6ELi128ELb0ELb0EEvPKT_PKfPKi31ggml_cuda_mm_fusion_args_devicePfi15HIP_vector_typeIjLj3EEiiiSA_iiiSA_iiii,"axG",@progbits,_ZL13mul_mat_vec_fIffLi6ELi128ELb0ELb0EEvPKT_PKfPKi31ggml_cuda_mm_fusion_args_devicePfi15HIP_vector_typeIjLj3EEiiiSA_iiiSA_iiii,comdat
	.globl	_ZL13mul_mat_vec_fIffLi6ELi128ELb0ELb0EEvPKT_PKfPKi31ggml_cuda_mm_fusion_args_devicePfi15HIP_vector_typeIjLj3EEiiiSA_iiiSA_iiii ; -- Begin function _ZL13mul_mat_vec_fIffLi6ELi128ELb0ELb0EEvPKT_PKfPKi31ggml_cuda_mm_fusion_args_devicePfi15HIP_vector_typeIjLj3EEiiiSA_iiiSA_iiii
	.p2align	8
	.type	_ZL13mul_mat_vec_fIffLi6ELi128ELb0ELb0EEvPKT_PKfPKi31ggml_cuda_mm_fusion_args_devicePfi15HIP_vector_typeIjLj3EEiiiSA_iiiSA_iiii,@function
_ZL13mul_mat_vec_fIffLi6ELi128ELb0ELb0EEvPKT_PKfPKi31ggml_cuda_mm_fusion_args_devicePfi15HIP_vector_typeIjLj3EEiiiSA_iiiSA_iiii: ; @_ZL13mul_mat_vec_fIffLi6ELi128ELb0ELb0EEvPKT_PKfPKi31ggml_cuda_mm_fusion_args_devicePfi15HIP_vector_typeIjLj3EEiiiSA_iiiSA_iiii
; %bb.0:
	s_clause 0x2
	s_load_dwordx2 s[0:1], s[4:5], 0x10
	s_load_dwordx8 s[12:19], s[4:5], 0x40
	s_load_dwordx4 s[20:23], s[4:5], 0x80
	s_waitcnt lgkmcnt(0)
	s_cmp_eq_u64 s[0:1], 0
	s_cselect_b32 s10, -1, 0
	s_cmp_lg_u64 s[0:1], 0
	s_cselect_b32 s11, -1, 0
	s_and_b32 vcc_lo, exec_lo, s10
	s_cbranch_vccnz .LBB67_2
; %bb.1:
	s_mul_i32 s2, s23, s8
	s_mov_b32 s3, 0
	s_add_i32 s2, s2, s7
	s_lshl_b64 s[24:25], s[2:3], 2
	s_add_u32 s0, s0, s24
	s_addc_u32 s1, s1, s25
	s_load_dword s9, s[0:1], 0x0
	s_cbranch_execz .LBB67_3
	s_branch .LBB67_4
.LBB67_2:
                                        ; implicit-def: $sgpr9
.LBB67_3:
	s_load_dwordx2 s[0:1], s[4:5], 0x5c
	s_waitcnt lgkmcnt(0)
	s_mul_hi_u32 s0, s0, s7
	s_add_i32 s0, s7, s0
	s_lshr_b32 s9, s0, s1
.LBB67_4:
	s_load_dwordx4 s[24:27], s[4:5], 0x68
	s_andn2_b32 vcc_lo, exec_lo, s11
	s_mov_b32 s19, s7
	s_cbranch_vccnz .LBB67_6
; %bb.5:
	s_mul_hi_u32 s0, s13, s7
	s_add_i32 s0, s7, s0
	s_lshr_b32 s0, s0, s14
	s_mul_i32 s0, s0, s15
	s_sub_i32 s19, s7, s0
.LBB67_6:
	s_load_dword s14, s[4:5], 0x78
	v_cmp_gt_u32_e32 vcc_lo, 32, v0
	v_lshl_add_u32 v5, v0, 2, 0
	s_and_saveexec_b32 s0, vcc_lo
; %bb.7:
	v_mov_b32_e32 v1, 0
	ds_write_b32 v5, v1
; %bb.8:
	s_or_b32 exec_lo, exec_lo, s0
	v_mov_b32_e32 v6, 0
	v_mov_b32_e32 v7, 0
	;; [unrolled: 1-line block ×6, first 2 shown]
	s_and_b32 s0, exec_lo, s10
	s_mov_b32 s11, 0
	s_cselect_b32 s10, s8, 0
	s_mov_b32 s13, exec_lo
	s_waitcnt lgkmcnt(0)
	s_barrier
	buffer_gl0_inv
	v_cmpx_gt_i32_e64 s12, v0
	s_cbranch_execz .LBB67_12
; %bb.9:
	s_load_dwordx4 s[0:3], s[4:5], 0x0
	s_mul_hi_u32 s15, s27, s10
	s_mul_hi_i32 s29, s21, s10
	s_mul_i32 s28, s21, s10
	s_mul_i32 s8, s9, s24
	;; [unrolled: 1-line block ×4, first 2 shown]
	s_add_i32 s15, s10, s15
	s_lshl_b64 s[28:29], s[28:29], 2
	s_ashr_i32 s9, s8, 31
	s_ashr_i32 s25, s24, 31
	;; [unrolled: 1-line block ×3, first 2 shown]
	s_lshr_b32 s14, s15, s14
	v_lshlrev_b32_e32 v1, 3, v0
	s_mul_hi_i32 s21, s14, s20
	s_mul_i32 s20, s14, s20
	s_mov_b32 s34, s17
	v_mov_b32_e32 v11, 0
	v_mov_b32_e32 v12, v0
	;; [unrolled: 1-line block ×3, first 2 shown]
	s_waitcnt lgkmcnt(0)
	s_add_u32 s15, s2, s28
	s_addc_u32 s16, s3, s29
	s_lshl_b64 s[30:31], s[30:31], 2
	v_mov_b32_e32 v9, 0
	s_add_u32 s14, s15, s30
	s_addc_u32 s15, s16, s31
	s_lshl_b64 s[8:9], s[8:9], 2
	s_ashr_i32 s35, s17, 31
	s_add_i32 s16, s17, s17
	s_lshl_b32 s19, s17, 2
	s_lshl_b64 s[20:21], s[20:21], 2
	s_lshl_b64 s[24:25], s[24:25], 2
	s_add_u32 s0, s0, s8
	s_addc_u32 s1, s1, s9
	s_add_u32 s0, s0, s24
	s_addc_u32 s1, s1, s25
	;; [unrolled: 2-line block ×3, first 2 shown]
	v_add_co_u32 v2, s0, s0, v1
	s_lshl_b64 s[8:9], s[34:35], 3
	v_add_co_ci_u32_e64 v3, null, s1, 0, s0
	s_add_u32 s0, s2, s30
	s_addc_u32 s1, s3, s31
	s_add_u32 s0, s0, s28
	s_addc_u32 s1, s1, s29
	v_add_co_u32 v4, s0, s0, v1
	v_add_co_ci_u32_e64 v6, null, s1, 0, s0
	v_add_co_u32 v1, s0, v2, 4
	v_add_co_ci_u32_e64 v2, null, 0, v3, s0
	;; [unrolled: 2-line block ×3, first 2 shown]
	v_mov_b32_e32 v8, 0
	v_mov_b32_e32 v7, 0
	;; [unrolled: 1-line block ×3, first 2 shown]
	s_mul_i32 s1, s17, 3
	s_mul_i32 s2, s17, 5
.LBB67_10:                              ; =>This Inner Loop Header: Depth=1
	v_add_nc_u32_e32 v17, s16, v12
	v_add_nc_u32_e32 v21, s1, v12
	;; [unrolled: 1-line block ×4, first 2 shown]
	v_add_co_u32 v19, s0, v3, s8
	v_ashrrev_i32_e32 v18, 31, v17
	v_ashrrev_i32_e32 v22, 31, v21
	;; [unrolled: 1-line block ×4, first 2 shown]
	v_add_co_ci_u32_e64 v20, null, s9, v4, s0
	v_lshlrev_b64 v[17:18], 3, v[17:18]
	v_lshlrev_b64 v[21:22], 3, v[21:22]
	;; [unrolled: 1-line block ×4, first 2 shown]
	global_load_dwordx2 v[13:14], v[1:2], off offset:-4
	global_load_dwordx2 v[15:16], v[3:4], off offset:-4
	v_add_nc_u32_e32 v12, 0x80, v12
	v_add_co_u32 v17, s0, s14, v17
	v_add_co_ci_u32_e64 v18, null, s15, v18, s0
	v_add_co_u32 v21, s0, s14, v21
	v_add_co_ci_u32_e64 v22, null, s15, v22, s0
	;; [unrolled: 2-line block ×4, first 2 shown]
	global_load_dwordx2 v[19:20], v[19:20], off offset:-4
	s_clause 0x3
	global_load_dwordx2 v[17:18], v[17:18], off
	global_load_dwordx2 v[21:22], v[21:22], off
	;; [unrolled: 1-line block ×4, first 2 shown]
	v_add_co_u32 v1, s0, 0x400, v1
	v_add_co_ci_u32_e64 v2, null, 0, v2, s0
	v_add_co_u32 v3, s0, 0x400, v3
	v_add_co_ci_u32_e64 v4, null, 0, v4, s0
	v_cmp_le_i32_e64 s0, s12, v12
	s_or_b32 s11, s0, s11
	s_waitcnt vmcnt(5)
	v_fmac_f32_e32 v11, v13, v15
	v_fmac_f32_e32 v11, v14, v16
	s_waitcnt vmcnt(4)
	v_fmac_f32_e32 v10, v13, v19
	s_waitcnt vmcnt(3)
	;; [unrolled: 2-line block ×5, first 2 shown]
	v_fmac_f32_e32 v6, v13, v25
	v_fmac_f32_e32 v10, v14, v20
	;; [unrolled: 1-line block ×6, first 2 shown]
	s_andn2_b32 exec_lo, exec_lo, s11
	s_cbranch_execnz .LBB67_10
; %bb.11:
	s_or_b32 exec_lo, exec_lo, s11
.LBB67_12:
	s_or_b32 exec_lo, exec_lo, s13
	v_mbcnt_lo_u32_b32 v2, -1, 0
	v_xor_b32_e32 v1, 16, v2
	v_xor_b32_e32 v3, 8, v2
	v_cmp_gt_i32_e64 s0, 32, v1
	v_cndmask_b32_e64 v1, v2, v1, s0
	v_cmp_gt_i32_e64 s0, 32, v3
	v_lshlrev_b32_e32 v1, 2, v1
	v_cndmask_b32_e64 v3, v2, v3, s0
	ds_bpermute_b32 v4, v1, v11
	v_lshlrev_b32_e32 v3, 2, v3
	s_waitcnt lgkmcnt(0)
	v_add_f32_e32 v11, v11, v4
	v_xor_b32_e32 v4, 4, v2
	ds_bpermute_b32 v12, v3, v11
	v_cmp_gt_i32_e64 s0, 32, v4
	v_cndmask_b32_e64 v4, v2, v4, s0
	v_lshlrev_b32_e32 v4, 2, v4
	s_waitcnt lgkmcnt(0)
	v_add_f32_e32 v12, v11, v12
	v_xor_b32_e32 v11, 2, v2
	ds_bpermute_b32 v13, v4, v12
	v_cmp_gt_i32_e64 s0, 32, v11
	v_cndmask_b32_e64 v11, v2, v11, s0
	;; [unrolled: 7-line block ×3, first 2 shown]
	v_lshlrev_b32_e32 v12, 2, v2
	s_waitcnt lgkmcnt(0)
	v_add_f32_e32 v2, v13, v14
	v_lshrrev_b32_e32 v13, 3, v0
	ds_bpermute_b32 v14, v12, v2
	v_and_b32_e32 v13, 0x7c, v13
	v_add_nc_u32_e32 v13, 0, v13
	s_waitcnt lgkmcnt(0)
	v_add_f32_e32 v2, v2, v14
	ds_write_b32 v13, v2
	s_waitcnt lgkmcnt(0)
	s_barrier
	buffer_gl0_inv
	s_and_saveexec_b32 s0, vcc_lo
	s_cbranch_execz .LBB67_14
; %bb.13:
	ds_read_b32 v2, v5
	s_waitcnt lgkmcnt(0)
	ds_bpermute_b32 v14, v1, v2
	s_waitcnt lgkmcnt(0)
	v_add_f32_e32 v2, v2, v14
	ds_bpermute_b32 v14, v3, v2
	s_waitcnt lgkmcnt(0)
	v_add_f32_e32 v2, v2, v14
	ds_bpermute_b32 v14, v4, v2
	s_waitcnt lgkmcnt(0)
	v_add_f32_e32 v2, v2, v14
	ds_bpermute_b32 v14, v11, v2
	s_waitcnt lgkmcnt(0)
	v_add_f32_e32 v2, v2, v14
	ds_bpermute_b32 v14, v12, v2
	s_waitcnt lgkmcnt(0)
	v_add_f32_e32 v2, v2, v14
.LBB67_14:
	s_or_b32 exec_lo, exec_lo, s0
	ds_bpermute_b32 v14, v1, v10
	s_waitcnt lgkmcnt(0)
	s_barrier
	buffer_gl0_inv
	v_add_f32_e32 v10, v10, v14
	ds_bpermute_b32 v14, v3, v10
	s_waitcnt lgkmcnt(0)
	v_add_f32_e32 v10, v10, v14
	ds_bpermute_b32 v14, v4, v10
	s_waitcnt lgkmcnt(0)
	v_add_f32_e32 v10, v10, v14
	ds_bpermute_b32 v14, v11, v10
	s_waitcnt lgkmcnt(0)
	v_add_f32_e32 v10, v10, v14
	ds_bpermute_b32 v14, v12, v10
	s_waitcnt lgkmcnt(0)
	v_add_f32_e32 v10, v10, v14
	ds_write_b32 v13, v10
	s_waitcnt lgkmcnt(0)
	s_barrier
	buffer_gl0_inv
	s_and_saveexec_b32 s0, vcc_lo
	s_cbranch_execz .LBB67_16
; %bb.15:
	ds_read_b32 v10, v5
	s_waitcnt lgkmcnt(0)
	ds_bpermute_b32 v14, v1, v10
	s_waitcnt lgkmcnt(0)
	v_add_f32_e32 v10, v10, v14
	ds_bpermute_b32 v14, v3, v10
	s_waitcnt lgkmcnt(0)
	v_add_f32_e32 v10, v10, v14
	ds_bpermute_b32 v14, v4, v10
	s_waitcnt lgkmcnt(0)
	v_add_f32_e32 v10, v10, v14
	ds_bpermute_b32 v14, v11, v10
	s_waitcnt lgkmcnt(0)
	v_add_f32_e32 v10, v10, v14
	ds_bpermute_b32 v14, v12, v10
	s_waitcnt lgkmcnt(0)
	v_add_f32_e32 v10, v10, v14
.LBB67_16:
	s_or_b32 exec_lo, exec_lo, s0
	ds_bpermute_b32 v14, v1, v9
	s_waitcnt lgkmcnt(0)
	s_barrier
	buffer_gl0_inv
	v_add_f32_e32 v9, v9, v14
	ds_bpermute_b32 v14, v3, v9
	s_waitcnt lgkmcnt(0)
	v_add_f32_e32 v9, v9, v14
	ds_bpermute_b32 v14, v4, v9
	s_waitcnt lgkmcnt(0)
	v_add_f32_e32 v9, v9, v14
	ds_bpermute_b32 v14, v11, v9
	s_waitcnt lgkmcnt(0)
	v_add_f32_e32 v9, v9, v14
	ds_bpermute_b32 v14, v12, v9
	;; [unrolled: 43-line block ×5, first 2 shown]
	s_waitcnt lgkmcnt(0)
	v_add_f32_e32 v6, v6, v14
	ds_write_b32 v13, v6
	s_waitcnt lgkmcnt(0)
	s_barrier
	buffer_gl0_inv
	s_and_saveexec_b32 s0, vcc_lo
	s_cbranch_execz .LBB67_24
; %bb.23:
	ds_read_b32 v5, v5
	s_waitcnt lgkmcnt(0)
	ds_bpermute_b32 v1, v1, v5
	s_waitcnt lgkmcnt(0)
	v_add_f32_e32 v1, v5, v1
	ds_bpermute_b32 v3, v3, v1
	s_waitcnt lgkmcnt(0)
	v_add_f32_e32 v1, v1, v3
	;; [unrolled: 3-line block ×5, first 2 shown]
.LBB67_24:
	s_or_b32 exec_lo, exec_lo, s0
	s_barrier
	buffer_gl0_inv
	s_mov_b32 s0, exec_lo
	v_cmpx_gt_u32_e32 6, v0
	s_cbranch_execz .LBB67_26
; %bb.25:
	s_load_dwordx2 s[0:1], s[4:5], 0x38
	v_cmp_eq_u32_e32 vcc_lo, 1, v0
	s_mul_hi_i32 s3, s22, s10
	s_mul_i32 s2, s22, s10
	s_mul_i32 s4, s26, s7
	s_lshl_b64 s[2:3], s[2:3], 2
	v_cndmask_b32_e32 v3, v2, v10, vcc_lo
	v_cmp_eq_u32_e32 vcc_lo, 2, v0
	v_mad_u64_u32 v[1:2], null, s18, v0, s[6:7]
	s_ashr_i32 s5, s4, 31
	v_cndmask_b32_e32 v3, v3, v9, vcc_lo
	v_cmp_eq_u32_e32 vcc_lo, 3, v0
	v_ashrrev_i32_e32 v2, 31, v1
	v_cndmask_b32_e32 v3, v3, v8, vcc_lo
	v_cmp_eq_u32_e32 vcc_lo, 4, v0
	s_waitcnt lgkmcnt(0)
	s_add_u32 s2, s0, s2
	v_lshlrev_b64 v[1:2], 2, v[1:2]
	s_addc_u32 s3, s1, s3
	s_lshl_b64 s[0:1], s[4:5], 2
	v_cndmask_b32_e32 v3, v3, v7, vcc_lo
	v_cmp_eq_u32_e32 vcc_lo, 5, v0
	s_add_u32 s0, s2, s0
	s_addc_u32 s1, s3, s1
	v_cndmask_b32_e32 v3, v3, v6, vcc_lo
	v_add_co_u32 v0, vcc_lo, s0, v1
	v_add_co_ci_u32_e64 v1, null, s1, v2, vcc_lo
	global_store_dword v[0:1], v3, off
.LBB67_26:
	s_endpgm
	.section	.rodata,"a",@progbits
	.p2align	6, 0x0
	.amdhsa_kernel _ZL13mul_mat_vec_fIffLi6ELi128ELb0ELb0EEvPKT_PKfPKi31ggml_cuda_mm_fusion_args_devicePfi15HIP_vector_typeIjLj3EEiiiSA_iiiSA_iiii
		.amdhsa_group_segment_fixed_size 0
		.amdhsa_private_segment_fixed_size 0
		.amdhsa_kernarg_size 144
		.amdhsa_user_sgpr_count 6
		.amdhsa_user_sgpr_private_segment_buffer 1
		.amdhsa_user_sgpr_dispatch_ptr 0
		.amdhsa_user_sgpr_queue_ptr 0
		.amdhsa_user_sgpr_kernarg_segment_ptr 1
		.amdhsa_user_sgpr_dispatch_id 0
		.amdhsa_user_sgpr_flat_scratch_init 0
		.amdhsa_user_sgpr_private_segment_size 0
		.amdhsa_wavefront_size32 1
		.amdhsa_uses_dynamic_stack 0
		.amdhsa_system_sgpr_private_segment_wavefront_offset 0
		.amdhsa_system_sgpr_workgroup_id_x 1
		.amdhsa_system_sgpr_workgroup_id_y 1
		.amdhsa_system_sgpr_workgroup_id_z 1
		.amdhsa_system_sgpr_workgroup_info 0
		.amdhsa_system_vgpr_workitem_id 0
		.amdhsa_next_free_vgpr 27
		.amdhsa_next_free_sgpr 36
		.amdhsa_reserve_vcc 1
		.amdhsa_reserve_flat_scratch 0
		.amdhsa_float_round_mode_32 0
		.amdhsa_float_round_mode_16_64 0
		.amdhsa_float_denorm_mode_32 3
		.amdhsa_float_denorm_mode_16_64 3
		.amdhsa_dx10_clamp 1
		.amdhsa_ieee_mode 1
		.amdhsa_fp16_overflow 0
		.amdhsa_workgroup_processor_mode 1
		.amdhsa_memory_ordered 1
		.amdhsa_forward_progress 1
		.amdhsa_shared_vgpr_count 0
		.amdhsa_exception_fp_ieee_invalid_op 0
		.amdhsa_exception_fp_denorm_src 0
		.amdhsa_exception_fp_ieee_div_zero 0
		.amdhsa_exception_fp_ieee_overflow 0
		.amdhsa_exception_fp_ieee_underflow 0
		.amdhsa_exception_fp_ieee_inexact 0
		.amdhsa_exception_int_div_zero 0
	.end_amdhsa_kernel
	.section	.text._ZL13mul_mat_vec_fIffLi6ELi128ELb0ELb0EEvPKT_PKfPKi31ggml_cuda_mm_fusion_args_devicePfi15HIP_vector_typeIjLj3EEiiiSA_iiiSA_iiii,"axG",@progbits,_ZL13mul_mat_vec_fIffLi6ELi128ELb0ELb0EEvPKT_PKfPKi31ggml_cuda_mm_fusion_args_devicePfi15HIP_vector_typeIjLj3EEiiiSA_iiiSA_iiii,comdat
.Lfunc_end67:
	.size	_ZL13mul_mat_vec_fIffLi6ELi128ELb0ELb0EEvPKT_PKfPKi31ggml_cuda_mm_fusion_args_devicePfi15HIP_vector_typeIjLj3EEiiiSA_iiiSA_iiii, .Lfunc_end67-_ZL13mul_mat_vec_fIffLi6ELi128ELb0ELb0EEvPKT_PKfPKi31ggml_cuda_mm_fusion_args_devicePfi15HIP_vector_typeIjLj3EEiiiSA_iiiSA_iiii
                                        ; -- End function
	.set _ZL13mul_mat_vec_fIffLi6ELi128ELb0ELb0EEvPKT_PKfPKi31ggml_cuda_mm_fusion_args_devicePfi15HIP_vector_typeIjLj3EEiiiSA_iiiSA_iiii.num_vgpr, 27
	.set _ZL13mul_mat_vec_fIffLi6ELi128ELb0ELb0EEvPKT_PKfPKi31ggml_cuda_mm_fusion_args_devicePfi15HIP_vector_typeIjLj3EEiiiSA_iiiSA_iiii.num_agpr, 0
	.set _ZL13mul_mat_vec_fIffLi6ELi128ELb0ELb0EEvPKT_PKfPKi31ggml_cuda_mm_fusion_args_devicePfi15HIP_vector_typeIjLj3EEiiiSA_iiiSA_iiii.numbered_sgpr, 36
	.set _ZL13mul_mat_vec_fIffLi6ELi128ELb0ELb0EEvPKT_PKfPKi31ggml_cuda_mm_fusion_args_devicePfi15HIP_vector_typeIjLj3EEiiiSA_iiiSA_iiii.num_named_barrier, 0
	.set _ZL13mul_mat_vec_fIffLi6ELi128ELb0ELb0EEvPKT_PKfPKi31ggml_cuda_mm_fusion_args_devicePfi15HIP_vector_typeIjLj3EEiiiSA_iiiSA_iiii.private_seg_size, 0
	.set _ZL13mul_mat_vec_fIffLi6ELi128ELb0ELb0EEvPKT_PKfPKi31ggml_cuda_mm_fusion_args_devicePfi15HIP_vector_typeIjLj3EEiiiSA_iiiSA_iiii.uses_vcc, 1
	.set _ZL13mul_mat_vec_fIffLi6ELi128ELb0ELb0EEvPKT_PKfPKi31ggml_cuda_mm_fusion_args_devicePfi15HIP_vector_typeIjLj3EEiiiSA_iiiSA_iiii.uses_flat_scratch, 0
	.set _ZL13mul_mat_vec_fIffLi6ELi128ELb0ELb0EEvPKT_PKfPKi31ggml_cuda_mm_fusion_args_devicePfi15HIP_vector_typeIjLj3EEiiiSA_iiiSA_iiii.has_dyn_sized_stack, 0
	.set _ZL13mul_mat_vec_fIffLi6ELi128ELb0ELb0EEvPKT_PKfPKi31ggml_cuda_mm_fusion_args_devicePfi15HIP_vector_typeIjLj3EEiiiSA_iiiSA_iiii.has_recursion, 0
	.set _ZL13mul_mat_vec_fIffLi6ELi128ELb0ELb0EEvPKT_PKfPKi31ggml_cuda_mm_fusion_args_devicePfi15HIP_vector_typeIjLj3EEiiiSA_iiiSA_iiii.has_indirect_call, 0
	.section	.AMDGPU.csdata,"",@progbits
; Kernel info:
; codeLenInByte = 2500
; TotalNumSgprs: 38
; NumVgprs: 27
; ScratchSize: 0
; MemoryBound: 0
; FloatMode: 240
; IeeeMode: 1
; LDSByteSize: 0 bytes/workgroup (compile time only)
; SGPRBlocks: 0
; VGPRBlocks: 3
; NumSGPRsForWavesPerEU: 38
; NumVGPRsForWavesPerEU: 27
; Occupancy: 16
; WaveLimiterHint : 0
; COMPUTE_PGM_RSRC2:SCRATCH_EN: 0
; COMPUTE_PGM_RSRC2:USER_SGPR: 6
; COMPUTE_PGM_RSRC2:TRAP_HANDLER: 0
; COMPUTE_PGM_RSRC2:TGID_X_EN: 1
; COMPUTE_PGM_RSRC2:TGID_Y_EN: 1
; COMPUTE_PGM_RSRC2:TGID_Z_EN: 1
; COMPUTE_PGM_RSRC2:TIDIG_COMP_CNT: 0
	.section	.text._ZL13mul_mat_vec_fIffLi6ELi160ELb0ELb0EEvPKT_PKfPKi31ggml_cuda_mm_fusion_args_devicePfi15HIP_vector_typeIjLj3EEiiiSA_iiiSA_iiii,"axG",@progbits,_ZL13mul_mat_vec_fIffLi6ELi160ELb0ELb0EEvPKT_PKfPKi31ggml_cuda_mm_fusion_args_devicePfi15HIP_vector_typeIjLj3EEiiiSA_iiiSA_iiii,comdat
	.globl	_ZL13mul_mat_vec_fIffLi6ELi160ELb0ELb0EEvPKT_PKfPKi31ggml_cuda_mm_fusion_args_devicePfi15HIP_vector_typeIjLj3EEiiiSA_iiiSA_iiii ; -- Begin function _ZL13mul_mat_vec_fIffLi6ELi160ELb0ELb0EEvPKT_PKfPKi31ggml_cuda_mm_fusion_args_devicePfi15HIP_vector_typeIjLj3EEiiiSA_iiiSA_iiii
	.p2align	8
	.type	_ZL13mul_mat_vec_fIffLi6ELi160ELb0ELb0EEvPKT_PKfPKi31ggml_cuda_mm_fusion_args_devicePfi15HIP_vector_typeIjLj3EEiiiSA_iiiSA_iiii,@function
_ZL13mul_mat_vec_fIffLi6ELi160ELb0ELb0EEvPKT_PKfPKi31ggml_cuda_mm_fusion_args_devicePfi15HIP_vector_typeIjLj3EEiiiSA_iiiSA_iiii: ; @_ZL13mul_mat_vec_fIffLi6ELi160ELb0ELb0EEvPKT_PKfPKi31ggml_cuda_mm_fusion_args_devicePfi15HIP_vector_typeIjLj3EEiiiSA_iiiSA_iiii
; %bb.0:
	s_clause 0x2
	s_load_dwordx2 s[0:1], s[4:5], 0x10
	s_load_dwordx8 s[12:19], s[4:5], 0x40
	s_load_dwordx4 s[20:23], s[4:5], 0x80
	s_waitcnt lgkmcnt(0)
	s_cmp_eq_u64 s[0:1], 0
	s_cselect_b32 s10, -1, 0
	s_cmp_lg_u64 s[0:1], 0
	s_cselect_b32 s11, -1, 0
	s_and_b32 vcc_lo, exec_lo, s10
	s_cbranch_vccnz .LBB68_2
; %bb.1:
	s_mul_i32 s2, s23, s8
	s_mov_b32 s3, 0
	s_add_i32 s2, s2, s7
	s_lshl_b64 s[24:25], s[2:3], 2
	s_add_u32 s0, s0, s24
	s_addc_u32 s1, s1, s25
	s_load_dword s9, s[0:1], 0x0
	s_cbranch_execz .LBB68_3
	s_branch .LBB68_4
.LBB68_2:
                                        ; implicit-def: $sgpr9
.LBB68_3:
	s_load_dwordx2 s[0:1], s[4:5], 0x5c
	s_waitcnt lgkmcnt(0)
	s_mul_hi_u32 s0, s0, s7
	s_add_i32 s0, s7, s0
	s_lshr_b32 s9, s0, s1
.LBB68_4:
	s_load_dwordx4 s[24:27], s[4:5], 0x68
	s_andn2_b32 vcc_lo, exec_lo, s11
	s_mov_b32 s19, s7
	s_cbranch_vccnz .LBB68_6
; %bb.5:
	s_mul_hi_u32 s0, s13, s7
	s_add_i32 s0, s7, s0
	s_lshr_b32 s0, s0, s14
	s_mul_i32 s0, s0, s15
	s_sub_i32 s19, s7, s0
.LBB68_6:
	s_load_dword s14, s[4:5], 0x78
	v_cmp_gt_u32_e32 vcc_lo, 32, v0
	v_lshl_add_u32 v5, v0, 2, 0
	s_and_saveexec_b32 s0, vcc_lo
; %bb.7:
	v_mov_b32_e32 v1, 0
	ds_write_b32 v5, v1
; %bb.8:
	s_or_b32 exec_lo, exec_lo, s0
	v_mov_b32_e32 v6, 0
	v_mov_b32_e32 v7, 0
	;; [unrolled: 1-line block ×6, first 2 shown]
	s_and_b32 s0, exec_lo, s10
	s_mov_b32 s11, 0
	s_cselect_b32 s10, s8, 0
	s_mov_b32 s13, exec_lo
	s_waitcnt lgkmcnt(0)
	s_barrier
	buffer_gl0_inv
	v_cmpx_gt_i32_e64 s12, v0
	s_cbranch_execz .LBB68_12
; %bb.9:
	s_load_dwordx4 s[0:3], s[4:5], 0x0
	s_mul_hi_u32 s15, s27, s10
	s_mul_hi_i32 s29, s21, s10
	s_mul_i32 s28, s21, s10
	s_mul_i32 s8, s9, s24
	;; [unrolled: 1-line block ×4, first 2 shown]
	s_add_i32 s15, s10, s15
	s_lshl_b64 s[28:29], s[28:29], 2
	s_ashr_i32 s9, s8, 31
	s_ashr_i32 s25, s24, 31
	;; [unrolled: 1-line block ×3, first 2 shown]
	s_lshr_b32 s14, s15, s14
	v_lshlrev_b32_e32 v1, 3, v0
	s_mul_hi_i32 s21, s14, s20
	s_mul_i32 s20, s14, s20
	s_mov_b32 s34, s17
	v_mov_b32_e32 v11, 0
	v_mov_b32_e32 v12, v0
	;; [unrolled: 1-line block ×3, first 2 shown]
	s_waitcnt lgkmcnt(0)
	s_add_u32 s15, s2, s28
	s_addc_u32 s16, s3, s29
	s_lshl_b64 s[30:31], s[30:31], 2
	v_mov_b32_e32 v9, 0
	s_add_u32 s14, s15, s30
	s_addc_u32 s15, s16, s31
	s_lshl_b64 s[8:9], s[8:9], 2
	s_ashr_i32 s35, s17, 31
	s_add_i32 s16, s17, s17
	s_lshl_b32 s19, s17, 2
	s_lshl_b64 s[20:21], s[20:21], 2
	s_lshl_b64 s[24:25], s[24:25], 2
	s_add_u32 s0, s0, s8
	s_addc_u32 s1, s1, s9
	s_add_u32 s0, s0, s24
	s_addc_u32 s1, s1, s25
	;; [unrolled: 2-line block ×3, first 2 shown]
	v_add_co_u32 v2, s0, s0, v1
	s_lshl_b64 s[8:9], s[34:35], 3
	v_add_co_ci_u32_e64 v3, null, s1, 0, s0
	s_add_u32 s0, s2, s30
	s_addc_u32 s1, s3, s31
	s_add_u32 s0, s0, s28
	s_addc_u32 s1, s1, s29
	v_add_co_u32 v4, s0, s0, v1
	v_add_co_ci_u32_e64 v6, null, s1, 0, s0
	v_add_co_u32 v1, s0, v2, 4
	v_add_co_ci_u32_e64 v2, null, 0, v3, s0
	;; [unrolled: 2-line block ×3, first 2 shown]
	v_mov_b32_e32 v8, 0
	v_mov_b32_e32 v7, 0
	;; [unrolled: 1-line block ×3, first 2 shown]
	s_mul_i32 s1, s17, 3
	s_mul_i32 s2, s17, 5
.LBB68_10:                              ; =>This Inner Loop Header: Depth=1
	v_add_nc_u32_e32 v17, s16, v12
	v_add_nc_u32_e32 v21, s1, v12
	;; [unrolled: 1-line block ×4, first 2 shown]
	v_add_co_u32 v19, s0, v3, s8
	v_ashrrev_i32_e32 v18, 31, v17
	v_ashrrev_i32_e32 v22, 31, v21
	;; [unrolled: 1-line block ×4, first 2 shown]
	v_add_co_ci_u32_e64 v20, null, s9, v4, s0
	v_lshlrev_b64 v[17:18], 3, v[17:18]
	v_lshlrev_b64 v[21:22], 3, v[21:22]
	v_lshlrev_b64 v[23:24], 3, v[23:24]
	v_lshlrev_b64 v[25:26], 3, v[25:26]
	global_load_dwordx2 v[13:14], v[1:2], off offset:-4
	global_load_dwordx2 v[15:16], v[3:4], off offset:-4
	v_add_nc_u32_e32 v12, 0xa0, v12
	v_add_co_u32 v17, s0, s14, v17
	v_add_co_ci_u32_e64 v18, null, s15, v18, s0
	v_add_co_u32 v21, s0, s14, v21
	v_add_co_ci_u32_e64 v22, null, s15, v22, s0
	;; [unrolled: 2-line block ×4, first 2 shown]
	global_load_dwordx2 v[19:20], v[19:20], off offset:-4
	s_clause 0x3
	global_load_dwordx2 v[17:18], v[17:18], off
	global_load_dwordx2 v[21:22], v[21:22], off
	;; [unrolled: 1-line block ×4, first 2 shown]
	v_add_co_u32 v1, s0, 0x500, v1
	v_add_co_ci_u32_e64 v2, null, 0, v2, s0
	v_add_co_u32 v3, s0, 0x500, v3
	v_add_co_ci_u32_e64 v4, null, 0, v4, s0
	v_cmp_le_i32_e64 s0, s12, v12
	s_or_b32 s11, s0, s11
	s_waitcnt vmcnt(5)
	v_fmac_f32_e32 v11, v13, v15
	v_fmac_f32_e32 v11, v14, v16
	s_waitcnt vmcnt(4)
	v_fmac_f32_e32 v10, v13, v19
	s_waitcnt vmcnt(3)
	;; [unrolled: 2-line block ×5, first 2 shown]
	v_fmac_f32_e32 v6, v13, v25
	v_fmac_f32_e32 v10, v14, v20
	;; [unrolled: 1-line block ×6, first 2 shown]
	s_andn2_b32 exec_lo, exec_lo, s11
	s_cbranch_execnz .LBB68_10
; %bb.11:
	s_or_b32 exec_lo, exec_lo, s11
.LBB68_12:
	s_or_b32 exec_lo, exec_lo, s13
	v_mbcnt_lo_u32_b32 v2, -1, 0
	v_xor_b32_e32 v1, 16, v2
	v_xor_b32_e32 v3, 8, v2
	v_cmp_gt_i32_e64 s0, 32, v1
	v_cndmask_b32_e64 v1, v2, v1, s0
	v_cmp_gt_i32_e64 s0, 32, v3
	v_lshlrev_b32_e32 v1, 2, v1
	v_cndmask_b32_e64 v3, v2, v3, s0
	ds_bpermute_b32 v4, v1, v11
	v_lshlrev_b32_e32 v3, 2, v3
	s_waitcnt lgkmcnt(0)
	v_add_f32_e32 v11, v11, v4
	v_xor_b32_e32 v4, 4, v2
	ds_bpermute_b32 v12, v3, v11
	v_cmp_gt_i32_e64 s0, 32, v4
	v_cndmask_b32_e64 v4, v2, v4, s0
	v_lshlrev_b32_e32 v4, 2, v4
	s_waitcnt lgkmcnt(0)
	v_add_f32_e32 v12, v11, v12
	v_xor_b32_e32 v11, 2, v2
	ds_bpermute_b32 v13, v4, v12
	v_cmp_gt_i32_e64 s0, 32, v11
	v_cndmask_b32_e64 v11, v2, v11, s0
	v_lshlrev_b32_e32 v11, 2, v11
	s_waitcnt lgkmcnt(0)
	v_add_f32_e32 v13, v12, v13
	v_xor_b32_e32 v12, 1, v2
	ds_bpermute_b32 v14, v11, v13
	v_cmp_gt_i32_e64 s0, 32, v12
	v_cndmask_b32_e64 v2, v2, v12, s0
	v_lshlrev_b32_e32 v12, 2, v2
	s_waitcnt lgkmcnt(0)
	v_add_f32_e32 v2, v13, v14
	v_lshrrev_b32_e32 v13, 3, v0
	ds_bpermute_b32 v14, v12, v2
	v_and_b32_e32 v13, 0x7c, v13
	v_add_nc_u32_e32 v13, 0, v13
	s_waitcnt lgkmcnt(0)
	v_add_f32_e32 v2, v2, v14
	ds_write_b32 v13, v2
	s_waitcnt lgkmcnt(0)
	s_barrier
	buffer_gl0_inv
	s_and_saveexec_b32 s0, vcc_lo
	s_cbranch_execz .LBB68_14
; %bb.13:
	ds_read_b32 v2, v5
	s_waitcnt lgkmcnt(0)
	ds_bpermute_b32 v14, v1, v2
	s_waitcnt lgkmcnt(0)
	v_add_f32_e32 v2, v2, v14
	ds_bpermute_b32 v14, v3, v2
	s_waitcnt lgkmcnt(0)
	v_add_f32_e32 v2, v2, v14
	ds_bpermute_b32 v14, v4, v2
	s_waitcnt lgkmcnt(0)
	v_add_f32_e32 v2, v2, v14
	ds_bpermute_b32 v14, v11, v2
	s_waitcnt lgkmcnt(0)
	v_add_f32_e32 v2, v2, v14
	ds_bpermute_b32 v14, v12, v2
	s_waitcnt lgkmcnt(0)
	v_add_f32_e32 v2, v2, v14
.LBB68_14:
	s_or_b32 exec_lo, exec_lo, s0
	ds_bpermute_b32 v14, v1, v10
	s_waitcnt lgkmcnt(0)
	s_barrier
	buffer_gl0_inv
	v_add_f32_e32 v10, v10, v14
	ds_bpermute_b32 v14, v3, v10
	s_waitcnt lgkmcnt(0)
	v_add_f32_e32 v10, v10, v14
	ds_bpermute_b32 v14, v4, v10
	s_waitcnt lgkmcnt(0)
	v_add_f32_e32 v10, v10, v14
	ds_bpermute_b32 v14, v11, v10
	s_waitcnt lgkmcnt(0)
	v_add_f32_e32 v10, v10, v14
	ds_bpermute_b32 v14, v12, v10
	s_waitcnt lgkmcnt(0)
	v_add_f32_e32 v10, v10, v14
	ds_write_b32 v13, v10
	s_waitcnt lgkmcnt(0)
	s_barrier
	buffer_gl0_inv
	s_and_saveexec_b32 s0, vcc_lo
	s_cbranch_execz .LBB68_16
; %bb.15:
	ds_read_b32 v10, v5
	s_waitcnt lgkmcnt(0)
	ds_bpermute_b32 v14, v1, v10
	s_waitcnt lgkmcnt(0)
	v_add_f32_e32 v10, v10, v14
	ds_bpermute_b32 v14, v3, v10
	s_waitcnt lgkmcnt(0)
	v_add_f32_e32 v10, v10, v14
	ds_bpermute_b32 v14, v4, v10
	s_waitcnt lgkmcnt(0)
	v_add_f32_e32 v10, v10, v14
	ds_bpermute_b32 v14, v11, v10
	s_waitcnt lgkmcnt(0)
	v_add_f32_e32 v10, v10, v14
	ds_bpermute_b32 v14, v12, v10
	s_waitcnt lgkmcnt(0)
	v_add_f32_e32 v10, v10, v14
.LBB68_16:
	s_or_b32 exec_lo, exec_lo, s0
	ds_bpermute_b32 v14, v1, v9
	s_waitcnt lgkmcnt(0)
	s_barrier
	buffer_gl0_inv
	v_add_f32_e32 v9, v9, v14
	ds_bpermute_b32 v14, v3, v9
	s_waitcnt lgkmcnt(0)
	v_add_f32_e32 v9, v9, v14
	ds_bpermute_b32 v14, v4, v9
	s_waitcnt lgkmcnt(0)
	v_add_f32_e32 v9, v9, v14
	ds_bpermute_b32 v14, v11, v9
	s_waitcnt lgkmcnt(0)
	v_add_f32_e32 v9, v9, v14
	ds_bpermute_b32 v14, v12, v9
	;; [unrolled: 43-line block ×5, first 2 shown]
	s_waitcnt lgkmcnt(0)
	v_add_f32_e32 v6, v6, v14
	ds_write_b32 v13, v6
	s_waitcnt lgkmcnt(0)
	s_barrier
	buffer_gl0_inv
	s_and_saveexec_b32 s0, vcc_lo
	s_cbranch_execz .LBB68_24
; %bb.23:
	ds_read_b32 v5, v5
	s_waitcnt lgkmcnt(0)
	ds_bpermute_b32 v1, v1, v5
	s_waitcnt lgkmcnt(0)
	v_add_f32_e32 v1, v5, v1
	ds_bpermute_b32 v3, v3, v1
	s_waitcnt lgkmcnt(0)
	v_add_f32_e32 v1, v1, v3
	;; [unrolled: 3-line block ×5, first 2 shown]
.LBB68_24:
	s_or_b32 exec_lo, exec_lo, s0
	s_barrier
	buffer_gl0_inv
	s_mov_b32 s0, exec_lo
	v_cmpx_gt_u32_e32 6, v0
	s_cbranch_execz .LBB68_26
; %bb.25:
	s_load_dwordx2 s[0:1], s[4:5], 0x38
	v_cmp_eq_u32_e32 vcc_lo, 1, v0
	s_mul_hi_i32 s3, s22, s10
	s_mul_i32 s2, s22, s10
	s_mul_i32 s4, s26, s7
	s_lshl_b64 s[2:3], s[2:3], 2
	v_cndmask_b32_e32 v3, v2, v10, vcc_lo
	v_cmp_eq_u32_e32 vcc_lo, 2, v0
	v_mad_u64_u32 v[1:2], null, s18, v0, s[6:7]
	s_ashr_i32 s5, s4, 31
	v_cndmask_b32_e32 v3, v3, v9, vcc_lo
	v_cmp_eq_u32_e32 vcc_lo, 3, v0
	v_ashrrev_i32_e32 v2, 31, v1
	v_cndmask_b32_e32 v3, v3, v8, vcc_lo
	v_cmp_eq_u32_e32 vcc_lo, 4, v0
	s_waitcnt lgkmcnt(0)
	s_add_u32 s2, s0, s2
	v_lshlrev_b64 v[1:2], 2, v[1:2]
	s_addc_u32 s3, s1, s3
	s_lshl_b64 s[0:1], s[4:5], 2
	v_cndmask_b32_e32 v3, v3, v7, vcc_lo
	v_cmp_eq_u32_e32 vcc_lo, 5, v0
	s_add_u32 s0, s2, s0
	s_addc_u32 s1, s3, s1
	v_cndmask_b32_e32 v3, v3, v6, vcc_lo
	v_add_co_u32 v0, vcc_lo, s0, v1
	v_add_co_ci_u32_e64 v1, null, s1, v2, vcc_lo
	global_store_dword v[0:1], v3, off
.LBB68_26:
	s_endpgm
	.section	.rodata,"a",@progbits
	.p2align	6, 0x0
	.amdhsa_kernel _ZL13mul_mat_vec_fIffLi6ELi160ELb0ELb0EEvPKT_PKfPKi31ggml_cuda_mm_fusion_args_devicePfi15HIP_vector_typeIjLj3EEiiiSA_iiiSA_iiii
		.amdhsa_group_segment_fixed_size 0
		.amdhsa_private_segment_fixed_size 0
		.amdhsa_kernarg_size 144
		.amdhsa_user_sgpr_count 6
		.amdhsa_user_sgpr_private_segment_buffer 1
		.amdhsa_user_sgpr_dispatch_ptr 0
		.amdhsa_user_sgpr_queue_ptr 0
		.amdhsa_user_sgpr_kernarg_segment_ptr 1
		.amdhsa_user_sgpr_dispatch_id 0
		.amdhsa_user_sgpr_flat_scratch_init 0
		.amdhsa_user_sgpr_private_segment_size 0
		.amdhsa_wavefront_size32 1
		.amdhsa_uses_dynamic_stack 0
		.amdhsa_system_sgpr_private_segment_wavefront_offset 0
		.amdhsa_system_sgpr_workgroup_id_x 1
		.amdhsa_system_sgpr_workgroup_id_y 1
		.amdhsa_system_sgpr_workgroup_id_z 1
		.amdhsa_system_sgpr_workgroup_info 0
		.amdhsa_system_vgpr_workitem_id 0
		.amdhsa_next_free_vgpr 27
		.amdhsa_next_free_sgpr 36
		.amdhsa_reserve_vcc 1
		.amdhsa_reserve_flat_scratch 0
		.amdhsa_float_round_mode_32 0
		.amdhsa_float_round_mode_16_64 0
		.amdhsa_float_denorm_mode_32 3
		.amdhsa_float_denorm_mode_16_64 3
		.amdhsa_dx10_clamp 1
		.amdhsa_ieee_mode 1
		.amdhsa_fp16_overflow 0
		.amdhsa_workgroup_processor_mode 1
		.amdhsa_memory_ordered 1
		.amdhsa_forward_progress 1
		.amdhsa_shared_vgpr_count 0
		.amdhsa_exception_fp_ieee_invalid_op 0
		.amdhsa_exception_fp_denorm_src 0
		.amdhsa_exception_fp_ieee_div_zero 0
		.amdhsa_exception_fp_ieee_overflow 0
		.amdhsa_exception_fp_ieee_underflow 0
		.amdhsa_exception_fp_ieee_inexact 0
		.amdhsa_exception_int_div_zero 0
	.end_amdhsa_kernel
	.section	.text._ZL13mul_mat_vec_fIffLi6ELi160ELb0ELb0EEvPKT_PKfPKi31ggml_cuda_mm_fusion_args_devicePfi15HIP_vector_typeIjLj3EEiiiSA_iiiSA_iiii,"axG",@progbits,_ZL13mul_mat_vec_fIffLi6ELi160ELb0ELb0EEvPKT_PKfPKi31ggml_cuda_mm_fusion_args_devicePfi15HIP_vector_typeIjLj3EEiiiSA_iiiSA_iiii,comdat
.Lfunc_end68:
	.size	_ZL13mul_mat_vec_fIffLi6ELi160ELb0ELb0EEvPKT_PKfPKi31ggml_cuda_mm_fusion_args_devicePfi15HIP_vector_typeIjLj3EEiiiSA_iiiSA_iiii, .Lfunc_end68-_ZL13mul_mat_vec_fIffLi6ELi160ELb0ELb0EEvPKT_PKfPKi31ggml_cuda_mm_fusion_args_devicePfi15HIP_vector_typeIjLj3EEiiiSA_iiiSA_iiii
                                        ; -- End function
	.set _ZL13mul_mat_vec_fIffLi6ELi160ELb0ELb0EEvPKT_PKfPKi31ggml_cuda_mm_fusion_args_devicePfi15HIP_vector_typeIjLj3EEiiiSA_iiiSA_iiii.num_vgpr, 27
	.set _ZL13mul_mat_vec_fIffLi6ELi160ELb0ELb0EEvPKT_PKfPKi31ggml_cuda_mm_fusion_args_devicePfi15HIP_vector_typeIjLj3EEiiiSA_iiiSA_iiii.num_agpr, 0
	.set _ZL13mul_mat_vec_fIffLi6ELi160ELb0ELb0EEvPKT_PKfPKi31ggml_cuda_mm_fusion_args_devicePfi15HIP_vector_typeIjLj3EEiiiSA_iiiSA_iiii.numbered_sgpr, 36
	.set _ZL13mul_mat_vec_fIffLi6ELi160ELb0ELb0EEvPKT_PKfPKi31ggml_cuda_mm_fusion_args_devicePfi15HIP_vector_typeIjLj3EEiiiSA_iiiSA_iiii.num_named_barrier, 0
	.set _ZL13mul_mat_vec_fIffLi6ELi160ELb0ELb0EEvPKT_PKfPKi31ggml_cuda_mm_fusion_args_devicePfi15HIP_vector_typeIjLj3EEiiiSA_iiiSA_iiii.private_seg_size, 0
	.set _ZL13mul_mat_vec_fIffLi6ELi160ELb0ELb0EEvPKT_PKfPKi31ggml_cuda_mm_fusion_args_devicePfi15HIP_vector_typeIjLj3EEiiiSA_iiiSA_iiii.uses_vcc, 1
	.set _ZL13mul_mat_vec_fIffLi6ELi160ELb0ELb0EEvPKT_PKfPKi31ggml_cuda_mm_fusion_args_devicePfi15HIP_vector_typeIjLj3EEiiiSA_iiiSA_iiii.uses_flat_scratch, 0
	.set _ZL13mul_mat_vec_fIffLi6ELi160ELb0ELb0EEvPKT_PKfPKi31ggml_cuda_mm_fusion_args_devicePfi15HIP_vector_typeIjLj3EEiiiSA_iiiSA_iiii.has_dyn_sized_stack, 0
	.set _ZL13mul_mat_vec_fIffLi6ELi160ELb0ELb0EEvPKT_PKfPKi31ggml_cuda_mm_fusion_args_devicePfi15HIP_vector_typeIjLj3EEiiiSA_iiiSA_iiii.has_recursion, 0
	.set _ZL13mul_mat_vec_fIffLi6ELi160ELb0ELb0EEvPKT_PKfPKi31ggml_cuda_mm_fusion_args_devicePfi15HIP_vector_typeIjLj3EEiiiSA_iiiSA_iiii.has_indirect_call, 0
	.section	.AMDGPU.csdata,"",@progbits
; Kernel info:
; codeLenInByte = 2500
; TotalNumSgprs: 38
; NumVgprs: 27
; ScratchSize: 0
; MemoryBound: 0
; FloatMode: 240
; IeeeMode: 1
; LDSByteSize: 0 bytes/workgroup (compile time only)
; SGPRBlocks: 0
; VGPRBlocks: 3
; NumSGPRsForWavesPerEU: 38
; NumVGPRsForWavesPerEU: 27
; Occupancy: 16
; WaveLimiterHint : 0
; COMPUTE_PGM_RSRC2:SCRATCH_EN: 0
; COMPUTE_PGM_RSRC2:USER_SGPR: 6
; COMPUTE_PGM_RSRC2:TRAP_HANDLER: 0
; COMPUTE_PGM_RSRC2:TGID_X_EN: 1
; COMPUTE_PGM_RSRC2:TGID_Y_EN: 1
; COMPUTE_PGM_RSRC2:TGID_Z_EN: 1
; COMPUTE_PGM_RSRC2:TIDIG_COMP_CNT: 0
	.section	.text._ZL13mul_mat_vec_fIffLi6ELi192ELb0ELb0EEvPKT_PKfPKi31ggml_cuda_mm_fusion_args_devicePfi15HIP_vector_typeIjLj3EEiiiSA_iiiSA_iiii,"axG",@progbits,_ZL13mul_mat_vec_fIffLi6ELi192ELb0ELb0EEvPKT_PKfPKi31ggml_cuda_mm_fusion_args_devicePfi15HIP_vector_typeIjLj3EEiiiSA_iiiSA_iiii,comdat
	.globl	_ZL13mul_mat_vec_fIffLi6ELi192ELb0ELb0EEvPKT_PKfPKi31ggml_cuda_mm_fusion_args_devicePfi15HIP_vector_typeIjLj3EEiiiSA_iiiSA_iiii ; -- Begin function _ZL13mul_mat_vec_fIffLi6ELi192ELb0ELb0EEvPKT_PKfPKi31ggml_cuda_mm_fusion_args_devicePfi15HIP_vector_typeIjLj3EEiiiSA_iiiSA_iiii
	.p2align	8
	.type	_ZL13mul_mat_vec_fIffLi6ELi192ELb0ELb0EEvPKT_PKfPKi31ggml_cuda_mm_fusion_args_devicePfi15HIP_vector_typeIjLj3EEiiiSA_iiiSA_iiii,@function
_ZL13mul_mat_vec_fIffLi6ELi192ELb0ELb0EEvPKT_PKfPKi31ggml_cuda_mm_fusion_args_devicePfi15HIP_vector_typeIjLj3EEiiiSA_iiiSA_iiii: ; @_ZL13mul_mat_vec_fIffLi6ELi192ELb0ELb0EEvPKT_PKfPKi31ggml_cuda_mm_fusion_args_devicePfi15HIP_vector_typeIjLj3EEiiiSA_iiiSA_iiii
; %bb.0:
	s_clause 0x2
	s_load_dwordx2 s[0:1], s[4:5], 0x10
	s_load_dwordx8 s[12:19], s[4:5], 0x40
	s_load_dwordx4 s[20:23], s[4:5], 0x80
	s_waitcnt lgkmcnt(0)
	s_cmp_eq_u64 s[0:1], 0
	s_cselect_b32 s10, -1, 0
	s_cmp_lg_u64 s[0:1], 0
	s_cselect_b32 s11, -1, 0
	s_and_b32 vcc_lo, exec_lo, s10
	s_cbranch_vccnz .LBB69_2
; %bb.1:
	s_mul_i32 s2, s23, s8
	s_mov_b32 s3, 0
	s_add_i32 s2, s2, s7
	s_lshl_b64 s[24:25], s[2:3], 2
	s_add_u32 s0, s0, s24
	s_addc_u32 s1, s1, s25
	s_load_dword s9, s[0:1], 0x0
	s_cbranch_execz .LBB69_3
	s_branch .LBB69_4
.LBB69_2:
                                        ; implicit-def: $sgpr9
.LBB69_3:
	s_load_dwordx2 s[0:1], s[4:5], 0x5c
	s_waitcnt lgkmcnt(0)
	s_mul_hi_u32 s0, s0, s7
	s_add_i32 s0, s7, s0
	s_lshr_b32 s9, s0, s1
.LBB69_4:
	s_load_dwordx4 s[24:27], s[4:5], 0x68
	s_andn2_b32 vcc_lo, exec_lo, s11
	s_mov_b32 s19, s7
	s_cbranch_vccnz .LBB69_6
; %bb.5:
	s_mul_hi_u32 s0, s13, s7
	s_add_i32 s0, s7, s0
	s_lshr_b32 s0, s0, s14
	s_mul_i32 s0, s0, s15
	s_sub_i32 s19, s7, s0
.LBB69_6:
	s_load_dword s14, s[4:5], 0x78
	v_cmp_gt_u32_e32 vcc_lo, 32, v0
	v_lshl_add_u32 v5, v0, 2, 0
	s_and_saveexec_b32 s0, vcc_lo
; %bb.7:
	v_mov_b32_e32 v1, 0
	ds_write_b32 v5, v1
; %bb.8:
	s_or_b32 exec_lo, exec_lo, s0
	v_mov_b32_e32 v6, 0
	v_mov_b32_e32 v7, 0
	;; [unrolled: 1-line block ×6, first 2 shown]
	s_and_b32 s0, exec_lo, s10
	s_mov_b32 s11, 0
	s_cselect_b32 s10, s8, 0
	s_mov_b32 s13, exec_lo
	s_waitcnt lgkmcnt(0)
	s_barrier
	buffer_gl0_inv
	v_cmpx_gt_i32_e64 s12, v0
	s_cbranch_execz .LBB69_12
; %bb.9:
	s_load_dwordx4 s[0:3], s[4:5], 0x0
	s_mul_hi_u32 s15, s27, s10
	s_mul_hi_i32 s29, s21, s10
	s_mul_i32 s28, s21, s10
	s_mul_i32 s8, s9, s24
	;; [unrolled: 1-line block ×4, first 2 shown]
	s_add_i32 s15, s10, s15
	s_lshl_b64 s[28:29], s[28:29], 2
	s_ashr_i32 s9, s8, 31
	s_ashr_i32 s25, s24, 31
	;; [unrolled: 1-line block ×3, first 2 shown]
	s_lshr_b32 s14, s15, s14
	v_lshlrev_b32_e32 v1, 3, v0
	s_mul_hi_i32 s21, s14, s20
	s_mul_i32 s20, s14, s20
	s_mov_b32 s34, s17
	v_mov_b32_e32 v11, 0
	v_mov_b32_e32 v12, v0
	;; [unrolled: 1-line block ×3, first 2 shown]
	s_waitcnt lgkmcnt(0)
	s_add_u32 s15, s2, s28
	s_addc_u32 s16, s3, s29
	s_lshl_b64 s[30:31], s[30:31], 2
	v_mov_b32_e32 v9, 0
	s_add_u32 s14, s15, s30
	s_addc_u32 s15, s16, s31
	s_lshl_b64 s[8:9], s[8:9], 2
	s_ashr_i32 s35, s17, 31
	s_add_i32 s16, s17, s17
	s_lshl_b32 s19, s17, 2
	s_lshl_b64 s[20:21], s[20:21], 2
	s_lshl_b64 s[24:25], s[24:25], 2
	s_add_u32 s0, s0, s8
	s_addc_u32 s1, s1, s9
	s_add_u32 s0, s0, s24
	s_addc_u32 s1, s1, s25
	;; [unrolled: 2-line block ×3, first 2 shown]
	v_add_co_u32 v2, s0, s0, v1
	s_lshl_b64 s[8:9], s[34:35], 3
	v_add_co_ci_u32_e64 v3, null, s1, 0, s0
	s_add_u32 s0, s2, s30
	s_addc_u32 s1, s3, s31
	s_add_u32 s0, s0, s28
	s_addc_u32 s1, s1, s29
	v_add_co_u32 v4, s0, s0, v1
	v_add_co_ci_u32_e64 v6, null, s1, 0, s0
	v_add_co_u32 v1, s0, v2, 4
	v_add_co_ci_u32_e64 v2, null, 0, v3, s0
	;; [unrolled: 2-line block ×3, first 2 shown]
	v_mov_b32_e32 v8, 0
	v_mov_b32_e32 v7, 0
	;; [unrolled: 1-line block ×3, first 2 shown]
	s_mul_i32 s1, s17, 3
	s_mul_i32 s2, s17, 5
.LBB69_10:                              ; =>This Inner Loop Header: Depth=1
	v_add_nc_u32_e32 v17, s16, v12
	v_add_nc_u32_e32 v21, s1, v12
	;; [unrolled: 1-line block ×4, first 2 shown]
	v_add_co_u32 v19, s0, v3, s8
	v_ashrrev_i32_e32 v18, 31, v17
	v_ashrrev_i32_e32 v22, 31, v21
	;; [unrolled: 1-line block ×4, first 2 shown]
	v_add_co_ci_u32_e64 v20, null, s9, v4, s0
	v_lshlrev_b64 v[17:18], 3, v[17:18]
	v_lshlrev_b64 v[21:22], 3, v[21:22]
	;; [unrolled: 1-line block ×4, first 2 shown]
	global_load_dwordx2 v[13:14], v[1:2], off offset:-4
	global_load_dwordx2 v[15:16], v[3:4], off offset:-4
	v_add_nc_u32_e32 v12, 0xc0, v12
	v_add_co_u32 v17, s0, s14, v17
	v_add_co_ci_u32_e64 v18, null, s15, v18, s0
	v_add_co_u32 v21, s0, s14, v21
	v_add_co_ci_u32_e64 v22, null, s15, v22, s0
	;; [unrolled: 2-line block ×4, first 2 shown]
	global_load_dwordx2 v[19:20], v[19:20], off offset:-4
	s_clause 0x3
	global_load_dwordx2 v[17:18], v[17:18], off
	global_load_dwordx2 v[21:22], v[21:22], off
	;; [unrolled: 1-line block ×4, first 2 shown]
	v_add_co_u32 v1, s0, 0x600, v1
	v_add_co_ci_u32_e64 v2, null, 0, v2, s0
	v_add_co_u32 v3, s0, 0x600, v3
	v_add_co_ci_u32_e64 v4, null, 0, v4, s0
	v_cmp_le_i32_e64 s0, s12, v12
	s_or_b32 s11, s0, s11
	s_waitcnt vmcnt(5)
	v_fmac_f32_e32 v11, v13, v15
	v_fmac_f32_e32 v11, v14, v16
	s_waitcnt vmcnt(4)
	v_fmac_f32_e32 v10, v13, v19
	s_waitcnt vmcnt(3)
	v_fmac_f32_e32 v9, v13, v17
	s_waitcnt vmcnt(2)
	v_fmac_f32_e32 v8, v13, v21
	s_waitcnt vmcnt(1)
	v_fmac_f32_e32 v7, v13, v23
	s_waitcnt vmcnt(0)
	v_fmac_f32_e32 v6, v13, v25
	v_fmac_f32_e32 v10, v14, v20
	;; [unrolled: 1-line block ×6, first 2 shown]
	s_andn2_b32 exec_lo, exec_lo, s11
	s_cbranch_execnz .LBB69_10
; %bb.11:
	s_or_b32 exec_lo, exec_lo, s11
.LBB69_12:
	s_or_b32 exec_lo, exec_lo, s13
	v_mbcnt_lo_u32_b32 v2, -1, 0
	v_xor_b32_e32 v1, 16, v2
	v_xor_b32_e32 v3, 8, v2
	v_cmp_gt_i32_e64 s0, 32, v1
	v_cndmask_b32_e64 v1, v2, v1, s0
	v_cmp_gt_i32_e64 s0, 32, v3
	v_lshlrev_b32_e32 v1, 2, v1
	v_cndmask_b32_e64 v3, v2, v3, s0
	ds_bpermute_b32 v4, v1, v11
	v_lshlrev_b32_e32 v3, 2, v3
	s_waitcnt lgkmcnt(0)
	v_add_f32_e32 v11, v11, v4
	v_xor_b32_e32 v4, 4, v2
	ds_bpermute_b32 v12, v3, v11
	v_cmp_gt_i32_e64 s0, 32, v4
	v_cndmask_b32_e64 v4, v2, v4, s0
	v_lshlrev_b32_e32 v4, 2, v4
	s_waitcnt lgkmcnt(0)
	v_add_f32_e32 v12, v11, v12
	v_xor_b32_e32 v11, 2, v2
	ds_bpermute_b32 v13, v4, v12
	v_cmp_gt_i32_e64 s0, 32, v11
	v_cndmask_b32_e64 v11, v2, v11, s0
	;; [unrolled: 7-line block ×3, first 2 shown]
	v_lshlrev_b32_e32 v12, 2, v2
	s_waitcnt lgkmcnt(0)
	v_add_f32_e32 v2, v13, v14
	v_lshrrev_b32_e32 v13, 3, v0
	ds_bpermute_b32 v14, v12, v2
	v_and_b32_e32 v13, 0x7c, v13
	v_add_nc_u32_e32 v13, 0, v13
	s_waitcnt lgkmcnt(0)
	v_add_f32_e32 v2, v2, v14
	ds_write_b32 v13, v2
	s_waitcnt lgkmcnt(0)
	s_barrier
	buffer_gl0_inv
	s_and_saveexec_b32 s0, vcc_lo
	s_cbranch_execz .LBB69_14
; %bb.13:
	ds_read_b32 v2, v5
	s_waitcnt lgkmcnt(0)
	ds_bpermute_b32 v14, v1, v2
	s_waitcnt lgkmcnt(0)
	v_add_f32_e32 v2, v2, v14
	ds_bpermute_b32 v14, v3, v2
	s_waitcnt lgkmcnt(0)
	v_add_f32_e32 v2, v2, v14
	ds_bpermute_b32 v14, v4, v2
	s_waitcnt lgkmcnt(0)
	v_add_f32_e32 v2, v2, v14
	ds_bpermute_b32 v14, v11, v2
	s_waitcnt lgkmcnt(0)
	v_add_f32_e32 v2, v2, v14
	ds_bpermute_b32 v14, v12, v2
	s_waitcnt lgkmcnt(0)
	v_add_f32_e32 v2, v2, v14
.LBB69_14:
	s_or_b32 exec_lo, exec_lo, s0
	ds_bpermute_b32 v14, v1, v10
	s_waitcnt lgkmcnt(0)
	s_barrier
	buffer_gl0_inv
	v_add_f32_e32 v10, v10, v14
	ds_bpermute_b32 v14, v3, v10
	s_waitcnt lgkmcnt(0)
	v_add_f32_e32 v10, v10, v14
	ds_bpermute_b32 v14, v4, v10
	s_waitcnt lgkmcnt(0)
	v_add_f32_e32 v10, v10, v14
	ds_bpermute_b32 v14, v11, v10
	s_waitcnt lgkmcnt(0)
	v_add_f32_e32 v10, v10, v14
	ds_bpermute_b32 v14, v12, v10
	s_waitcnt lgkmcnt(0)
	v_add_f32_e32 v10, v10, v14
	ds_write_b32 v13, v10
	s_waitcnt lgkmcnt(0)
	s_barrier
	buffer_gl0_inv
	s_and_saveexec_b32 s0, vcc_lo
	s_cbranch_execz .LBB69_16
; %bb.15:
	ds_read_b32 v10, v5
	s_waitcnt lgkmcnt(0)
	ds_bpermute_b32 v14, v1, v10
	s_waitcnt lgkmcnt(0)
	v_add_f32_e32 v10, v10, v14
	ds_bpermute_b32 v14, v3, v10
	s_waitcnt lgkmcnt(0)
	v_add_f32_e32 v10, v10, v14
	ds_bpermute_b32 v14, v4, v10
	s_waitcnt lgkmcnt(0)
	v_add_f32_e32 v10, v10, v14
	ds_bpermute_b32 v14, v11, v10
	s_waitcnt lgkmcnt(0)
	v_add_f32_e32 v10, v10, v14
	ds_bpermute_b32 v14, v12, v10
	s_waitcnt lgkmcnt(0)
	v_add_f32_e32 v10, v10, v14
.LBB69_16:
	s_or_b32 exec_lo, exec_lo, s0
	ds_bpermute_b32 v14, v1, v9
	s_waitcnt lgkmcnt(0)
	s_barrier
	buffer_gl0_inv
	v_add_f32_e32 v9, v9, v14
	ds_bpermute_b32 v14, v3, v9
	s_waitcnt lgkmcnt(0)
	v_add_f32_e32 v9, v9, v14
	ds_bpermute_b32 v14, v4, v9
	s_waitcnt lgkmcnt(0)
	v_add_f32_e32 v9, v9, v14
	ds_bpermute_b32 v14, v11, v9
	s_waitcnt lgkmcnt(0)
	v_add_f32_e32 v9, v9, v14
	ds_bpermute_b32 v14, v12, v9
	;; [unrolled: 43-line block ×5, first 2 shown]
	s_waitcnt lgkmcnt(0)
	v_add_f32_e32 v6, v6, v14
	ds_write_b32 v13, v6
	s_waitcnt lgkmcnt(0)
	s_barrier
	buffer_gl0_inv
	s_and_saveexec_b32 s0, vcc_lo
	s_cbranch_execz .LBB69_24
; %bb.23:
	ds_read_b32 v5, v5
	s_waitcnt lgkmcnt(0)
	ds_bpermute_b32 v1, v1, v5
	s_waitcnt lgkmcnt(0)
	v_add_f32_e32 v1, v5, v1
	ds_bpermute_b32 v3, v3, v1
	s_waitcnt lgkmcnt(0)
	v_add_f32_e32 v1, v1, v3
	;; [unrolled: 3-line block ×5, first 2 shown]
.LBB69_24:
	s_or_b32 exec_lo, exec_lo, s0
	s_barrier
	buffer_gl0_inv
	s_mov_b32 s0, exec_lo
	v_cmpx_gt_u32_e32 6, v0
	s_cbranch_execz .LBB69_26
; %bb.25:
	s_load_dwordx2 s[0:1], s[4:5], 0x38
	v_cmp_eq_u32_e32 vcc_lo, 1, v0
	s_mul_hi_i32 s3, s22, s10
	s_mul_i32 s2, s22, s10
	s_mul_i32 s4, s26, s7
	s_lshl_b64 s[2:3], s[2:3], 2
	v_cndmask_b32_e32 v3, v2, v10, vcc_lo
	v_cmp_eq_u32_e32 vcc_lo, 2, v0
	v_mad_u64_u32 v[1:2], null, s18, v0, s[6:7]
	s_ashr_i32 s5, s4, 31
	v_cndmask_b32_e32 v3, v3, v9, vcc_lo
	v_cmp_eq_u32_e32 vcc_lo, 3, v0
	v_ashrrev_i32_e32 v2, 31, v1
	v_cndmask_b32_e32 v3, v3, v8, vcc_lo
	v_cmp_eq_u32_e32 vcc_lo, 4, v0
	s_waitcnt lgkmcnt(0)
	s_add_u32 s2, s0, s2
	v_lshlrev_b64 v[1:2], 2, v[1:2]
	s_addc_u32 s3, s1, s3
	s_lshl_b64 s[0:1], s[4:5], 2
	v_cndmask_b32_e32 v3, v3, v7, vcc_lo
	v_cmp_eq_u32_e32 vcc_lo, 5, v0
	s_add_u32 s0, s2, s0
	s_addc_u32 s1, s3, s1
	v_cndmask_b32_e32 v3, v3, v6, vcc_lo
	v_add_co_u32 v0, vcc_lo, s0, v1
	v_add_co_ci_u32_e64 v1, null, s1, v2, vcc_lo
	global_store_dword v[0:1], v3, off
.LBB69_26:
	s_endpgm
	.section	.rodata,"a",@progbits
	.p2align	6, 0x0
	.amdhsa_kernel _ZL13mul_mat_vec_fIffLi6ELi192ELb0ELb0EEvPKT_PKfPKi31ggml_cuda_mm_fusion_args_devicePfi15HIP_vector_typeIjLj3EEiiiSA_iiiSA_iiii
		.amdhsa_group_segment_fixed_size 0
		.amdhsa_private_segment_fixed_size 0
		.amdhsa_kernarg_size 144
		.amdhsa_user_sgpr_count 6
		.amdhsa_user_sgpr_private_segment_buffer 1
		.amdhsa_user_sgpr_dispatch_ptr 0
		.amdhsa_user_sgpr_queue_ptr 0
		.amdhsa_user_sgpr_kernarg_segment_ptr 1
		.amdhsa_user_sgpr_dispatch_id 0
		.amdhsa_user_sgpr_flat_scratch_init 0
		.amdhsa_user_sgpr_private_segment_size 0
		.amdhsa_wavefront_size32 1
		.amdhsa_uses_dynamic_stack 0
		.amdhsa_system_sgpr_private_segment_wavefront_offset 0
		.amdhsa_system_sgpr_workgroup_id_x 1
		.amdhsa_system_sgpr_workgroup_id_y 1
		.amdhsa_system_sgpr_workgroup_id_z 1
		.amdhsa_system_sgpr_workgroup_info 0
		.amdhsa_system_vgpr_workitem_id 0
		.amdhsa_next_free_vgpr 27
		.amdhsa_next_free_sgpr 36
		.amdhsa_reserve_vcc 1
		.amdhsa_reserve_flat_scratch 0
		.amdhsa_float_round_mode_32 0
		.amdhsa_float_round_mode_16_64 0
		.amdhsa_float_denorm_mode_32 3
		.amdhsa_float_denorm_mode_16_64 3
		.amdhsa_dx10_clamp 1
		.amdhsa_ieee_mode 1
		.amdhsa_fp16_overflow 0
		.amdhsa_workgroup_processor_mode 1
		.amdhsa_memory_ordered 1
		.amdhsa_forward_progress 1
		.amdhsa_shared_vgpr_count 0
		.amdhsa_exception_fp_ieee_invalid_op 0
		.amdhsa_exception_fp_denorm_src 0
		.amdhsa_exception_fp_ieee_div_zero 0
		.amdhsa_exception_fp_ieee_overflow 0
		.amdhsa_exception_fp_ieee_underflow 0
		.amdhsa_exception_fp_ieee_inexact 0
		.amdhsa_exception_int_div_zero 0
	.end_amdhsa_kernel
	.section	.text._ZL13mul_mat_vec_fIffLi6ELi192ELb0ELb0EEvPKT_PKfPKi31ggml_cuda_mm_fusion_args_devicePfi15HIP_vector_typeIjLj3EEiiiSA_iiiSA_iiii,"axG",@progbits,_ZL13mul_mat_vec_fIffLi6ELi192ELb0ELb0EEvPKT_PKfPKi31ggml_cuda_mm_fusion_args_devicePfi15HIP_vector_typeIjLj3EEiiiSA_iiiSA_iiii,comdat
.Lfunc_end69:
	.size	_ZL13mul_mat_vec_fIffLi6ELi192ELb0ELb0EEvPKT_PKfPKi31ggml_cuda_mm_fusion_args_devicePfi15HIP_vector_typeIjLj3EEiiiSA_iiiSA_iiii, .Lfunc_end69-_ZL13mul_mat_vec_fIffLi6ELi192ELb0ELb0EEvPKT_PKfPKi31ggml_cuda_mm_fusion_args_devicePfi15HIP_vector_typeIjLj3EEiiiSA_iiiSA_iiii
                                        ; -- End function
	.set _ZL13mul_mat_vec_fIffLi6ELi192ELb0ELb0EEvPKT_PKfPKi31ggml_cuda_mm_fusion_args_devicePfi15HIP_vector_typeIjLj3EEiiiSA_iiiSA_iiii.num_vgpr, 27
	.set _ZL13mul_mat_vec_fIffLi6ELi192ELb0ELb0EEvPKT_PKfPKi31ggml_cuda_mm_fusion_args_devicePfi15HIP_vector_typeIjLj3EEiiiSA_iiiSA_iiii.num_agpr, 0
	.set _ZL13mul_mat_vec_fIffLi6ELi192ELb0ELb0EEvPKT_PKfPKi31ggml_cuda_mm_fusion_args_devicePfi15HIP_vector_typeIjLj3EEiiiSA_iiiSA_iiii.numbered_sgpr, 36
	.set _ZL13mul_mat_vec_fIffLi6ELi192ELb0ELb0EEvPKT_PKfPKi31ggml_cuda_mm_fusion_args_devicePfi15HIP_vector_typeIjLj3EEiiiSA_iiiSA_iiii.num_named_barrier, 0
	.set _ZL13mul_mat_vec_fIffLi6ELi192ELb0ELb0EEvPKT_PKfPKi31ggml_cuda_mm_fusion_args_devicePfi15HIP_vector_typeIjLj3EEiiiSA_iiiSA_iiii.private_seg_size, 0
	.set _ZL13mul_mat_vec_fIffLi6ELi192ELb0ELb0EEvPKT_PKfPKi31ggml_cuda_mm_fusion_args_devicePfi15HIP_vector_typeIjLj3EEiiiSA_iiiSA_iiii.uses_vcc, 1
	.set _ZL13mul_mat_vec_fIffLi6ELi192ELb0ELb0EEvPKT_PKfPKi31ggml_cuda_mm_fusion_args_devicePfi15HIP_vector_typeIjLj3EEiiiSA_iiiSA_iiii.uses_flat_scratch, 0
	.set _ZL13mul_mat_vec_fIffLi6ELi192ELb0ELb0EEvPKT_PKfPKi31ggml_cuda_mm_fusion_args_devicePfi15HIP_vector_typeIjLj3EEiiiSA_iiiSA_iiii.has_dyn_sized_stack, 0
	.set _ZL13mul_mat_vec_fIffLi6ELi192ELb0ELb0EEvPKT_PKfPKi31ggml_cuda_mm_fusion_args_devicePfi15HIP_vector_typeIjLj3EEiiiSA_iiiSA_iiii.has_recursion, 0
	.set _ZL13mul_mat_vec_fIffLi6ELi192ELb0ELb0EEvPKT_PKfPKi31ggml_cuda_mm_fusion_args_devicePfi15HIP_vector_typeIjLj3EEiiiSA_iiiSA_iiii.has_indirect_call, 0
	.section	.AMDGPU.csdata,"",@progbits
; Kernel info:
; codeLenInByte = 2500
; TotalNumSgprs: 38
; NumVgprs: 27
; ScratchSize: 0
; MemoryBound: 0
; FloatMode: 240
; IeeeMode: 1
; LDSByteSize: 0 bytes/workgroup (compile time only)
; SGPRBlocks: 0
; VGPRBlocks: 3
; NumSGPRsForWavesPerEU: 38
; NumVGPRsForWavesPerEU: 27
; Occupancy: 16
; WaveLimiterHint : 0
; COMPUTE_PGM_RSRC2:SCRATCH_EN: 0
; COMPUTE_PGM_RSRC2:USER_SGPR: 6
; COMPUTE_PGM_RSRC2:TRAP_HANDLER: 0
; COMPUTE_PGM_RSRC2:TGID_X_EN: 1
; COMPUTE_PGM_RSRC2:TGID_Y_EN: 1
; COMPUTE_PGM_RSRC2:TGID_Z_EN: 1
; COMPUTE_PGM_RSRC2:TIDIG_COMP_CNT: 0
	.section	.text._ZL13mul_mat_vec_fIffLi6ELi224ELb0ELb0EEvPKT_PKfPKi31ggml_cuda_mm_fusion_args_devicePfi15HIP_vector_typeIjLj3EEiiiSA_iiiSA_iiii,"axG",@progbits,_ZL13mul_mat_vec_fIffLi6ELi224ELb0ELb0EEvPKT_PKfPKi31ggml_cuda_mm_fusion_args_devicePfi15HIP_vector_typeIjLj3EEiiiSA_iiiSA_iiii,comdat
	.globl	_ZL13mul_mat_vec_fIffLi6ELi224ELb0ELb0EEvPKT_PKfPKi31ggml_cuda_mm_fusion_args_devicePfi15HIP_vector_typeIjLj3EEiiiSA_iiiSA_iiii ; -- Begin function _ZL13mul_mat_vec_fIffLi6ELi224ELb0ELb0EEvPKT_PKfPKi31ggml_cuda_mm_fusion_args_devicePfi15HIP_vector_typeIjLj3EEiiiSA_iiiSA_iiii
	.p2align	8
	.type	_ZL13mul_mat_vec_fIffLi6ELi224ELb0ELb0EEvPKT_PKfPKi31ggml_cuda_mm_fusion_args_devicePfi15HIP_vector_typeIjLj3EEiiiSA_iiiSA_iiii,@function
_ZL13mul_mat_vec_fIffLi6ELi224ELb0ELb0EEvPKT_PKfPKi31ggml_cuda_mm_fusion_args_devicePfi15HIP_vector_typeIjLj3EEiiiSA_iiiSA_iiii: ; @_ZL13mul_mat_vec_fIffLi6ELi224ELb0ELb0EEvPKT_PKfPKi31ggml_cuda_mm_fusion_args_devicePfi15HIP_vector_typeIjLj3EEiiiSA_iiiSA_iiii
; %bb.0:
	s_clause 0x2
	s_load_dwordx2 s[0:1], s[4:5], 0x10
	s_load_dwordx8 s[12:19], s[4:5], 0x40
	s_load_dwordx4 s[20:23], s[4:5], 0x80
	s_waitcnt lgkmcnt(0)
	s_cmp_eq_u64 s[0:1], 0
	s_cselect_b32 s10, -1, 0
	s_cmp_lg_u64 s[0:1], 0
	s_cselect_b32 s11, -1, 0
	s_and_b32 vcc_lo, exec_lo, s10
	s_cbranch_vccnz .LBB70_2
; %bb.1:
	s_mul_i32 s2, s23, s8
	s_mov_b32 s3, 0
	s_add_i32 s2, s2, s7
	s_lshl_b64 s[24:25], s[2:3], 2
	s_add_u32 s0, s0, s24
	s_addc_u32 s1, s1, s25
	s_load_dword s9, s[0:1], 0x0
	s_cbranch_execz .LBB70_3
	s_branch .LBB70_4
.LBB70_2:
                                        ; implicit-def: $sgpr9
.LBB70_3:
	s_load_dwordx2 s[0:1], s[4:5], 0x5c
	s_waitcnt lgkmcnt(0)
	s_mul_hi_u32 s0, s0, s7
	s_add_i32 s0, s7, s0
	s_lshr_b32 s9, s0, s1
.LBB70_4:
	s_load_dwordx4 s[24:27], s[4:5], 0x68
	s_andn2_b32 vcc_lo, exec_lo, s11
	s_mov_b32 s19, s7
	s_cbranch_vccnz .LBB70_6
; %bb.5:
	s_mul_hi_u32 s0, s13, s7
	s_add_i32 s0, s7, s0
	s_lshr_b32 s0, s0, s14
	s_mul_i32 s0, s0, s15
	s_sub_i32 s19, s7, s0
.LBB70_6:
	s_load_dword s14, s[4:5], 0x78
	v_cmp_gt_u32_e32 vcc_lo, 32, v0
	v_lshl_add_u32 v5, v0, 2, 0
	s_and_saveexec_b32 s0, vcc_lo
; %bb.7:
	v_mov_b32_e32 v1, 0
	ds_write_b32 v5, v1
; %bb.8:
	s_or_b32 exec_lo, exec_lo, s0
	v_mov_b32_e32 v6, 0
	v_mov_b32_e32 v7, 0
	;; [unrolled: 1-line block ×6, first 2 shown]
	s_and_b32 s0, exec_lo, s10
	s_mov_b32 s11, 0
	s_cselect_b32 s10, s8, 0
	s_mov_b32 s13, exec_lo
	s_waitcnt lgkmcnt(0)
	s_barrier
	buffer_gl0_inv
	v_cmpx_gt_i32_e64 s12, v0
	s_cbranch_execz .LBB70_12
; %bb.9:
	s_load_dwordx4 s[0:3], s[4:5], 0x0
	s_mul_hi_u32 s15, s27, s10
	s_mul_hi_i32 s29, s21, s10
	s_mul_i32 s28, s21, s10
	s_mul_i32 s8, s9, s24
	;; [unrolled: 1-line block ×4, first 2 shown]
	s_add_i32 s15, s10, s15
	s_lshl_b64 s[28:29], s[28:29], 2
	s_ashr_i32 s9, s8, 31
	s_ashr_i32 s25, s24, 31
	;; [unrolled: 1-line block ×3, first 2 shown]
	s_lshr_b32 s14, s15, s14
	v_lshlrev_b32_e32 v1, 3, v0
	s_mul_hi_i32 s21, s14, s20
	s_mul_i32 s20, s14, s20
	s_mov_b32 s34, s17
	v_mov_b32_e32 v11, 0
	v_mov_b32_e32 v12, v0
	;; [unrolled: 1-line block ×3, first 2 shown]
	s_waitcnt lgkmcnt(0)
	s_add_u32 s15, s2, s28
	s_addc_u32 s16, s3, s29
	s_lshl_b64 s[30:31], s[30:31], 2
	v_mov_b32_e32 v9, 0
	s_add_u32 s14, s15, s30
	s_addc_u32 s15, s16, s31
	s_lshl_b64 s[8:9], s[8:9], 2
	s_ashr_i32 s35, s17, 31
	s_add_i32 s16, s17, s17
	s_lshl_b32 s19, s17, 2
	s_lshl_b64 s[20:21], s[20:21], 2
	s_lshl_b64 s[24:25], s[24:25], 2
	s_add_u32 s0, s0, s8
	s_addc_u32 s1, s1, s9
	s_add_u32 s0, s0, s24
	s_addc_u32 s1, s1, s25
	;; [unrolled: 2-line block ×3, first 2 shown]
	v_add_co_u32 v2, s0, s0, v1
	s_lshl_b64 s[8:9], s[34:35], 3
	v_add_co_ci_u32_e64 v3, null, s1, 0, s0
	s_add_u32 s0, s2, s30
	s_addc_u32 s1, s3, s31
	s_add_u32 s0, s0, s28
	s_addc_u32 s1, s1, s29
	v_add_co_u32 v4, s0, s0, v1
	v_add_co_ci_u32_e64 v6, null, s1, 0, s0
	v_add_co_u32 v1, s0, v2, 4
	v_add_co_ci_u32_e64 v2, null, 0, v3, s0
	;; [unrolled: 2-line block ×3, first 2 shown]
	v_mov_b32_e32 v8, 0
	v_mov_b32_e32 v7, 0
	v_mov_b32_e32 v6, 0
	s_mul_i32 s1, s17, 3
	s_mul_i32 s2, s17, 5
.LBB70_10:                              ; =>This Inner Loop Header: Depth=1
	v_add_nc_u32_e32 v17, s16, v12
	v_add_nc_u32_e32 v21, s1, v12
	;; [unrolled: 1-line block ×4, first 2 shown]
	v_add_co_u32 v19, s0, v3, s8
	v_ashrrev_i32_e32 v18, 31, v17
	v_ashrrev_i32_e32 v22, 31, v21
	;; [unrolled: 1-line block ×4, first 2 shown]
	v_add_co_ci_u32_e64 v20, null, s9, v4, s0
	v_lshlrev_b64 v[17:18], 3, v[17:18]
	v_lshlrev_b64 v[21:22], 3, v[21:22]
	;; [unrolled: 1-line block ×4, first 2 shown]
	global_load_dwordx2 v[13:14], v[1:2], off offset:-4
	global_load_dwordx2 v[15:16], v[3:4], off offset:-4
	v_add_nc_u32_e32 v12, 0xe0, v12
	v_add_co_u32 v17, s0, s14, v17
	v_add_co_ci_u32_e64 v18, null, s15, v18, s0
	v_add_co_u32 v21, s0, s14, v21
	v_add_co_ci_u32_e64 v22, null, s15, v22, s0
	;; [unrolled: 2-line block ×4, first 2 shown]
	global_load_dwordx2 v[19:20], v[19:20], off offset:-4
	s_clause 0x3
	global_load_dwordx2 v[17:18], v[17:18], off
	global_load_dwordx2 v[21:22], v[21:22], off
	;; [unrolled: 1-line block ×4, first 2 shown]
	v_add_co_u32 v1, s0, 0x700, v1
	v_add_co_ci_u32_e64 v2, null, 0, v2, s0
	v_add_co_u32 v3, s0, 0x700, v3
	v_add_co_ci_u32_e64 v4, null, 0, v4, s0
	v_cmp_le_i32_e64 s0, s12, v12
	s_or_b32 s11, s0, s11
	s_waitcnt vmcnt(5)
	v_fmac_f32_e32 v11, v13, v15
	v_fmac_f32_e32 v11, v14, v16
	s_waitcnt vmcnt(4)
	v_fmac_f32_e32 v10, v13, v19
	s_waitcnt vmcnt(3)
	v_fmac_f32_e32 v9, v13, v17
	s_waitcnt vmcnt(2)
	v_fmac_f32_e32 v8, v13, v21
	s_waitcnt vmcnt(1)
	v_fmac_f32_e32 v7, v13, v23
	s_waitcnt vmcnt(0)
	v_fmac_f32_e32 v6, v13, v25
	v_fmac_f32_e32 v10, v14, v20
	;; [unrolled: 1-line block ×6, first 2 shown]
	s_andn2_b32 exec_lo, exec_lo, s11
	s_cbranch_execnz .LBB70_10
; %bb.11:
	s_or_b32 exec_lo, exec_lo, s11
.LBB70_12:
	s_or_b32 exec_lo, exec_lo, s13
	v_mbcnt_lo_u32_b32 v2, -1, 0
	v_xor_b32_e32 v1, 16, v2
	v_xor_b32_e32 v3, 8, v2
	v_cmp_gt_i32_e64 s0, 32, v1
	v_cndmask_b32_e64 v1, v2, v1, s0
	v_cmp_gt_i32_e64 s0, 32, v3
	v_lshlrev_b32_e32 v1, 2, v1
	v_cndmask_b32_e64 v3, v2, v3, s0
	ds_bpermute_b32 v4, v1, v11
	v_lshlrev_b32_e32 v3, 2, v3
	s_waitcnt lgkmcnt(0)
	v_add_f32_e32 v11, v11, v4
	v_xor_b32_e32 v4, 4, v2
	ds_bpermute_b32 v12, v3, v11
	v_cmp_gt_i32_e64 s0, 32, v4
	v_cndmask_b32_e64 v4, v2, v4, s0
	v_lshlrev_b32_e32 v4, 2, v4
	s_waitcnt lgkmcnt(0)
	v_add_f32_e32 v12, v11, v12
	v_xor_b32_e32 v11, 2, v2
	ds_bpermute_b32 v13, v4, v12
	v_cmp_gt_i32_e64 s0, 32, v11
	v_cndmask_b32_e64 v11, v2, v11, s0
	;; [unrolled: 7-line block ×3, first 2 shown]
	v_lshlrev_b32_e32 v12, 2, v2
	s_waitcnt lgkmcnt(0)
	v_add_f32_e32 v2, v13, v14
	v_lshrrev_b32_e32 v13, 3, v0
	ds_bpermute_b32 v14, v12, v2
	v_and_b32_e32 v13, 0x7c, v13
	v_add_nc_u32_e32 v13, 0, v13
	s_waitcnt lgkmcnt(0)
	v_add_f32_e32 v2, v2, v14
	ds_write_b32 v13, v2
	s_waitcnt lgkmcnt(0)
	s_barrier
	buffer_gl0_inv
	s_and_saveexec_b32 s0, vcc_lo
	s_cbranch_execz .LBB70_14
; %bb.13:
	ds_read_b32 v2, v5
	s_waitcnt lgkmcnt(0)
	ds_bpermute_b32 v14, v1, v2
	s_waitcnt lgkmcnt(0)
	v_add_f32_e32 v2, v2, v14
	ds_bpermute_b32 v14, v3, v2
	s_waitcnt lgkmcnt(0)
	v_add_f32_e32 v2, v2, v14
	ds_bpermute_b32 v14, v4, v2
	s_waitcnt lgkmcnt(0)
	v_add_f32_e32 v2, v2, v14
	ds_bpermute_b32 v14, v11, v2
	s_waitcnt lgkmcnt(0)
	v_add_f32_e32 v2, v2, v14
	ds_bpermute_b32 v14, v12, v2
	s_waitcnt lgkmcnt(0)
	v_add_f32_e32 v2, v2, v14
.LBB70_14:
	s_or_b32 exec_lo, exec_lo, s0
	ds_bpermute_b32 v14, v1, v10
	s_waitcnt lgkmcnt(0)
	s_barrier
	buffer_gl0_inv
	v_add_f32_e32 v10, v10, v14
	ds_bpermute_b32 v14, v3, v10
	s_waitcnt lgkmcnt(0)
	v_add_f32_e32 v10, v10, v14
	ds_bpermute_b32 v14, v4, v10
	s_waitcnt lgkmcnt(0)
	v_add_f32_e32 v10, v10, v14
	ds_bpermute_b32 v14, v11, v10
	s_waitcnt lgkmcnt(0)
	v_add_f32_e32 v10, v10, v14
	ds_bpermute_b32 v14, v12, v10
	s_waitcnt lgkmcnt(0)
	v_add_f32_e32 v10, v10, v14
	ds_write_b32 v13, v10
	s_waitcnt lgkmcnt(0)
	s_barrier
	buffer_gl0_inv
	s_and_saveexec_b32 s0, vcc_lo
	s_cbranch_execz .LBB70_16
; %bb.15:
	ds_read_b32 v10, v5
	s_waitcnt lgkmcnt(0)
	ds_bpermute_b32 v14, v1, v10
	s_waitcnt lgkmcnt(0)
	v_add_f32_e32 v10, v10, v14
	ds_bpermute_b32 v14, v3, v10
	s_waitcnt lgkmcnt(0)
	v_add_f32_e32 v10, v10, v14
	ds_bpermute_b32 v14, v4, v10
	s_waitcnt lgkmcnt(0)
	v_add_f32_e32 v10, v10, v14
	ds_bpermute_b32 v14, v11, v10
	s_waitcnt lgkmcnt(0)
	v_add_f32_e32 v10, v10, v14
	ds_bpermute_b32 v14, v12, v10
	s_waitcnt lgkmcnt(0)
	v_add_f32_e32 v10, v10, v14
.LBB70_16:
	s_or_b32 exec_lo, exec_lo, s0
	ds_bpermute_b32 v14, v1, v9
	s_waitcnt lgkmcnt(0)
	s_barrier
	buffer_gl0_inv
	v_add_f32_e32 v9, v9, v14
	ds_bpermute_b32 v14, v3, v9
	s_waitcnt lgkmcnt(0)
	v_add_f32_e32 v9, v9, v14
	ds_bpermute_b32 v14, v4, v9
	s_waitcnt lgkmcnt(0)
	v_add_f32_e32 v9, v9, v14
	ds_bpermute_b32 v14, v11, v9
	s_waitcnt lgkmcnt(0)
	v_add_f32_e32 v9, v9, v14
	ds_bpermute_b32 v14, v12, v9
	;; [unrolled: 43-line block ×5, first 2 shown]
	s_waitcnt lgkmcnt(0)
	v_add_f32_e32 v6, v6, v14
	ds_write_b32 v13, v6
	s_waitcnt lgkmcnt(0)
	s_barrier
	buffer_gl0_inv
	s_and_saveexec_b32 s0, vcc_lo
	s_cbranch_execz .LBB70_24
; %bb.23:
	ds_read_b32 v5, v5
	s_waitcnt lgkmcnt(0)
	ds_bpermute_b32 v1, v1, v5
	s_waitcnt lgkmcnt(0)
	v_add_f32_e32 v1, v5, v1
	ds_bpermute_b32 v3, v3, v1
	s_waitcnt lgkmcnt(0)
	v_add_f32_e32 v1, v1, v3
	;; [unrolled: 3-line block ×5, first 2 shown]
.LBB70_24:
	s_or_b32 exec_lo, exec_lo, s0
	s_barrier
	buffer_gl0_inv
	s_mov_b32 s0, exec_lo
	v_cmpx_gt_u32_e32 6, v0
	s_cbranch_execz .LBB70_26
; %bb.25:
	s_load_dwordx2 s[0:1], s[4:5], 0x38
	v_cmp_eq_u32_e32 vcc_lo, 1, v0
	s_mul_hi_i32 s3, s22, s10
	s_mul_i32 s2, s22, s10
	s_mul_i32 s4, s26, s7
	s_lshl_b64 s[2:3], s[2:3], 2
	v_cndmask_b32_e32 v3, v2, v10, vcc_lo
	v_cmp_eq_u32_e32 vcc_lo, 2, v0
	v_mad_u64_u32 v[1:2], null, s18, v0, s[6:7]
	s_ashr_i32 s5, s4, 31
	v_cndmask_b32_e32 v3, v3, v9, vcc_lo
	v_cmp_eq_u32_e32 vcc_lo, 3, v0
	v_ashrrev_i32_e32 v2, 31, v1
	v_cndmask_b32_e32 v3, v3, v8, vcc_lo
	v_cmp_eq_u32_e32 vcc_lo, 4, v0
	s_waitcnt lgkmcnt(0)
	s_add_u32 s2, s0, s2
	v_lshlrev_b64 v[1:2], 2, v[1:2]
	s_addc_u32 s3, s1, s3
	s_lshl_b64 s[0:1], s[4:5], 2
	v_cndmask_b32_e32 v3, v3, v7, vcc_lo
	v_cmp_eq_u32_e32 vcc_lo, 5, v0
	s_add_u32 s0, s2, s0
	s_addc_u32 s1, s3, s1
	v_cndmask_b32_e32 v3, v3, v6, vcc_lo
	v_add_co_u32 v0, vcc_lo, s0, v1
	v_add_co_ci_u32_e64 v1, null, s1, v2, vcc_lo
	global_store_dword v[0:1], v3, off
.LBB70_26:
	s_endpgm
	.section	.rodata,"a",@progbits
	.p2align	6, 0x0
	.amdhsa_kernel _ZL13mul_mat_vec_fIffLi6ELi224ELb0ELb0EEvPKT_PKfPKi31ggml_cuda_mm_fusion_args_devicePfi15HIP_vector_typeIjLj3EEiiiSA_iiiSA_iiii
		.amdhsa_group_segment_fixed_size 0
		.amdhsa_private_segment_fixed_size 0
		.amdhsa_kernarg_size 144
		.amdhsa_user_sgpr_count 6
		.amdhsa_user_sgpr_private_segment_buffer 1
		.amdhsa_user_sgpr_dispatch_ptr 0
		.amdhsa_user_sgpr_queue_ptr 0
		.amdhsa_user_sgpr_kernarg_segment_ptr 1
		.amdhsa_user_sgpr_dispatch_id 0
		.amdhsa_user_sgpr_flat_scratch_init 0
		.amdhsa_user_sgpr_private_segment_size 0
		.amdhsa_wavefront_size32 1
		.amdhsa_uses_dynamic_stack 0
		.amdhsa_system_sgpr_private_segment_wavefront_offset 0
		.amdhsa_system_sgpr_workgroup_id_x 1
		.amdhsa_system_sgpr_workgroup_id_y 1
		.amdhsa_system_sgpr_workgroup_id_z 1
		.amdhsa_system_sgpr_workgroup_info 0
		.amdhsa_system_vgpr_workitem_id 0
		.amdhsa_next_free_vgpr 27
		.amdhsa_next_free_sgpr 36
		.amdhsa_reserve_vcc 1
		.amdhsa_reserve_flat_scratch 0
		.amdhsa_float_round_mode_32 0
		.amdhsa_float_round_mode_16_64 0
		.amdhsa_float_denorm_mode_32 3
		.amdhsa_float_denorm_mode_16_64 3
		.amdhsa_dx10_clamp 1
		.amdhsa_ieee_mode 1
		.amdhsa_fp16_overflow 0
		.amdhsa_workgroup_processor_mode 1
		.amdhsa_memory_ordered 1
		.amdhsa_forward_progress 1
		.amdhsa_shared_vgpr_count 0
		.amdhsa_exception_fp_ieee_invalid_op 0
		.amdhsa_exception_fp_denorm_src 0
		.amdhsa_exception_fp_ieee_div_zero 0
		.amdhsa_exception_fp_ieee_overflow 0
		.amdhsa_exception_fp_ieee_underflow 0
		.amdhsa_exception_fp_ieee_inexact 0
		.amdhsa_exception_int_div_zero 0
	.end_amdhsa_kernel
	.section	.text._ZL13mul_mat_vec_fIffLi6ELi224ELb0ELb0EEvPKT_PKfPKi31ggml_cuda_mm_fusion_args_devicePfi15HIP_vector_typeIjLj3EEiiiSA_iiiSA_iiii,"axG",@progbits,_ZL13mul_mat_vec_fIffLi6ELi224ELb0ELb0EEvPKT_PKfPKi31ggml_cuda_mm_fusion_args_devicePfi15HIP_vector_typeIjLj3EEiiiSA_iiiSA_iiii,comdat
.Lfunc_end70:
	.size	_ZL13mul_mat_vec_fIffLi6ELi224ELb0ELb0EEvPKT_PKfPKi31ggml_cuda_mm_fusion_args_devicePfi15HIP_vector_typeIjLj3EEiiiSA_iiiSA_iiii, .Lfunc_end70-_ZL13mul_mat_vec_fIffLi6ELi224ELb0ELb0EEvPKT_PKfPKi31ggml_cuda_mm_fusion_args_devicePfi15HIP_vector_typeIjLj3EEiiiSA_iiiSA_iiii
                                        ; -- End function
	.set _ZL13mul_mat_vec_fIffLi6ELi224ELb0ELb0EEvPKT_PKfPKi31ggml_cuda_mm_fusion_args_devicePfi15HIP_vector_typeIjLj3EEiiiSA_iiiSA_iiii.num_vgpr, 27
	.set _ZL13mul_mat_vec_fIffLi6ELi224ELb0ELb0EEvPKT_PKfPKi31ggml_cuda_mm_fusion_args_devicePfi15HIP_vector_typeIjLj3EEiiiSA_iiiSA_iiii.num_agpr, 0
	.set _ZL13mul_mat_vec_fIffLi6ELi224ELb0ELb0EEvPKT_PKfPKi31ggml_cuda_mm_fusion_args_devicePfi15HIP_vector_typeIjLj3EEiiiSA_iiiSA_iiii.numbered_sgpr, 36
	.set _ZL13mul_mat_vec_fIffLi6ELi224ELb0ELb0EEvPKT_PKfPKi31ggml_cuda_mm_fusion_args_devicePfi15HIP_vector_typeIjLj3EEiiiSA_iiiSA_iiii.num_named_barrier, 0
	.set _ZL13mul_mat_vec_fIffLi6ELi224ELb0ELb0EEvPKT_PKfPKi31ggml_cuda_mm_fusion_args_devicePfi15HIP_vector_typeIjLj3EEiiiSA_iiiSA_iiii.private_seg_size, 0
	.set _ZL13mul_mat_vec_fIffLi6ELi224ELb0ELb0EEvPKT_PKfPKi31ggml_cuda_mm_fusion_args_devicePfi15HIP_vector_typeIjLj3EEiiiSA_iiiSA_iiii.uses_vcc, 1
	.set _ZL13mul_mat_vec_fIffLi6ELi224ELb0ELb0EEvPKT_PKfPKi31ggml_cuda_mm_fusion_args_devicePfi15HIP_vector_typeIjLj3EEiiiSA_iiiSA_iiii.uses_flat_scratch, 0
	.set _ZL13mul_mat_vec_fIffLi6ELi224ELb0ELb0EEvPKT_PKfPKi31ggml_cuda_mm_fusion_args_devicePfi15HIP_vector_typeIjLj3EEiiiSA_iiiSA_iiii.has_dyn_sized_stack, 0
	.set _ZL13mul_mat_vec_fIffLi6ELi224ELb0ELb0EEvPKT_PKfPKi31ggml_cuda_mm_fusion_args_devicePfi15HIP_vector_typeIjLj3EEiiiSA_iiiSA_iiii.has_recursion, 0
	.set _ZL13mul_mat_vec_fIffLi6ELi224ELb0ELb0EEvPKT_PKfPKi31ggml_cuda_mm_fusion_args_devicePfi15HIP_vector_typeIjLj3EEiiiSA_iiiSA_iiii.has_indirect_call, 0
	.section	.AMDGPU.csdata,"",@progbits
; Kernel info:
; codeLenInByte = 2500
; TotalNumSgprs: 38
; NumVgprs: 27
; ScratchSize: 0
; MemoryBound: 0
; FloatMode: 240
; IeeeMode: 1
; LDSByteSize: 0 bytes/workgroup (compile time only)
; SGPRBlocks: 0
; VGPRBlocks: 3
; NumSGPRsForWavesPerEU: 38
; NumVGPRsForWavesPerEU: 27
; Occupancy: 16
; WaveLimiterHint : 0
; COMPUTE_PGM_RSRC2:SCRATCH_EN: 0
; COMPUTE_PGM_RSRC2:USER_SGPR: 6
; COMPUTE_PGM_RSRC2:TRAP_HANDLER: 0
; COMPUTE_PGM_RSRC2:TGID_X_EN: 1
; COMPUTE_PGM_RSRC2:TGID_Y_EN: 1
; COMPUTE_PGM_RSRC2:TGID_Z_EN: 1
; COMPUTE_PGM_RSRC2:TIDIG_COMP_CNT: 0
	.section	.text._ZL13mul_mat_vec_fIffLi6ELi256ELb0ELb0EEvPKT_PKfPKi31ggml_cuda_mm_fusion_args_devicePfi15HIP_vector_typeIjLj3EEiiiSA_iiiSA_iiii,"axG",@progbits,_ZL13mul_mat_vec_fIffLi6ELi256ELb0ELb0EEvPKT_PKfPKi31ggml_cuda_mm_fusion_args_devicePfi15HIP_vector_typeIjLj3EEiiiSA_iiiSA_iiii,comdat
	.globl	_ZL13mul_mat_vec_fIffLi6ELi256ELb0ELb0EEvPKT_PKfPKi31ggml_cuda_mm_fusion_args_devicePfi15HIP_vector_typeIjLj3EEiiiSA_iiiSA_iiii ; -- Begin function _ZL13mul_mat_vec_fIffLi6ELi256ELb0ELb0EEvPKT_PKfPKi31ggml_cuda_mm_fusion_args_devicePfi15HIP_vector_typeIjLj3EEiiiSA_iiiSA_iiii
	.p2align	8
	.type	_ZL13mul_mat_vec_fIffLi6ELi256ELb0ELb0EEvPKT_PKfPKi31ggml_cuda_mm_fusion_args_devicePfi15HIP_vector_typeIjLj3EEiiiSA_iiiSA_iiii,@function
_ZL13mul_mat_vec_fIffLi6ELi256ELb0ELb0EEvPKT_PKfPKi31ggml_cuda_mm_fusion_args_devicePfi15HIP_vector_typeIjLj3EEiiiSA_iiiSA_iiii: ; @_ZL13mul_mat_vec_fIffLi6ELi256ELb0ELb0EEvPKT_PKfPKi31ggml_cuda_mm_fusion_args_devicePfi15HIP_vector_typeIjLj3EEiiiSA_iiiSA_iiii
; %bb.0:
	s_clause 0x2
	s_load_dwordx2 s[0:1], s[4:5], 0x10
	s_load_dwordx8 s[12:19], s[4:5], 0x40
	s_load_dwordx4 s[20:23], s[4:5], 0x80
	s_waitcnt lgkmcnt(0)
	s_cmp_eq_u64 s[0:1], 0
	s_cselect_b32 s10, -1, 0
	s_cmp_lg_u64 s[0:1], 0
	s_cselect_b32 s11, -1, 0
	s_and_b32 vcc_lo, exec_lo, s10
	s_cbranch_vccnz .LBB71_2
; %bb.1:
	s_mul_i32 s2, s23, s8
	s_mov_b32 s3, 0
	s_add_i32 s2, s2, s7
	s_lshl_b64 s[24:25], s[2:3], 2
	s_add_u32 s0, s0, s24
	s_addc_u32 s1, s1, s25
	s_load_dword s9, s[0:1], 0x0
	s_cbranch_execz .LBB71_3
	s_branch .LBB71_4
.LBB71_2:
                                        ; implicit-def: $sgpr9
.LBB71_3:
	s_load_dwordx2 s[0:1], s[4:5], 0x5c
	s_waitcnt lgkmcnt(0)
	s_mul_hi_u32 s0, s0, s7
	s_add_i32 s0, s7, s0
	s_lshr_b32 s9, s0, s1
.LBB71_4:
	s_load_dwordx4 s[24:27], s[4:5], 0x68
	s_andn2_b32 vcc_lo, exec_lo, s11
	s_mov_b32 s19, s7
	s_cbranch_vccnz .LBB71_6
; %bb.5:
	s_mul_hi_u32 s0, s13, s7
	s_add_i32 s0, s7, s0
	s_lshr_b32 s0, s0, s14
	s_mul_i32 s0, s0, s15
	s_sub_i32 s19, s7, s0
.LBB71_6:
	s_load_dword s14, s[4:5], 0x78
	v_cmp_gt_u32_e32 vcc_lo, 32, v0
	v_lshl_add_u32 v5, v0, 2, 0
	s_and_saveexec_b32 s0, vcc_lo
; %bb.7:
	v_mov_b32_e32 v1, 0
	ds_write_b32 v5, v1
; %bb.8:
	s_or_b32 exec_lo, exec_lo, s0
	v_mov_b32_e32 v6, 0
	v_mov_b32_e32 v7, 0
	;; [unrolled: 1-line block ×6, first 2 shown]
	s_and_b32 s0, exec_lo, s10
	s_mov_b32 s11, 0
	s_cselect_b32 s10, s8, 0
	s_mov_b32 s13, exec_lo
	s_waitcnt lgkmcnt(0)
	s_barrier
	buffer_gl0_inv
	v_cmpx_gt_i32_e64 s12, v0
	s_cbranch_execz .LBB71_12
; %bb.9:
	s_load_dwordx4 s[0:3], s[4:5], 0x0
	s_mul_hi_u32 s15, s27, s10
	s_mul_hi_i32 s29, s21, s10
	s_mul_i32 s28, s21, s10
	s_mul_i32 s8, s9, s24
	;; [unrolled: 1-line block ×4, first 2 shown]
	s_add_i32 s15, s10, s15
	s_lshl_b64 s[28:29], s[28:29], 2
	s_ashr_i32 s9, s8, 31
	s_ashr_i32 s25, s24, 31
	;; [unrolled: 1-line block ×3, first 2 shown]
	s_lshr_b32 s14, s15, s14
	v_lshlrev_b32_e32 v1, 3, v0
	s_mul_hi_i32 s21, s14, s20
	s_mul_i32 s20, s14, s20
	s_mov_b32 s34, s17
	v_mov_b32_e32 v11, 0
	v_mov_b32_e32 v12, v0
	;; [unrolled: 1-line block ×3, first 2 shown]
	s_waitcnt lgkmcnt(0)
	s_add_u32 s15, s2, s28
	s_addc_u32 s16, s3, s29
	s_lshl_b64 s[30:31], s[30:31], 2
	v_mov_b32_e32 v9, 0
	s_add_u32 s14, s15, s30
	s_addc_u32 s15, s16, s31
	s_lshl_b64 s[8:9], s[8:9], 2
	s_ashr_i32 s35, s17, 31
	s_add_i32 s16, s17, s17
	s_lshl_b32 s19, s17, 2
	s_lshl_b64 s[20:21], s[20:21], 2
	s_lshl_b64 s[24:25], s[24:25], 2
	s_add_u32 s0, s0, s8
	s_addc_u32 s1, s1, s9
	s_add_u32 s0, s0, s24
	s_addc_u32 s1, s1, s25
	;; [unrolled: 2-line block ×3, first 2 shown]
	v_add_co_u32 v2, s0, s0, v1
	s_lshl_b64 s[8:9], s[34:35], 3
	v_add_co_ci_u32_e64 v3, null, s1, 0, s0
	s_add_u32 s0, s2, s30
	s_addc_u32 s1, s3, s31
	s_add_u32 s0, s0, s28
	s_addc_u32 s1, s1, s29
	v_add_co_u32 v4, s0, s0, v1
	v_add_co_ci_u32_e64 v6, null, s1, 0, s0
	v_add_co_u32 v1, s0, v2, 4
	v_add_co_ci_u32_e64 v2, null, 0, v3, s0
	;; [unrolled: 2-line block ×3, first 2 shown]
	v_mov_b32_e32 v8, 0
	v_mov_b32_e32 v7, 0
	;; [unrolled: 1-line block ×3, first 2 shown]
	s_mul_i32 s1, s17, 3
	s_mul_i32 s2, s17, 5
.LBB71_10:                              ; =>This Inner Loop Header: Depth=1
	v_add_nc_u32_e32 v17, s16, v12
	v_add_nc_u32_e32 v21, s1, v12
	v_add_nc_u32_e32 v23, s19, v12
	v_add_nc_u32_e32 v25, s2, v12
	v_add_co_u32 v19, s0, v3, s8
	v_ashrrev_i32_e32 v18, 31, v17
	v_ashrrev_i32_e32 v22, 31, v21
	;; [unrolled: 1-line block ×4, first 2 shown]
	v_add_co_ci_u32_e64 v20, null, s9, v4, s0
	v_lshlrev_b64 v[17:18], 3, v[17:18]
	v_lshlrev_b64 v[21:22], 3, v[21:22]
	;; [unrolled: 1-line block ×4, first 2 shown]
	global_load_dwordx2 v[13:14], v[1:2], off offset:-4
	global_load_dwordx2 v[15:16], v[3:4], off offset:-4
	v_add_nc_u32_e32 v12, 0x100, v12
	v_add_co_u32 v17, s0, s14, v17
	v_add_co_ci_u32_e64 v18, null, s15, v18, s0
	v_add_co_u32 v21, s0, s14, v21
	v_add_co_ci_u32_e64 v22, null, s15, v22, s0
	v_add_co_u32 v23, s0, s14, v23
	v_add_co_ci_u32_e64 v24, null, s15, v24, s0
	v_add_co_u32 v25, s0, s14, v25
	v_add_co_ci_u32_e64 v26, null, s15, v26, s0
	global_load_dwordx2 v[19:20], v[19:20], off offset:-4
	s_clause 0x3
	global_load_dwordx2 v[17:18], v[17:18], off
	global_load_dwordx2 v[21:22], v[21:22], off
	;; [unrolled: 1-line block ×4, first 2 shown]
	v_add_co_u32 v1, s0, 0x800, v1
	v_add_co_ci_u32_e64 v2, null, 0, v2, s0
	v_add_co_u32 v3, s0, 0x800, v3
	v_add_co_ci_u32_e64 v4, null, 0, v4, s0
	v_cmp_le_i32_e64 s0, s12, v12
	s_or_b32 s11, s0, s11
	s_waitcnt vmcnt(5)
	v_fmac_f32_e32 v11, v13, v15
	v_fmac_f32_e32 v11, v14, v16
	s_waitcnt vmcnt(4)
	v_fmac_f32_e32 v10, v13, v19
	s_waitcnt vmcnt(3)
	v_fmac_f32_e32 v9, v13, v17
	s_waitcnt vmcnt(2)
	v_fmac_f32_e32 v8, v13, v21
	s_waitcnt vmcnt(1)
	v_fmac_f32_e32 v7, v13, v23
	s_waitcnt vmcnt(0)
	v_fmac_f32_e32 v6, v13, v25
	v_fmac_f32_e32 v10, v14, v20
	;; [unrolled: 1-line block ×6, first 2 shown]
	s_andn2_b32 exec_lo, exec_lo, s11
	s_cbranch_execnz .LBB71_10
; %bb.11:
	s_or_b32 exec_lo, exec_lo, s11
.LBB71_12:
	s_or_b32 exec_lo, exec_lo, s13
	v_mbcnt_lo_u32_b32 v2, -1, 0
	v_xor_b32_e32 v1, 16, v2
	v_xor_b32_e32 v3, 8, v2
	v_cmp_gt_i32_e64 s0, 32, v1
	v_cndmask_b32_e64 v1, v2, v1, s0
	v_cmp_gt_i32_e64 s0, 32, v3
	v_lshlrev_b32_e32 v1, 2, v1
	v_cndmask_b32_e64 v3, v2, v3, s0
	ds_bpermute_b32 v4, v1, v11
	v_lshlrev_b32_e32 v3, 2, v3
	s_waitcnt lgkmcnt(0)
	v_add_f32_e32 v11, v11, v4
	v_xor_b32_e32 v4, 4, v2
	ds_bpermute_b32 v12, v3, v11
	v_cmp_gt_i32_e64 s0, 32, v4
	v_cndmask_b32_e64 v4, v2, v4, s0
	v_lshlrev_b32_e32 v4, 2, v4
	s_waitcnt lgkmcnt(0)
	v_add_f32_e32 v12, v11, v12
	v_xor_b32_e32 v11, 2, v2
	ds_bpermute_b32 v13, v4, v12
	v_cmp_gt_i32_e64 s0, 32, v11
	v_cndmask_b32_e64 v11, v2, v11, s0
	;; [unrolled: 7-line block ×3, first 2 shown]
	v_lshlrev_b32_e32 v12, 2, v2
	s_waitcnt lgkmcnt(0)
	v_add_f32_e32 v2, v13, v14
	v_lshrrev_b32_e32 v13, 3, v0
	ds_bpermute_b32 v14, v12, v2
	v_and_b32_e32 v13, 0x7c, v13
	v_add_nc_u32_e32 v13, 0, v13
	s_waitcnt lgkmcnt(0)
	v_add_f32_e32 v2, v2, v14
	ds_write_b32 v13, v2
	s_waitcnt lgkmcnt(0)
	s_barrier
	buffer_gl0_inv
	s_and_saveexec_b32 s0, vcc_lo
	s_cbranch_execz .LBB71_14
; %bb.13:
	ds_read_b32 v2, v5
	s_waitcnt lgkmcnt(0)
	ds_bpermute_b32 v14, v1, v2
	s_waitcnt lgkmcnt(0)
	v_add_f32_e32 v2, v2, v14
	ds_bpermute_b32 v14, v3, v2
	s_waitcnt lgkmcnt(0)
	v_add_f32_e32 v2, v2, v14
	ds_bpermute_b32 v14, v4, v2
	s_waitcnt lgkmcnt(0)
	v_add_f32_e32 v2, v2, v14
	ds_bpermute_b32 v14, v11, v2
	s_waitcnt lgkmcnt(0)
	v_add_f32_e32 v2, v2, v14
	ds_bpermute_b32 v14, v12, v2
	s_waitcnt lgkmcnt(0)
	v_add_f32_e32 v2, v2, v14
.LBB71_14:
	s_or_b32 exec_lo, exec_lo, s0
	ds_bpermute_b32 v14, v1, v10
	s_waitcnt lgkmcnt(0)
	s_barrier
	buffer_gl0_inv
	v_add_f32_e32 v10, v10, v14
	ds_bpermute_b32 v14, v3, v10
	s_waitcnt lgkmcnt(0)
	v_add_f32_e32 v10, v10, v14
	ds_bpermute_b32 v14, v4, v10
	s_waitcnt lgkmcnt(0)
	v_add_f32_e32 v10, v10, v14
	ds_bpermute_b32 v14, v11, v10
	s_waitcnt lgkmcnt(0)
	v_add_f32_e32 v10, v10, v14
	ds_bpermute_b32 v14, v12, v10
	s_waitcnt lgkmcnt(0)
	v_add_f32_e32 v10, v10, v14
	ds_write_b32 v13, v10
	s_waitcnt lgkmcnt(0)
	s_barrier
	buffer_gl0_inv
	s_and_saveexec_b32 s0, vcc_lo
	s_cbranch_execz .LBB71_16
; %bb.15:
	ds_read_b32 v10, v5
	s_waitcnt lgkmcnt(0)
	ds_bpermute_b32 v14, v1, v10
	s_waitcnt lgkmcnt(0)
	v_add_f32_e32 v10, v10, v14
	ds_bpermute_b32 v14, v3, v10
	s_waitcnt lgkmcnt(0)
	v_add_f32_e32 v10, v10, v14
	ds_bpermute_b32 v14, v4, v10
	s_waitcnt lgkmcnt(0)
	v_add_f32_e32 v10, v10, v14
	ds_bpermute_b32 v14, v11, v10
	s_waitcnt lgkmcnt(0)
	v_add_f32_e32 v10, v10, v14
	ds_bpermute_b32 v14, v12, v10
	s_waitcnt lgkmcnt(0)
	v_add_f32_e32 v10, v10, v14
.LBB71_16:
	s_or_b32 exec_lo, exec_lo, s0
	ds_bpermute_b32 v14, v1, v9
	s_waitcnt lgkmcnt(0)
	s_barrier
	buffer_gl0_inv
	v_add_f32_e32 v9, v9, v14
	ds_bpermute_b32 v14, v3, v9
	s_waitcnt lgkmcnt(0)
	v_add_f32_e32 v9, v9, v14
	ds_bpermute_b32 v14, v4, v9
	s_waitcnt lgkmcnt(0)
	v_add_f32_e32 v9, v9, v14
	ds_bpermute_b32 v14, v11, v9
	s_waitcnt lgkmcnt(0)
	v_add_f32_e32 v9, v9, v14
	ds_bpermute_b32 v14, v12, v9
	s_waitcnt lgkmcnt(0)
	v_add_f32_e32 v9, v9, v14
	ds_write_b32 v13, v9
	s_waitcnt lgkmcnt(0)
	s_barrier
	buffer_gl0_inv
	s_and_saveexec_b32 s0, vcc_lo
	s_cbranch_execz .LBB71_18
; %bb.17:
	ds_read_b32 v9, v5
	s_waitcnt lgkmcnt(0)
	ds_bpermute_b32 v14, v1, v9
	s_waitcnt lgkmcnt(0)
	v_add_f32_e32 v9, v9, v14
	ds_bpermute_b32 v14, v3, v9
	s_waitcnt lgkmcnt(0)
	v_add_f32_e32 v9, v9, v14
	ds_bpermute_b32 v14, v4, v9
	s_waitcnt lgkmcnt(0)
	v_add_f32_e32 v9, v9, v14
	ds_bpermute_b32 v14, v11, v9
	s_waitcnt lgkmcnt(0)
	v_add_f32_e32 v9, v9, v14
	ds_bpermute_b32 v14, v12, v9
	s_waitcnt lgkmcnt(0)
	v_add_f32_e32 v9, v9, v14
.LBB71_18:
	s_or_b32 exec_lo, exec_lo, s0
	ds_bpermute_b32 v14, v1, v8
	s_waitcnt lgkmcnt(0)
	s_barrier
	buffer_gl0_inv
	v_add_f32_e32 v8, v8, v14
	ds_bpermute_b32 v14, v3, v8
	s_waitcnt lgkmcnt(0)
	v_add_f32_e32 v8, v8, v14
	ds_bpermute_b32 v14, v4, v8
	s_waitcnt lgkmcnt(0)
	v_add_f32_e32 v8, v8, v14
	ds_bpermute_b32 v14, v11, v8
	s_waitcnt lgkmcnt(0)
	v_add_f32_e32 v8, v8, v14
	ds_bpermute_b32 v14, v12, v8
	s_waitcnt lgkmcnt(0)
	v_add_f32_e32 v8, v8, v14
	ds_write_b32 v13, v8
	s_waitcnt lgkmcnt(0)
	s_barrier
	buffer_gl0_inv
	s_and_saveexec_b32 s0, vcc_lo
	s_cbranch_execz .LBB71_20
; %bb.19:
	ds_read_b32 v8, v5
	s_waitcnt lgkmcnt(0)
	ds_bpermute_b32 v14, v1, v8
	s_waitcnt lgkmcnt(0)
	v_add_f32_e32 v8, v8, v14
	ds_bpermute_b32 v14, v3, v8
	s_waitcnt lgkmcnt(0)
	v_add_f32_e32 v8, v8, v14
	ds_bpermute_b32 v14, v4, v8
	s_waitcnt lgkmcnt(0)
	v_add_f32_e32 v8, v8, v14
	ds_bpermute_b32 v14, v11, v8
	s_waitcnt lgkmcnt(0)
	v_add_f32_e32 v8, v8, v14
	ds_bpermute_b32 v14, v12, v8
	s_waitcnt lgkmcnt(0)
	v_add_f32_e32 v8, v8, v14
.LBB71_20:
	s_or_b32 exec_lo, exec_lo, s0
	ds_bpermute_b32 v14, v1, v7
	s_waitcnt lgkmcnt(0)
	s_barrier
	buffer_gl0_inv
	v_add_f32_e32 v7, v7, v14
	ds_bpermute_b32 v14, v3, v7
	s_waitcnt lgkmcnt(0)
	v_add_f32_e32 v7, v7, v14
	ds_bpermute_b32 v14, v4, v7
	s_waitcnt lgkmcnt(0)
	v_add_f32_e32 v7, v7, v14
	ds_bpermute_b32 v14, v11, v7
	s_waitcnt lgkmcnt(0)
	v_add_f32_e32 v7, v7, v14
	ds_bpermute_b32 v14, v12, v7
	s_waitcnt lgkmcnt(0)
	v_add_f32_e32 v7, v7, v14
	ds_write_b32 v13, v7
	s_waitcnt lgkmcnt(0)
	s_barrier
	buffer_gl0_inv
	s_and_saveexec_b32 s0, vcc_lo
	s_cbranch_execz .LBB71_22
; %bb.21:
	ds_read_b32 v7, v5
	s_waitcnt lgkmcnt(0)
	ds_bpermute_b32 v14, v1, v7
	s_waitcnt lgkmcnt(0)
	v_add_f32_e32 v7, v7, v14
	ds_bpermute_b32 v14, v3, v7
	s_waitcnt lgkmcnt(0)
	v_add_f32_e32 v7, v7, v14
	ds_bpermute_b32 v14, v4, v7
	s_waitcnt lgkmcnt(0)
	v_add_f32_e32 v7, v7, v14
	ds_bpermute_b32 v14, v11, v7
	s_waitcnt lgkmcnt(0)
	v_add_f32_e32 v7, v7, v14
	ds_bpermute_b32 v14, v12, v7
	s_waitcnt lgkmcnt(0)
	v_add_f32_e32 v7, v7, v14
.LBB71_22:
	s_or_b32 exec_lo, exec_lo, s0
	ds_bpermute_b32 v14, v1, v6
	s_waitcnt lgkmcnt(0)
	s_barrier
	buffer_gl0_inv
	v_add_f32_e32 v6, v6, v14
	ds_bpermute_b32 v14, v3, v6
	s_waitcnt lgkmcnt(0)
	v_add_f32_e32 v6, v6, v14
	ds_bpermute_b32 v14, v4, v6
	s_waitcnt lgkmcnt(0)
	v_add_f32_e32 v6, v6, v14
	ds_bpermute_b32 v14, v11, v6
	s_waitcnt lgkmcnt(0)
	v_add_f32_e32 v6, v6, v14
	ds_bpermute_b32 v14, v12, v6
	s_waitcnt lgkmcnt(0)
	v_add_f32_e32 v6, v6, v14
	ds_write_b32 v13, v6
	s_waitcnt lgkmcnt(0)
	s_barrier
	buffer_gl0_inv
	s_and_saveexec_b32 s0, vcc_lo
	s_cbranch_execz .LBB71_24
; %bb.23:
	ds_read_b32 v5, v5
	s_waitcnt lgkmcnt(0)
	ds_bpermute_b32 v1, v1, v5
	s_waitcnt lgkmcnt(0)
	v_add_f32_e32 v1, v5, v1
	ds_bpermute_b32 v3, v3, v1
	s_waitcnt lgkmcnt(0)
	v_add_f32_e32 v1, v1, v3
	;; [unrolled: 3-line block ×5, first 2 shown]
.LBB71_24:
	s_or_b32 exec_lo, exec_lo, s0
	s_barrier
	buffer_gl0_inv
	s_mov_b32 s0, exec_lo
	v_cmpx_gt_u32_e32 6, v0
	s_cbranch_execz .LBB71_26
; %bb.25:
	s_load_dwordx2 s[0:1], s[4:5], 0x38
	v_cmp_eq_u32_e32 vcc_lo, 1, v0
	s_mul_hi_i32 s3, s22, s10
	s_mul_i32 s2, s22, s10
	s_mul_i32 s4, s26, s7
	s_lshl_b64 s[2:3], s[2:3], 2
	v_cndmask_b32_e32 v3, v2, v10, vcc_lo
	v_cmp_eq_u32_e32 vcc_lo, 2, v0
	v_mad_u64_u32 v[1:2], null, s18, v0, s[6:7]
	s_ashr_i32 s5, s4, 31
	v_cndmask_b32_e32 v3, v3, v9, vcc_lo
	v_cmp_eq_u32_e32 vcc_lo, 3, v0
	v_ashrrev_i32_e32 v2, 31, v1
	v_cndmask_b32_e32 v3, v3, v8, vcc_lo
	v_cmp_eq_u32_e32 vcc_lo, 4, v0
	s_waitcnt lgkmcnt(0)
	s_add_u32 s2, s0, s2
	v_lshlrev_b64 v[1:2], 2, v[1:2]
	s_addc_u32 s3, s1, s3
	s_lshl_b64 s[0:1], s[4:5], 2
	v_cndmask_b32_e32 v3, v3, v7, vcc_lo
	v_cmp_eq_u32_e32 vcc_lo, 5, v0
	s_add_u32 s0, s2, s0
	s_addc_u32 s1, s3, s1
	v_cndmask_b32_e32 v3, v3, v6, vcc_lo
	v_add_co_u32 v0, vcc_lo, s0, v1
	v_add_co_ci_u32_e64 v1, null, s1, v2, vcc_lo
	global_store_dword v[0:1], v3, off
.LBB71_26:
	s_endpgm
	.section	.rodata,"a",@progbits
	.p2align	6, 0x0
	.amdhsa_kernel _ZL13mul_mat_vec_fIffLi6ELi256ELb0ELb0EEvPKT_PKfPKi31ggml_cuda_mm_fusion_args_devicePfi15HIP_vector_typeIjLj3EEiiiSA_iiiSA_iiii
		.amdhsa_group_segment_fixed_size 0
		.amdhsa_private_segment_fixed_size 0
		.amdhsa_kernarg_size 144
		.amdhsa_user_sgpr_count 6
		.amdhsa_user_sgpr_private_segment_buffer 1
		.amdhsa_user_sgpr_dispatch_ptr 0
		.amdhsa_user_sgpr_queue_ptr 0
		.amdhsa_user_sgpr_kernarg_segment_ptr 1
		.amdhsa_user_sgpr_dispatch_id 0
		.amdhsa_user_sgpr_flat_scratch_init 0
		.amdhsa_user_sgpr_private_segment_size 0
		.amdhsa_wavefront_size32 1
		.amdhsa_uses_dynamic_stack 0
		.amdhsa_system_sgpr_private_segment_wavefront_offset 0
		.amdhsa_system_sgpr_workgroup_id_x 1
		.amdhsa_system_sgpr_workgroup_id_y 1
		.amdhsa_system_sgpr_workgroup_id_z 1
		.amdhsa_system_sgpr_workgroup_info 0
		.amdhsa_system_vgpr_workitem_id 0
		.amdhsa_next_free_vgpr 27
		.amdhsa_next_free_sgpr 36
		.amdhsa_reserve_vcc 1
		.amdhsa_reserve_flat_scratch 0
		.amdhsa_float_round_mode_32 0
		.amdhsa_float_round_mode_16_64 0
		.amdhsa_float_denorm_mode_32 3
		.amdhsa_float_denorm_mode_16_64 3
		.amdhsa_dx10_clamp 1
		.amdhsa_ieee_mode 1
		.amdhsa_fp16_overflow 0
		.amdhsa_workgroup_processor_mode 1
		.amdhsa_memory_ordered 1
		.amdhsa_forward_progress 1
		.amdhsa_shared_vgpr_count 0
		.amdhsa_exception_fp_ieee_invalid_op 0
		.amdhsa_exception_fp_denorm_src 0
		.amdhsa_exception_fp_ieee_div_zero 0
		.amdhsa_exception_fp_ieee_overflow 0
		.amdhsa_exception_fp_ieee_underflow 0
		.amdhsa_exception_fp_ieee_inexact 0
		.amdhsa_exception_int_div_zero 0
	.end_amdhsa_kernel
	.section	.text._ZL13mul_mat_vec_fIffLi6ELi256ELb0ELb0EEvPKT_PKfPKi31ggml_cuda_mm_fusion_args_devicePfi15HIP_vector_typeIjLj3EEiiiSA_iiiSA_iiii,"axG",@progbits,_ZL13mul_mat_vec_fIffLi6ELi256ELb0ELb0EEvPKT_PKfPKi31ggml_cuda_mm_fusion_args_devicePfi15HIP_vector_typeIjLj3EEiiiSA_iiiSA_iiii,comdat
.Lfunc_end71:
	.size	_ZL13mul_mat_vec_fIffLi6ELi256ELb0ELb0EEvPKT_PKfPKi31ggml_cuda_mm_fusion_args_devicePfi15HIP_vector_typeIjLj3EEiiiSA_iiiSA_iiii, .Lfunc_end71-_ZL13mul_mat_vec_fIffLi6ELi256ELb0ELb0EEvPKT_PKfPKi31ggml_cuda_mm_fusion_args_devicePfi15HIP_vector_typeIjLj3EEiiiSA_iiiSA_iiii
                                        ; -- End function
	.set _ZL13mul_mat_vec_fIffLi6ELi256ELb0ELb0EEvPKT_PKfPKi31ggml_cuda_mm_fusion_args_devicePfi15HIP_vector_typeIjLj3EEiiiSA_iiiSA_iiii.num_vgpr, 27
	.set _ZL13mul_mat_vec_fIffLi6ELi256ELb0ELb0EEvPKT_PKfPKi31ggml_cuda_mm_fusion_args_devicePfi15HIP_vector_typeIjLj3EEiiiSA_iiiSA_iiii.num_agpr, 0
	.set _ZL13mul_mat_vec_fIffLi6ELi256ELb0ELb0EEvPKT_PKfPKi31ggml_cuda_mm_fusion_args_devicePfi15HIP_vector_typeIjLj3EEiiiSA_iiiSA_iiii.numbered_sgpr, 36
	.set _ZL13mul_mat_vec_fIffLi6ELi256ELb0ELb0EEvPKT_PKfPKi31ggml_cuda_mm_fusion_args_devicePfi15HIP_vector_typeIjLj3EEiiiSA_iiiSA_iiii.num_named_barrier, 0
	.set _ZL13mul_mat_vec_fIffLi6ELi256ELb0ELb0EEvPKT_PKfPKi31ggml_cuda_mm_fusion_args_devicePfi15HIP_vector_typeIjLj3EEiiiSA_iiiSA_iiii.private_seg_size, 0
	.set _ZL13mul_mat_vec_fIffLi6ELi256ELb0ELb0EEvPKT_PKfPKi31ggml_cuda_mm_fusion_args_devicePfi15HIP_vector_typeIjLj3EEiiiSA_iiiSA_iiii.uses_vcc, 1
	.set _ZL13mul_mat_vec_fIffLi6ELi256ELb0ELb0EEvPKT_PKfPKi31ggml_cuda_mm_fusion_args_devicePfi15HIP_vector_typeIjLj3EEiiiSA_iiiSA_iiii.uses_flat_scratch, 0
	.set _ZL13mul_mat_vec_fIffLi6ELi256ELb0ELb0EEvPKT_PKfPKi31ggml_cuda_mm_fusion_args_devicePfi15HIP_vector_typeIjLj3EEiiiSA_iiiSA_iiii.has_dyn_sized_stack, 0
	.set _ZL13mul_mat_vec_fIffLi6ELi256ELb0ELb0EEvPKT_PKfPKi31ggml_cuda_mm_fusion_args_devicePfi15HIP_vector_typeIjLj3EEiiiSA_iiiSA_iiii.has_recursion, 0
	.set _ZL13mul_mat_vec_fIffLi6ELi256ELb0ELb0EEvPKT_PKfPKi31ggml_cuda_mm_fusion_args_devicePfi15HIP_vector_typeIjLj3EEiiiSA_iiiSA_iiii.has_indirect_call, 0
	.section	.AMDGPU.csdata,"",@progbits
; Kernel info:
; codeLenInByte = 2500
; TotalNumSgprs: 38
; NumVgprs: 27
; ScratchSize: 0
; MemoryBound: 0
; FloatMode: 240
; IeeeMode: 1
; LDSByteSize: 0 bytes/workgroup (compile time only)
; SGPRBlocks: 0
; VGPRBlocks: 3
; NumSGPRsForWavesPerEU: 38
; NumVGPRsForWavesPerEU: 27
; Occupancy: 16
; WaveLimiterHint : 0
; COMPUTE_PGM_RSRC2:SCRATCH_EN: 0
; COMPUTE_PGM_RSRC2:USER_SGPR: 6
; COMPUTE_PGM_RSRC2:TRAP_HANDLER: 0
; COMPUTE_PGM_RSRC2:TGID_X_EN: 1
; COMPUTE_PGM_RSRC2:TGID_Y_EN: 1
; COMPUTE_PGM_RSRC2:TGID_Z_EN: 1
; COMPUTE_PGM_RSRC2:TIDIG_COMP_CNT: 0
	.section	.text._ZL13mul_mat_vec_fIffLi7ELi32ELb0ELb0EEvPKT_PKfPKi31ggml_cuda_mm_fusion_args_devicePfi15HIP_vector_typeIjLj3EEiiiSA_iiiSA_iiii,"axG",@progbits,_ZL13mul_mat_vec_fIffLi7ELi32ELb0ELb0EEvPKT_PKfPKi31ggml_cuda_mm_fusion_args_devicePfi15HIP_vector_typeIjLj3EEiiiSA_iiiSA_iiii,comdat
	.globl	_ZL13mul_mat_vec_fIffLi7ELi32ELb0ELb0EEvPKT_PKfPKi31ggml_cuda_mm_fusion_args_devicePfi15HIP_vector_typeIjLj3EEiiiSA_iiiSA_iiii ; -- Begin function _ZL13mul_mat_vec_fIffLi7ELi32ELb0ELb0EEvPKT_PKfPKi31ggml_cuda_mm_fusion_args_devicePfi15HIP_vector_typeIjLj3EEiiiSA_iiiSA_iiii
	.p2align	8
	.type	_ZL13mul_mat_vec_fIffLi7ELi32ELb0ELb0EEvPKT_PKfPKi31ggml_cuda_mm_fusion_args_devicePfi15HIP_vector_typeIjLj3EEiiiSA_iiiSA_iiii,@function
_ZL13mul_mat_vec_fIffLi7ELi32ELb0ELb0EEvPKT_PKfPKi31ggml_cuda_mm_fusion_args_devicePfi15HIP_vector_typeIjLj3EEiiiSA_iiiSA_iiii: ; @_ZL13mul_mat_vec_fIffLi7ELi32ELb0ELb0EEvPKT_PKfPKi31ggml_cuda_mm_fusion_args_devicePfi15HIP_vector_typeIjLj3EEiiiSA_iiiSA_iiii
; %bb.0:
	s_clause 0x2
	s_load_dwordx2 s[20:21], s[4:5], 0x10
	s_load_dwordx8 s[12:19], s[4:5], 0x40
	s_load_dwordx4 s[0:3], s[4:5], 0x80
	s_waitcnt lgkmcnt(0)
	s_cmp_eq_u64 s[20:21], 0
	s_cselect_b32 s9, -1, 0
	s_cmp_lg_u64 s[20:21], 0
	s_cselect_b32 s25, -1, 0
	s_and_b32 vcc_lo, exec_lo, s9
	s_cbranch_vccnz .LBB72_2
; %bb.1:
	s_mul_i32 s3, s3, s8
	s_mov_b32 s11, 0
	s_add_i32 s10, s3, s7
	s_lshl_b64 s[22:23], s[10:11], 2
	s_add_u32 s20, s20, s22
	s_addc_u32 s21, s21, s23
	s_load_dword s24, s[20:21], 0x0
	s_load_dwordx4 s[20:23], s[4:5], 0x68
	s_cbranch_execz .LBB72_3
	s_branch .LBB72_4
.LBB72_2:
                                        ; implicit-def: $sgpr24
	s_load_dwordx4 s[20:23], s[4:5], 0x68
.LBB72_3:
	s_load_dwordx2 s[10:11], s[4:5], 0x5c
	s_waitcnt lgkmcnt(0)
	s_mul_hi_u32 s3, s10, s7
	s_add_i32 s3, s7, s3
	s_lshr_b32 s24, s3, s11
.LBB72_4:
	s_load_dword s19, s[4:5], 0x78
	s_andn2_b32 vcc_lo, exec_lo, s25
	s_mov_b32 s25, s7
	s_cbranch_vccnz .LBB72_6
; %bb.5:
	s_mul_hi_u32 s3, s13, s7
	s_add_i32 s3, s7, s3
	s_lshr_b32 s3, s3, s14
	s_mul_i32 s3, s3, s15
	s_sub_i32 s25, s7, s3
.LBB72_6:
	v_mov_b32_e32 v6, 0
	v_mov_b32_e32 v7, 0
	v_mov_b32_e32 v8, 0
	v_mov_b32_e32 v9, 0
	v_mov_b32_e32 v10, 0
	v_mov_b32_e32 v11, 0
	v_mov_b32_e32 v5, 0
	s_and_b32 s3, exec_lo, s9
	s_mov_b32 s14, 0
	s_cselect_b32 s3, s8, 0
	s_mov_b32 s13, exec_lo
	v_cmpx_gt_i32_e64 s12, v0
	s_cbranch_execz .LBB72_10
; %bb.7:
	s_load_dwordx4 s[8:11], s[4:5], 0x0
	s_waitcnt lgkmcnt(0)
	s_mul_hi_u32 s15, s23, s3
	s_mul_hi_i32 s29, s1, s3
	s_mul_i32 s28, s1, s3
	s_mul_i32 s24, s24, s20
	;; [unrolled: 1-line block ×4, first 2 shown]
	s_add_i32 s1, s3, s15
	s_lshl_b64 s[28:29], s[28:29], 2
	s_ashr_i32 s25, s24, 31
	s_ashr_i32 s27, s26, 31
	;; [unrolled: 1-line block ×3, first 2 shown]
	s_lshr_b32 s15, s1, s19
	v_lshlrev_b32_e32 v1, 3, v0
	s_mul_hi_i32 s1, s15, s0
	s_mul_i32 s0, s15, s0
	s_mov_b32 s30, s17
	v_mov_b32_e32 v5, 0
	v_mov_b32_e32 v12, v0
	;; [unrolled: 1-line block ×3, first 2 shown]
	s_add_u32 s16, s10, s28
	s_addc_u32 s19, s11, s29
	s_lshl_b64 s[34:35], s[20:21], 2
	v_mov_b32_e32 v10, 0
	s_add_u32 s15, s16, s34
	s_addc_u32 s16, s19, s35
	s_lshl_b64 s[24:25], s[24:25], 2
	s_ashr_i32 s31, s17, 31
	s_add_i32 s19, s17, s17
	s_lshl_b32 s20, s17, 2
	s_lshl_b64 s[0:1], s[0:1], 2
	s_lshl_b64 s[26:27], s[26:27], 2
	s_add_u32 s8, s8, s24
	s_addc_u32 s9, s9, s25
	s_add_u32 s8, s8, s26
	s_addc_u32 s9, s9, s27
	;; [unrolled: 2-line block ×3, first 2 shown]
	v_add_co_u32 v2, s0, s0, v1
	v_add_co_ci_u32_e64 v3, null, s1, 0, s0
	s_lshl_b64 s[0:1], s[30:31], 3
	s_add_u32 s8, s10, s34
	s_addc_u32 s9, s11, s35
	s_add_u32 s8, s8, s28
	s_addc_u32 s9, s9, s29
	v_add_co_u32 v4, s8, s8, v1
	v_add_co_ci_u32_e64 v6, null, s9, 0, s8
	v_add_co_u32 v1, vcc_lo, v2, 4
	v_add_co_ci_u32_e64 v2, null, 0, v3, vcc_lo
	v_add_co_u32 v3, vcc_lo, v4, 4
	v_add_co_ci_u32_e64 v4, null, 0, v6, vcc_lo
	v_mov_b32_e32 v9, 0
	v_mov_b32_e32 v8, 0
	;; [unrolled: 1-line block ×4, first 2 shown]
	s_mul_i32 s8, s17, 3
	s_mul_i32 s9, s17, 5
	;; [unrolled: 1-line block ×3, first 2 shown]
.LBB72_8:                               ; =>This Inner Loop Header: Depth=1
	v_add_nc_u32_e32 v19, s19, v12
	v_add_nc_u32_e32 v21, s8, v12
	;; [unrolled: 1-line block ×5, first 2 shown]
	v_ashrrev_i32_e32 v20, 31, v19
	v_ashrrev_i32_e32 v22, 31, v21
	;; [unrolled: 1-line block ×5, first 2 shown]
	v_lshlrev_b64 v[19:20], 3, v[19:20]
	v_lshlrev_b64 v[21:22], 3, v[21:22]
	v_add_co_u32 v17, vcc_lo, v3, s0
	v_lshlrev_b64 v[23:24], 3, v[23:24]
	v_add_co_ci_u32_e64 v18, null, s1, v4, vcc_lo
	v_lshlrev_b64 v[25:26], 3, v[25:26]
	v_add_co_u32 v19, vcc_lo, s15, v19
	v_lshlrev_b64 v[27:28], 3, v[27:28]
	v_add_co_ci_u32_e64 v20, null, s16, v20, vcc_lo
	v_add_co_u32 v21, vcc_lo, s15, v21
	v_add_co_ci_u32_e64 v22, null, s16, v22, vcc_lo
	v_add_co_u32 v23, vcc_lo, s15, v23
	;; [unrolled: 2-line block ×4, first 2 shown]
	v_add_co_ci_u32_e64 v28, null, s16, v28, vcc_lo
	global_load_dwordx2 v[13:14], v[1:2], off offset:-4
	s_clause 0x1
	global_load_dwordx2 v[15:16], v[3:4], off offset:-4
	global_load_dwordx2 v[17:18], v[17:18], off offset:-4
	s_clause 0x4
	global_load_dwordx2 v[19:20], v[19:20], off
	global_load_dwordx2 v[21:22], v[21:22], off
	;; [unrolled: 1-line block ×5, first 2 shown]
	v_add_nc_u32_e32 v12, 32, v12
	v_add_co_u32 v1, vcc_lo, 0x100, v1
	v_add_co_ci_u32_e64 v2, null, 0, v2, vcc_lo
	v_add_co_u32 v3, vcc_lo, 0x100, v3
	v_add_co_ci_u32_e64 v4, null, 0, v4, vcc_lo
	v_cmp_le_i32_e32 vcc_lo, s12, v12
	s_or_b32 s14, vcc_lo, s14
	s_waitcnt vmcnt(4)
	v_fmac_f32_e32 v10, v13, v19
	v_fmac_f32_e32 v5, v13, v15
	;; [unrolled: 1-line block ×3, first 2 shown]
	s_waitcnt vmcnt(3)
	v_fmac_f32_e32 v9, v13, v21
	s_waitcnt vmcnt(2)
	v_fmac_f32_e32 v8, v13, v23
	;; [unrolled: 2-line block ×4, first 2 shown]
	v_fmac_f32_e32 v5, v14, v16
	v_fmac_f32_e32 v11, v14, v18
	;; [unrolled: 1-line block ×7, first 2 shown]
	s_andn2_b32 exec_lo, exec_lo, s14
	s_cbranch_execnz .LBB72_8
; %bb.9:
	s_or_b32 exec_lo, exec_lo, s14
.LBB72_10:
	s_or_b32 exec_lo, exec_lo, s13
	v_mbcnt_lo_u32_b32 v1, -1, 0
	s_mov_b32 s0, exec_lo
	v_xor_b32_e32 v2, 16, v1
	v_xor_b32_e32 v16, 8, v1
	v_cmp_gt_i32_e32 vcc_lo, 32, v2
	v_cndmask_b32_e32 v2, v1, v2, vcc_lo
	v_cmp_gt_i32_e32 vcc_lo, 32, v16
	v_lshlrev_b32_e32 v2, 2, v2
	v_cndmask_b32_e32 v16, v1, v16, vcc_lo
	ds_bpermute_b32 v3, v2, v5
	ds_bpermute_b32 v4, v2, v11
	;; [unrolled: 1-line block ×7, first 2 shown]
	v_lshlrev_b32_e32 v16, 2, v16
	s_waitcnt lgkmcnt(0)
	v_add_f32_e32 v3, v5, v3
	v_add_f32_e32 v4, v11, v4
	v_add_f32_e32 v5, v10, v12
	v_add_f32_e32 v9, v9, v13
	v_add_f32_e32 v8, v8, v14
	v_add_f32_e32 v7, v7, v15
	v_add_f32_e32 v2, v6, v2
	ds_bpermute_b32 v6, v16, v3
	ds_bpermute_b32 v10, v16, v4
	ds_bpermute_b32 v11, v16, v5
	ds_bpermute_b32 v12, v16, v9
	ds_bpermute_b32 v13, v16, v8
	ds_bpermute_b32 v14, v16, v7
	ds_bpermute_b32 v15, v16, v2
	v_xor_b32_e32 v16, 4, v1
	v_cmp_gt_i32_e32 vcc_lo, 32, v16
	v_cndmask_b32_e32 v16, v1, v16, vcc_lo
	s_waitcnt lgkmcnt(6)
	v_add_f32_e32 v3, v3, v6
	s_waitcnt lgkmcnt(5)
	v_add_f32_e32 v4, v4, v10
	v_lshlrev_b32_e32 v16, 2, v16
	s_waitcnt lgkmcnt(4)
	v_add_f32_e32 v5, v5, v11
	s_waitcnt lgkmcnt(3)
	v_add_f32_e32 v6, v9, v12
	s_waitcnt lgkmcnt(2)
	v_add_f32_e32 v8, v8, v13
	s_waitcnt lgkmcnt(1)
	v_add_f32_e32 v7, v7, v14
	s_waitcnt lgkmcnt(0)
	v_add_f32_e32 v2, v2, v15
	ds_bpermute_b32 v9, v16, v3
	ds_bpermute_b32 v10, v16, v4
	ds_bpermute_b32 v11, v16, v5
	ds_bpermute_b32 v12, v16, v6
	ds_bpermute_b32 v13, v16, v8
	ds_bpermute_b32 v14, v16, v7
	ds_bpermute_b32 v15, v16, v2
	v_xor_b32_e32 v16, 2, v1
	v_cmp_gt_i32_e32 vcc_lo, 32, v16
	v_cndmask_b32_e32 v16, v1, v16, vcc_lo
	s_waitcnt lgkmcnt(6)
	v_add_f32_e32 v3, v3, v9
	s_waitcnt lgkmcnt(5)
	v_add_f32_e32 v4, v4, v10
	v_lshlrev_b32_e32 v16, 2, v16
	s_waitcnt lgkmcnt(4)
	v_add_f32_e32 v5, v5, v11
	s_waitcnt lgkmcnt(3)
	v_add_f32_e32 v9, v6, v12
	s_waitcnt lgkmcnt(2)
	v_add_f32_e32 v8, v8, v13
	s_waitcnt lgkmcnt(1)
	v_add_f32_e32 v7, v7, v14
	s_waitcnt lgkmcnt(0)
	v_add_f32_e32 v2, v2, v15
	;; [unrolled: 25-line block ×3, first 2 shown]
	ds_bpermute_b32 v13, v17, v10
	ds_bpermute_b32 v14, v17, v11
	;; [unrolled: 1-line block ×7, first 2 shown]
	v_cmpx_gt_u32_e32 7, v0
	s_cbranch_execz .LBB72_12
; %bb.11:
	s_waitcnt lgkmcnt(6)
	v_add_f32_e32 v10, v10, v13
	s_waitcnt lgkmcnt(5)
	v_add_f32_e32 v11, v11, v14
	v_cmp_eq_u32_e32 vcc_lo, 1, v0
	s_waitcnt lgkmcnt(4)
	v_add_f32_e32 v6, v6, v12
	s_load_dwordx2 s[0:1], s[4:5], 0x38
	s_waitcnt lgkmcnt(0)
	v_add_f32_e32 v7, v3, v7
	v_add_f32_e32 v8, v4, v8
	v_cndmask_b32_e32 v10, v10, v11, vcc_lo
	v_cmp_eq_u32_e32 vcc_lo, 2, v0
	v_mad_u64_u32 v[3:4], null, s18, v0, s[6:7]
	v_add_f32_e32 v5, v5, v9
	s_mul_hi_i32 s5, s2, s3
	v_cndmask_b32_e32 v6, v10, v6, vcc_lo
	v_cmp_eq_u32_e32 vcc_lo, 3, v0
	s_mul_i32 s4, s2, s3
	s_mul_i32 s2, s22, s7
	s_lshl_b64 s[4:5], s[4:5], 2
	s_ashr_i32 s3, s2, 31
	v_cndmask_b32_e32 v4, v6, v7, vcc_lo
	v_cmp_eq_u32_e32 vcc_lo, 4, v0
	v_add_f32_e32 v7, v1, v2
	s_add_u32 s4, s0, s4
	v_cndmask_b32_e32 v6, v4, v8, vcc_lo
	v_ashrrev_i32_e32 v4, 31, v3
	v_cmp_eq_u32_e32 vcc_lo, 5, v0
	s_addc_u32 s5, s1, s5
	s_lshl_b64 s[0:1], s[2:3], 2
	v_lshlrev_b64 v[1:2], 2, v[3:4]
	v_cndmask_b32_e32 v5, v6, v5, vcc_lo
	v_cmp_eq_u32_e32 vcc_lo, 6, v0
	s_add_u32 s0, s4, s0
	s_addc_u32 s1, s5, s1
	v_cndmask_b32_e32 v3, v5, v7, vcc_lo
	v_add_co_u32 v0, vcc_lo, s0, v1
	v_add_co_ci_u32_e64 v1, null, s1, v2, vcc_lo
	global_store_dword v[0:1], v3, off
.LBB72_12:
	s_endpgm
	.section	.rodata,"a",@progbits
	.p2align	6, 0x0
	.amdhsa_kernel _ZL13mul_mat_vec_fIffLi7ELi32ELb0ELb0EEvPKT_PKfPKi31ggml_cuda_mm_fusion_args_devicePfi15HIP_vector_typeIjLj3EEiiiSA_iiiSA_iiii
		.amdhsa_group_segment_fixed_size 0
		.amdhsa_private_segment_fixed_size 0
		.amdhsa_kernarg_size 144
		.amdhsa_user_sgpr_count 6
		.amdhsa_user_sgpr_private_segment_buffer 1
		.amdhsa_user_sgpr_dispatch_ptr 0
		.amdhsa_user_sgpr_queue_ptr 0
		.amdhsa_user_sgpr_kernarg_segment_ptr 1
		.amdhsa_user_sgpr_dispatch_id 0
		.amdhsa_user_sgpr_flat_scratch_init 0
		.amdhsa_user_sgpr_private_segment_size 0
		.amdhsa_wavefront_size32 1
		.amdhsa_uses_dynamic_stack 0
		.amdhsa_system_sgpr_private_segment_wavefront_offset 0
		.amdhsa_system_sgpr_workgroup_id_x 1
		.amdhsa_system_sgpr_workgroup_id_y 1
		.amdhsa_system_sgpr_workgroup_id_z 1
		.amdhsa_system_sgpr_workgroup_info 0
		.amdhsa_system_vgpr_workitem_id 0
		.amdhsa_next_free_vgpr 29
		.amdhsa_next_free_sgpr 36
		.amdhsa_reserve_vcc 1
		.amdhsa_reserve_flat_scratch 0
		.amdhsa_float_round_mode_32 0
		.amdhsa_float_round_mode_16_64 0
		.amdhsa_float_denorm_mode_32 3
		.amdhsa_float_denorm_mode_16_64 3
		.amdhsa_dx10_clamp 1
		.amdhsa_ieee_mode 1
		.amdhsa_fp16_overflow 0
		.amdhsa_workgroup_processor_mode 1
		.amdhsa_memory_ordered 1
		.amdhsa_forward_progress 1
		.amdhsa_shared_vgpr_count 0
		.amdhsa_exception_fp_ieee_invalid_op 0
		.amdhsa_exception_fp_denorm_src 0
		.amdhsa_exception_fp_ieee_div_zero 0
		.amdhsa_exception_fp_ieee_overflow 0
		.amdhsa_exception_fp_ieee_underflow 0
		.amdhsa_exception_fp_ieee_inexact 0
		.amdhsa_exception_int_div_zero 0
	.end_amdhsa_kernel
	.section	.text._ZL13mul_mat_vec_fIffLi7ELi32ELb0ELb0EEvPKT_PKfPKi31ggml_cuda_mm_fusion_args_devicePfi15HIP_vector_typeIjLj3EEiiiSA_iiiSA_iiii,"axG",@progbits,_ZL13mul_mat_vec_fIffLi7ELi32ELb0ELb0EEvPKT_PKfPKi31ggml_cuda_mm_fusion_args_devicePfi15HIP_vector_typeIjLj3EEiiiSA_iiiSA_iiii,comdat
.Lfunc_end72:
	.size	_ZL13mul_mat_vec_fIffLi7ELi32ELb0ELb0EEvPKT_PKfPKi31ggml_cuda_mm_fusion_args_devicePfi15HIP_vector_typeIjLj3EEiiiSA_iiiSA_iiii, .Lfunc_end72-_ZL13mul_mat_vec_fIffLi7ELi32ELb0ELb0EEvPKT_PKfPKi31ggml_cuda_mm_fusion_args_devicePfi15HIP_vector_typeIjLj3EEiiiSA_iiiSA_iiii
                                        ; -- End function
	.set _ZL13mul_mat_vec_fIffLi7ELi32ELb0ELb0EEvPKT_PKfPKi31ggml_cuda_mm_fusion_args_devicePfi15HIP_vector_typeIjLj3EEiiiSA_iiiSA_iiii.num_vgpr, 29
	.set _ZL13mul_mat_vec_fIffLi7ELi32ELb0ELb0EEvPKT_PKfPKi31ggml_cuda_mm_fusion_args_devicePfi15HIP_vector_typeIjLj3EEiiiSA_iiiSA_iiii.num_agpr, 0
	.set _ZL13mul_mat_vec_fIffLi7ELi32ELb0ELb0EEvPKT_PKfPKi31ggml_cuda_mm_fusion_args_devicePfi15HIP_vector_typeIjLj3EEiiiSA_iiiSA_iiii.numbered_sgpr, 36
	.set _ZL13mul_mat_vec_fIffLi7ELi32ELb0ELb0EEvPKT_PKfPKi31ggml_cuda_mm_fusion_args_devicePfi15HIP_vector_typeIjLj3EEiiiSA_iiiSA_iiii.num_named_barrier, 0
	.set _ZL13mul_mat_vec_fIffLi7ELi32ELb0ELb0EEvPKT_PKfPKi31ggml_cuda_mm_fusion_args_devicePfi15HIP_vector_typeIjLj3EEiiiSA_iiiSA_iiii.private_seg_size, 0
	.set _ZL13mul_mat_vec_fIffLi7ELi32ELb0ELb0EEvPKT_PKfPKi31ggml_cuda_mm_fusion_args_devicePfi15HIP_vector_typeIjLj3EEiiiSA_iiiSA_iiii.uses_vcc, 1
	.set _ZL13mul_mat_vec_fIffLi7ELi32ELb0ELb0EEvPKT_PKfPKi31ggml_cuda_mm_fusion_args_devicePfi15HIP_vector_typeIjLj3EEiiiSA_iiiSA_iiii.uses_flat_scratch, 0
	.set _ZL13mul_mat_vec_fIffLi7ELi32ELb0ELb0EEvPKT_PKfPKi31ggml_cuda_mm_fusion_args_devicePfi15HIP_vector_typeIjLj3EEiiiSA_iiiSA_iiii.has_dyn_sized_stack, 0
	.set _ZL13mul_mat_vec_fIffLi7ELi32ELb0ELb0EEvPKT_PKfPKi31ggml_cuda_mm_fusion_args_devicePfi15HIP_vector_typeIjLj3EEiiiSA_iiiSA_iiii.has_recursion, 0
	.set _ZL13mul_mat_vec_fIffLi7ELi32ELb0ELb0EEvPKT_PKfPKi31ggml_cuda_mm_fusion_args_devicePfi15HIP_vector_typeIjLj3EEiiiSA_iiiSA_iiii.has_indirect_call, 0
	.section	.AMDGPU.csdata,"",@progbits
; Kernel info:
; codeLenInByte = 1664
; TotalNumSgprs: 38
; NumVgprs: 29
; ScratchSize: 0
; MemoryBound: 0
; FloatMode: 240
; IeeeMode: 1
; LDSByteSize: 0 bytes/workgroup (compile time only)
; SGPRBlocks: 0
; VGPRBlocks: 3
; NumSGPRsForWavesPerEU: 38
; NumVGPRsForWavesPerEU: 29
; Occupancy: 16
; WaveLimiterHint : 0
; COMPUTE_PGM_RSRC2:SCRATCH_EN: 0
; COMPUTE_PGM_RSRC2:USER_SGPR: 6
; COMPUTE_PGM_RSRC2:TRAP_HANDLER: 0
; COMPUTE_PGM_RSRC2:TGID_X_EN: 1
; COMPUTE_PGM_RSRC2:TGID_Y_EN: 1
; COMPUTE_PGM_RSRC2:TGID_Z_EN: 1
; COMPUTE_PGM_RSRC2:TIDIG_COMP_CNT: 0
	.section	.text._ZL13mul_mat_vec_fIffLi7ELi64ELb0ELb0EEvPKT_PKfPKi31ggml_cuda_mm_fusion_args_devicePfi15HIP_vector_typeIjLj3EEiiiSA_iiiSA_iiii,"axG",@progbits,_ZL13mul_mat_vec_fIffLi7ELi64ELb0ELb0EEvPKT_PKfPKi31ggml_cuda_mm_fusion_args_devicePfi15HIP_vector_typeIjLj3EEiiiSA_iiiSA_iiii,comdat
	.globl	_ZL13mul_mat_vec_fIffLi7ELi64ELb0ELb0EEvPKT_PKfPKi31ggml_cuda_mm_fusion_args_devicePfi15HIP_vector_typeIjLj3EEiiiSA_iiiSA_iiii ; -- Begin function _ZL13mul_mat_vec_fIffLi7ELi64ELb0ELb0EEvPKT_PKfPKi31ggml_cuda_mm_fusion_args_devicePfi15HIP_vector_typeIjLj3EEiiiSA_iiiSA_iiii
	.p2align	8
	.type	_ZL13mul_mat_vec_fIffLi7ELi64ELb0ELb0EEvPKT_PKfPKi31ggml_cuda_mm_fusion_args_devicePfi15HIP_vector_typeIjLj3EEiiiSA_iiiSA_iiii,@function
_ZL13mul_mat_vec_fIffLi7ELi64ELb0ELb0EEvPKT_PKfPKi31ggml_cuda_mm_fusion_args_devicePfi15HIP_vector_typeIjLj3EEiiiSA_iiiSA_iiii: ; @_ZL13mul_mat_vec_fIffLi7ELi64ELb0ELb0EEvPKT_PKfPKi31ggml_cuda_mm_fusion_args_devicePfi15HIP_vector_typeIjLj3EEiiiSA_iiiSA_iiii
; %bb.0:
	s_clause 0x2
	s_load_dwordx2 s[0:1], s[4:5], 0x10
	s_load_dwordx8 s[12:19], s[4:5], 0x40
	s_load_dwordx4 s[20:23], s[4:5], 0x80
	s_waitcnt lgkmcnt(0)
	s_cmp_eq_u64 s[0:1], 0
	s_cselect_b32 s10, -1, 0
	s_cmp_lg_u64 s[0:1], 0
	s_cselect_b32 s11, -1, 0
	s_and_b32 vcc_lo, exec_lo, s10
	s_cbranch_vccnz .LBB73_2
; %bb.1:
	s_mul_i32 s2, s23, s8
	s_mov_b32 s3, 0
	s_add_i32 s2, s2, s7
	s_lshl_b64 s[24:25], s[2:3], 2
	s_add_u32 s0, s0, s24
	s_addc_u32 s1, s1, s25
	s_load_dword s9, s[0:1], 0x0
	s_cbranch_execz .LBB73_3
	s_branch .LBB73_4
.LBB73_2:
                                        ; implicit-def: $sgpr9
.LBB73_3:
	s_load_dwordx2 s[0:1], s[4:5], 0x5c
	s_waitcnt lgkmcnt(0)
	s_mul_hi_u32 s0, s0, s7
	s_add_i32 s0, s7, s0
	s_lshr_b32 s9, s0, s1
.LBB73_4:
	s_load_dwordx4 s[24:27], s[4:5], 0x68
	s_andn2_b32 vcc_lo, exec_lo, s11
	s_mov_b32 s19, s7
	s_cbranch_vccnz .LBB73_6
; %bb.5:
	s_mul_hi_u32 s0, s13, s7
	s_add_i32 s0, s7, s0
	s_lshr_b32 s0, s0, s14
	s_mul_i32 s0, s0, s15
	s_sub_i32 s19, s7, s0
.LBB73_6:
	s_load_dword s14, s[4:5], 0x78
	v_cmp_gt_u32_e32 vcc_lo, 32, v0
	v_lshl_add_u32 v5, v0, 2, 0
	s_and_saveexec_b32 s0, vcc_lo
; %bb.7:
	v_mov_b32_e32 v1, 0
	ds_write_b32 v5, v1
; %bb.8:
	s_or_b32 exec_lo, exec_lo, s0
	v_mov_b32_e32 v6, 0
	v_mov_b32_e32 v7, 0
	v_mov_b32_e32 v8, 0
	v_mov_b32_e32 v9, 0
	v_mov_b32_e32 v10, 0
	v_mov_b32_e32 v12, 0
	v_mov_b32_e32 v11, 0
	s_and_b32 s0, exec_lo, s10
	s_mov_b32 s11, 0
	s_cselect_b32 s10, s8, 0
	s_mov_b32 s13, exec_lo
	s_waitcnt lgkmcnt(0)
	s_barrier
	buffer_gl0_inv
	v_cmpx_gt_i32_e64 s12, v0
	s_cbranch_execz .LBB73_12
; %bb.9:
	s_load_dwordx4 s[0:3], s[4:5], 0x0
	s_mul_hi_u32 s15, s27, s10
	s_mul_hi_i32 s29, s21, s10
	s_mul_i32 s28, s21, s10
	s_mul_i32 s8, s9, s24
	;; [unrolled: 1-line block ×4, first 2 shown]
	s_add_i32 s15, s10, s15
	s_lshl_b64 s[28:29], s[28:29], 2
	s_ashr_i32 s9, s8, 31
	s_ashr_i32 s25, s24, 31
	;; [unrolled: 1-line block ×3, first 2 shown]
	s_lshr_b32 s14, s15, s14
	v_lshlrev_b32_e32 v1, 3, v0
	s_mul_hi_i32 s21, s14, s20
	s_mul_i32 s20, s14, s20
	s_mov_b32 s34, s17
	v_mov_b32_e32 v11, 0
	v_mov_b32_e32 v13, v0
	;; [unrolled: 1-line block ×3, first 2 shown]
	s_waitcnt lgkmcnt(0)
	s_add_u32 s15, s2, s28
	s_addc_u32 s16, s3, s29
	s_lshl_b64 s[30:31], s[30:31], 2
	v_mov_b32_e32 v10, 0
	s_add_u32 s14, s15, s30
	s_addc_u32 s15, s16, s31
	s_lshl_b64 s[8:9], s[8:9], 2
	s_ashr_i32 s35, s17, 31
	s_add_i32 s16, s17, s17
	s_lshl_b32 s19, s17, 2
	s_lshl_b64 s[20:21], s[20:21], 2
	s_lshl_b64 s[24:25], s[24:25], 2
	s_add_u32 s0, s0, s8
	s_addc_u32 s1, s1, s9
	s_add_u32 s0, s0, s24
	s_addc_u32 s1, s1, s25
	;; [unrolled: 2-line block ×3, first 2 shown]
	v_add_co_u32 v2, s0, s0, v1
	s_lshl_b64 s[8:9], s[34:35], 3
	v_add_co_ci_u32_e64 v3, null, s1, 0, s0
	s_add_u32 s0, s2, s30
	s_addc_u32 s1, s3, s31
	s_add_u32 s0, s0, s28
	s_addc_u32 s1, s1, s29
	v_add_co_u32 v4, s0, s0, v1
	v_add_co_ci_u32_e64 v6, null, s1, 0, s0
	v_add_co_u32 v1, s0, v2, 4
	v_add_co_ci_u32_e64 v2, null, 0, v3, s0
	;; [unrolled: 2-line block ×3, first 2 shown]
	v_mov_b32_e32 v9, 0
	v_mov_b32_e32 v8, 0
	;; [unrolled: 1-line block ×4, first 2 shown]
	s_mul_i32 s1, s17, 3
	s_mul_i32 s2, s17, 5
	;; [unrolled: 1-line block ×3, first 2 shown]
.LBB73_10:                              ; =>This Inner Loop Header: Depth=1
	v_add_nc_u32_e32 v20, s16, v13
	v_add_nc_u32_e32 v22, s1, v13
	v_add_nc_u32_e32 v24, s19, v13
	v_add_nc_u32_e32 v26, s2, v13
	v_add_nc_u32_e32 v28, s3, v13
	v_ashrrev_i32_e32 v21, 31, v20
	v_ashrrev_i32_e32 v23, 31, v22
	;; [unrolled: 1-line block ×5, first 2 shown]
	v_lshlrev_b64 v[20:21], 3, v[20:21]
	v_lshlrev_b64 v[22:23], 3, v[22:23]
	v_add_co_u32 v18, s0, v3, s8
	v_lshlrev_b64 v[24:25], 3, v[24:25]
	v_add_co_ci_u32_e64 v19, null, s9, v4, s0
	v_lshlrev_b64 v[26:27], 3, v[26:27]
	v_add_co_u32 v20, s0, s14, v20
	v_lshlrev_b64 v[28:29], 3, v[28:29]
	v_add_co_ci_u32_e64 v21, null, s15, v21, s0
	v_add_co_u32 v22, s0, s14, v22
	v_add_co_ci_u32_e64 v23, null, s15, v23, s0
	v_add_co_u32 v24, s0, s14, v24
	;; [unrolled: 2-line block ×4, first 2 shown]
	v_add_co_ci_u32_e64 v29, null, s15, v29, s0
	global_load_dwordx2 v[14:15], v[1:2], off offset:-4
	s_clause 0x1
	global_load_dwordx2 v[16:17], v[3:4], off offset:-4
	global_load_dwordx2 v[18:19], v[18:19], off offset:-4
	s_clause 0x4
	global_load_dwordx2 v[20:21], v[20:21], off
	global_load_dwordx2 v[22:23], v[22:23], off
	;; [unrolled: 1-line block ×5, first 2 shown]
	v_add_nc_u32_e32 v13, 64, v13
	v_add_co_u32 v1, s0, 0x200, v1
	v_add_co_ci_u32_e64 v2, null, 0, v2, s0
	v_add_co_u32 v3, s0, 0x200, v3
	v_add_co_ci_u32_e64 v4, null, 0, v4, s0
	v_cmp_le_i32_e64 s0, s12, v13
	s_or_b32 s11, s0, s11
	s_waitcnt vmcnt(4)
	v_fmac_f32_e32 v10, v14, v20
	v_fmac_f32_e32 v11, v14, v16
	;; [unrolled: 1-line block ×3, first 2 shown]
	s_waitcnt vmcnt(3)
	v_fmac_f32_e32 v9, v14, v22
	s_waitcnt vmcnt(2)
	v_fmac_f32_e32 v8, v14, v24
	;; [unrolled: 2-line block ×4, first 2 shown]
	v_fmac_f32_e32 v11, v15, v17
	v_fmac_f32_e32 v12, v15, v19
	;; [unrolled: 1-line block ×7, first 2 shown]
	s_andn2_b32 exec_lo, exec_lo, s11
	s_cbranch_execnz .LBB73_10
; %bb.11:
	s_or_b32 exec_lo, exec_lo, s11
.LBB73_12:
	s_or_b32 exec_lo, exec_lo, s13
	v_mbcnt_lo_u32_b32 v2, -1, 0
	v_xor_b32_e32 v1, 16, v2
	v_xor_b32_e32 v3, 8, v2
	v_cmp_gt_i32_e64 s0, 32, v1
	v_cndmask_b32_e64 v1, v2, v1, s0
	v_cmp_gt_i32_e64 s0, 32, v3
	v_lshlrev_b32_e32 v1, 2, v1
	v_cndmask_b32_e64 v3, v2, v3, s0
	ds_bpermute_b32 v4, v1, v11
	v_lshlrev_b32_e32 v3, 2, v3
	s_waitcnt lgkmcnt(0)
	v_add_f32_e32 v11, v11, v4
	v_xor_b32_e32 v4, 4, v2
	ds_bpermute_b32 v13, v3, v11
	v_cmp_gt_i32_e64 s0, 32, v4
	v_cndmask_b32_e64 v4, v2, v4, s0
	v_lshlrev_b32_e32 v4, 2, v4
	s_waitcnt lgkmcnt(0)
	v_add_f32_e32 v13, v11, v13
	v_xor_b32_e32 v11, 2, v2
	ds_bpermute_b32 v14, v4, v13
	v_cmp_gt_i32_e64 s0, 32, v11
	v_cndmask_b32_e64 v11, v2, v11, s0
	;; [unrolled: 7-line block ×3, first 2 shown]
	v_lshlrev_b32_e32 v13, 2, v2
	s_waitcnt lgkmcnt(0)
	v_add_f32_e32 v2, v14, v15
	v_lshrrev_b32_e32 v14, 3, v0
	ds_bpermute_b32 v15, v13, v2
	v_and_b32_e32 v14, 0x7c, v14
	v_add_nc_u32_e32 v14, 0, v14
	s_waitcnt lgkmcnt(0)
	v_add_f32_e32 v2, v2, v15
	ds_write_b32 v14, v2
	s_waitcnt lgkmcnt(0)
	s_barrier
	buffer_gl0_inv
	s_and_saveexec_b32 s0, vcc_lo
	s_cbranch_execz .LBB73_14
; %bb.13:
	ds_read_b32 v2, v5
	s_waitcnt lgkmcnt(0)
	ds_bpermute_b32 v15, v1, v2
	s_waitcnt lgkmcnt(0)
	v_add_f32_e32 v2, v2, v15
	ds_bpermute_b32 v15, v3, v2
	s_waitcnt lgkmcnt(0)
	v_add_f32_e32 v2, v2, v15
	ds_bpermute_b32 v15, v4, v2
	s_waitcnt lgkmcnt(0)
	v_add_f32_e32 v2, v2, v15
	ds_bpermute_b32 v15, v11, v2
	s_waitcnt lgkmcnt(0)
	v_add_f32_e32 v2, v2, v15
	ds_bpermute_b32 v15, v13, v2
	s_waitcnt lgkmcnt(0)
	v_add_f32_e32 v2, v2, v15
.LBB73_14:
	s_or_b32 exec_lo, exec_lo, s0
	ds_bpermute_b32 v15, v1, v12
	s_waitcnt lgkmcnt(0)
	s_barrier
	buffer_gl0_inv
	v_add_f32_e32 v12, v12, v15
	ds_bpermute_b32 v15, v3, v12
	s_waitcnt lgkmcnt(0)
	v_add_f32_e32 v12, v12, v15
	ds_bpermute_b32 v15, v4, v12
	s_waitcnt lgkmcnt(0)
	v_add_f32_e32 v12, v12, v15
	ds_bpermute_b32 v15, v11, v12
	s_waitcnt lgkmcnt(0)
	v_add_f32_e32 v12, v12, v15
	ds_bpermute_b32 v15, v13, v12
	s_waitcnt lgkmcnt(0)
	v_add_f32_e32 v12, v12, v15
	ds_write_b32 v14, v12
	s_waitcnt lgkmcnt(0)
	s_barrier
	buffer_gl0_inv
	s_and_saveexec_b32 s0, vcc_lo
	s_cbranch_execz .LBB73_16
; %bb.15:
	ds_read_b32 v12, v5
	s_waitcnt lgkmcnt(0)
	ds_bpermute_b32 v15, v1, v12
	s_waitcnt lgkmcnt(0)
	v_add_f32_e32 v12, v12, v15
	ds_bpermute_b32 v15, v3, v12
	s_waitcnt lgkmcnt(0)
	v_add_f32_e32 v12, v12, v15
	ds_bpermute_b32 v15, v4, v12
	s_waitcnt lgkmcnt(0)
	v_add_f32_e32 v12, v12, v15
	ds_bpermute_b32 v15, v11, v12
	s_waitcnt lgkmcnt(0)
	v_add_f32_e32 v12, v12, v15
	ds_bpermute_b32 v15, v13, v12
	s_waitcnt lgkmcnt(0)
	v_add_f32_e32 v12, v12, v15
.LBB73_16:
	s_or_b32 exec_lo, exec_lo, s0
	ds_bpermute_b32 v15, v1, v10
	s_waitcnt lgkmcnt(0)
	s_barrier
	buffer_gl0_inv
	v_add_f32_e32 v10, v10, v15
	ds_bpermute_b32 v15, v3, v10
	s_waitcnt lgkmcnt(0)
	v_add_f32_e32 v10, v10, v15
	ds_bpermute_b32 v15, v4, v10
	s_waitcnt lgkmcnt(0)
	v_add_f32_e32 v10, v10, v15
	ds_bpermute_b32 v15, v11, v10
	s_waitcnt lgkmcnt(0)
	v_add_f32_e32 v10, v10, v15
	ds_bpermute_b32 v15, v13, v10
	;; [unrolled: 43-line block ×6, first 2 shown]
	s_waitcnt lgkmcnt(0)
	v_add_f32_e32 v6, v6, v15
	ds_write_b32 v14, v6
	s_waitcnt lgkmcnt(0)
	s_barrier
	buffer_gl0_inv
	s_and_saveexec_b32 s0, vcc_lo
	s_cbranch_execz .LBB73_26
; %bb.25:
	ds_read_b32 v5, v5
	s_waitcnt lgkmcnt(0)
	ds_bpermute_b32 v1, v1, v5
	s_waitcnt lgkmcnt(0)
	v_add_f32_e32 v1, v5, v1
	ds_bpermute_b32 v3, v3, v1
	s_waitcnt lgkmcnt(0)
	v_add_f32_e32 v1, v1, v3
	;; [unrolled: 3-line block ×5, first 2 shown]
.LBB73_26:
	s_or_b32 exec_lo, exec_lo, s0
	s_barrier
	buffer_gl0_inv
	s_mov_b32 s0, exec_lo
	v_cmpx_gt_u32_e32 7, v0
	s_cbranch_execz .LBB73_28
; %bb.27:
	v_cmp_eq_u32_e32 vcc_lo, 1, v0
	s_load_dwordx2 s[0:1], s[4:5], 0x38
	s_mul_hi_i32 s3, s22, s10
	s_mul_i32 s2, s22, s10
	s_mul_i32 s4, s26, s7
	v_cndmask_b32_e32 v1, v2, v12, vcc_lo
	v_cmp_eq_u32_e32 vcc_lo, 2, v0
	s_lshl_b64 s[2:3], s[2:3], 2
	s_ashr_i32 s5, s4, 31
	v_cndmask_b32_e32 v3, v1, v10, vcc_lo
	v_cmp_eq_u32_e32 vcc_lo, 3, v0
	v_mad_u64_u32 v[1:2], null, s18, v0, s[6:7]
	v_cndmask_b32_e32 v2, v3, v9, vcc_lo
	v_cmp_eq_u32_e32 vcc_lo, 4, v0
	s_waitcnt lgkmcnt(0)
	s_add_u32 s2, s0, s2
	s_addc_u32 s3, s1, s3
	v_cndmask_b32_e32 v3, v2, v8, vcc_lo
	v_ashrrev_i32_e32 v2, 31, v1
	v_cmp_eq_u32_e32 vcc_lo, 5, v0
	s_lshl_b64 s[0:1], s[4:5], 2
	s_add_u32 s0, s2, s0
	v_lshlrev_b64 v[1:2], 2, v[1:2]
	v_cndmask_b32_e32 v3, v3, v7, vcc_lo
	v_cmp_eq_u32_e32 vcc_lo, 6, v0
	s_addc_u32 s1, s3, s1
	v_cndmask_b32_e32 v3, v3, v6, vcc_lo
	v_add_co_u32 v0, vcc_lo, s0, v1
	v_add_co_ci_u32_e64 v1, null, s1, v2, vcc_lo
	global_store_dword v[0:1], v3, off
.LBB73_28:
	s_endpgm
	.section	.rodata,"a",@progbits
	.p2align	6, 0x0
	.amdhsa_kernel _ZL13mul_mat_vec_fIffLi7ELi64ELb0ELb0EEvPKT_PKfPKi31ggml_cuda_mm_fusion_args_devicePfi15HIP_vector_typeIjLj3EEiiiSA_iiiSA_iiii
		.amdhsa_group_segment_fixed_size 0
		.amdhsa_private_segment_fixed_size 0
		.amdhsa_kernarg_size 144
		.amdhsa_user_sgpr_count 6
		.amdhsa_user_sgpr_private_segment_buffer 1
		.amdhsa_user_sgpr_dispatch_ptr 0
		.amdhsa_user_sgpr_queue_ptr 0
		.amdhsa_user_sgpr_kernarg_segment_ptr 1
		.amdhsa_user_sgpr_dispatch_id 0
		.amdhsa_user_sgpr_flat_scratch_init 0
		.amdhsa_user_sgpr_private_segment_size 0
		.amdhsa_wavefront_size32 1
		.amdhsa_uses_dynamic_stack 0
		.amdhsa_system_sgpr_private_segment_wavefront_offset 0
		.amdhsa_system_sgpr_workgroup_id_x 1
		.amdhsa_system_sgpr_workgroup_id_y 1
		.amdhsa_system_sgpr_workgroup_id_z 1
		.amdhsa_system_sgpr_workgroup_info 0
		.amdhsa_system_vgpr_workitem_id 0
		.amdhsa_next_free_vgpr 30
		.amdhsa_next_free_sgpr 36
		.amdhsa_reserve_vcc 1
		.amdhsa_reserve_flat_scratch 0
		.amdhsa_float_round_mode_32 0
		.amdhsa_float_round_mode_16_64 0
		.amdhsa_float_denorm_mode_32 3
		.amdhsa_float_denorm_mode_16_64 3
		.amdhsa_dx10_clamp 1
		.amdhsa_ieee_mode 1
		.amdhsa_fp16_overflow 0
		.amdhsa_workgroup_processor_mode 1
		.amdhsa_memory_ordered 1
		.amdhsa_forward_progress 1
		.amdhsa_shared_vgpr_count 0
		.amdhsa_exception_fp_ieee_invalid_op 0
		.amdhsa_exception_fp_denorm_src 0
		.amdhsa_exception_fp_ieee_div_zero 0
		.amdhsa_exception_fp_ieee_overflow 0
		.amdhsa_exception_fp_ieee_underflow 0
		.amdhsa_exception_fp_ieee_inexact 0
		.amdhsa_exception_int_div_zero 0
	.end_amdhsa_kernel
	.section	.text._ZL13mul_mat_vec_fIffLi7ELi64ELb0ELb0EEvPKT_PKfPKi31ggml_cuda_mm_fusion_args_devicePfi15HIP_vector_typeIjLj3EEiiiSA_iiiSA_iiii,"axG",@progbits,_ZL13mul_mat_vec_fIffLi7ELi64ELb0ELb0EEvPKT_PKfPKi31ggml_cuda_mm_fusion_args_devicePfi15HIP_vector_typeIjLj3EEiiiSA_iiiSA_iiii,comdat
.Lfunc_end73:
	.size	_ZL13mul_mat_vec_fIffLi7ELi64ELb0ELb0EEvPKT_PKfPKi31ggml_cuda_mm_fusion_args_devicePfi15HIP_vector_typeIjLj3EEiiiSA_iiiSA_iiii, .Lfunc_end73-_ZL13mul_mat_vec_fIffLi7ELi64ELb0ELb0EEvPKT_PKfPKi31ggml_cuda_mm_fusion_args_devicePfi15HIP_vector_typeIjLj3EEiiiSA_iiiSA_iiii
                                        ; -- End function
	.set _ZL13mul_mat_vec_fIffLi7ELi64ELb0ELb0EEvPKT_PKfPKi31ggml_cuda_mm_fusion_args_devicePfi15HIP_vector_typeIjLj3EEiiiSA_iiiSA_iiii.num_vgpr, 30
	.set _ZL13mul_mat_vec_fIffLi7ELi64ELb0ELb0EEvPKT_PKfPKi31ggml_cuda_mm_fusion_args_devicePfi15HIP_vector_typeIjLj3EEiiiSA_iiiSA_iiii.num_agpr, 0
	.set _ZL13mul_mat_vec_fIffLi7ELi64ELb0ELb0EEvPKT_PKfPKi31ggml_cuda_mm_fusion_args_devicePfi15HIP_vector_typeIjLj3EEiiiSA_iiiSA_iiii.numbered_sgpr, 36
	.set _ZL13mul_mat_vec_fIffLi7ELi64ELb0ELb0EEvPKT_PKfPKi31ggml_cuda_mm_fusion_args_devicePfi15HIP_vector_typeIjLj3EEiiiSA_iiiSA_iiii.num_named_barrier, 0
	.set _ZL13mul_mat_vec_fIffLi7ELi64ELb0ELb0EEvPKT_PKfPKi31ggml_cuda_mm_fusion_args_devicePfi15HIP_vector_typeIjLj3EEiiiSA_iiiSA_iiii.private_seg_size, 0
	.set _ZL13mul_mat_vec_fIffLi7ELi64ELb0ELb0EEvPKT_PKfPKi31ggml_cuda_mm_fusion_args_devicePfi15HIP_vector_typeIjLj3EEiiiSA_iiiSA_iiii.uses_vcc, 1
	.set _ZL13mul_mat_vec_fIffLi7ELi64ELb0ELb0EEvPKT_PKfPKi31ggml_cuda_mm_fusion_args_devicePfi15HIP_vector_typeIjLj3EEiiiSA_iiiSA_iiii.uses_flat_scratch, 0
	.set _ZL13mul_mat_vec_fIffLi7ELi64ELb0ELb0EEvPKT_PKfPKi31ggml_cuda_mm_fusion_args_devicePfi15HIP_vector_typeIjLj3EEiiiSA_iiiSA_iiii.has_dyn_sized_stack, 0
	.set _ZL13mul_mat_vec_fIffLi7ELi64ELb0ELb0EEvPKT_PKfPKi31ggml_cuda_mm_fusion_args_devicePfi15HIP_vector_typeIjLj3EEiiiSA_iiiSA_iiii.has_recursion, 0
	.set _ZL13mul_mat_vec_fIffLi7ELi64ELb0ELb0EEvPKT_PKfPKi31ggml_cuda_mm_fusion_args_devicePfi15HIP_vector_typeIjLj3EEiiiSA_iiiSA_iiii.has_indirect_call, 0
	.section	.AMDGPU.csdata,"",@progbits
; Kernel info:
; codeLenInByte = 2784
; TotalNumSgprs: 38
; NumVgprs: 30
; ScratchSize: 0
; MemoryBound: 0
; FloatMode: 240
; IeeeMode: 1
; LDSByteSize: 0 bytes/workgroup (compile time only)
; SGPRBlocks: 0
; VGPRBlocks: 3
; NumSGPRsForWavesPerEU: 38
; NumVGPRsForWavesPerEU: 30
; Occupancy: 16
; WaveLimiterHint : 0
; COMPUTE_PGM_RSRC2:SCRATCH_EN: 0
; COMPUTE_PGM_RSRC2:USER_SGPR: 6
; COMPUTE_PGM_RSRC2:TRAP_HANDLER: 0
; COMPUTE_PGM_RSRC2:TGID_X_EN: 1
; COMPUTE_PGM_RSRC2:TGID_Y_EN: 1
; COMPUTE_PGM_RSRC2:TGID_Z_EN: 1
; COMPUTE_PGM_RSRC2:TIDIG_COMP_CNT: 0
	.section	.text._ZL13mul_mat_vec_fIffLi7ELi96ELb0ELb0EEvPKT_PKfPKi31ggml_cuda_mm_fusion_args_devicePfi15HIP_vector_typeIjLj3EEiiiSA_iiiSA_iiii,"axG",@progbits,_ZL13mul_mat_vec_fIffLi7ELi96ELb0ELb0EEvPKT_PKfPKi31ggml_cuda_mm_fusion_args_devicePfi15HIP_vector_typeIjLj3EEiiiSA_iiiSA_iiii,comdat
	.globl	_ZL13mul_mat_vec_fIffLi7ELi96ELb0ELb0EEvPKT_PKfPKi31ggml_cuda_mm_fusion_args_devicePfi15HIP_vector_typeIjLj3EEiiiSA_iiiSA_iiii ; -- Begin function _ZL13mul_mat_vec_fIffLi7ELi96ELb0ELb0EEvPKT_PKfPKi31ggml_cuda_mm_fusion_args_devicePfi15HIP_vector_typeIjLj3EEiiiSA_iiiSA_iiii
	.p2align	8
	.type	_ZL13mul_mat_vec_fIffLi7ELi96ELb0ELb0EEvPKT_PKfPKi31ggml_cuda_mm_fusion_args_devicePfi15HIP_vector_typeIjLj3EEiiiSA_iiiSA_iiii,@function
_ZL13mul_mat_vec_fIffLi7ELi96ELb0ELb0EEvPKT_PKfPKi31ggml_cuda_mm_fusion_args_devicePfi15HIP_vector_typeIjLj3EEiiiSA_iiiSA_iiii: ; @_ZL13mul_mat_vec_fIffLi7ELi96ELb0ELb0EEvPKT_PKfPKi31ggml_cuda_mm_fusion_args_devicePfi15HIP_vector_typeIjLj3EEiiiSA_iiiSA_iiii
; %bb.0:
	s_clause 0x2
	s_load_dwordx2 s[0:1], s[4:5], 0x10
	s_load_dwordx8 s[12:19], s[4:5], 0x40
	s_load_dwordx4 s[20:23], s[4:5], 0x80
	s_waitcnt lgkmcnt(0)
	s_cmp_eq_u64 s[0:1], 0
	s_cselect_b32 s10, -1, 0
	s_cmp_lg_u64 s[0:1], 0
	s_cselect_b32 s11, -1, 0
	s_and_b32 vcc_lo, exec_lo, s10
	s_cbranch_vccnz .LBB74_2
; %bb.1:
	s_mul_i32 s2, s23, s8
	s_mov_b32 s3, 0
	s_add_i32 s2, s2, s7
	s_lshl_b64 s[24:25], s[2:3], 2
	s_add_u32 s0, s0, s24
	s_addc_u32 s1, s1, s25
	s_load_dword s9, s[0:1], 0x0
	s_cbranch_execz .LBB74_3
	s_branch .LBB74_4
.LBB74_2:
                                        ; implicit-def: $sgpr9
.LBB74_3:
	s_load_dwordx2 s[0:1], s[4:5], 0x5c
	s_waitcnt lgkmcnt(0)
	s_mul_hi_u32 s0, s0, s7
	s_add_i32 s0, s7, s0
	s_lshr_b32 s9, s0, s1
.LBB74_4:
	s_load_dwordx4 s[24:27], s[4:5], 0x68
	s_andn2_b32 vcc_lo, exec_lo, s11
	s_mov_b32 s19, s7
	s_cbranch_vccnz .LBB74_6
; %bb.5:
	s_mul_hi_u32 s0, s13, s7
	s_add_i32 s0, s7, s0
	s_lshr_b32 s0, s0, s14
	s_mul_i32 s0, s0, s15
	s_sub_i32 s19, s7, s0
.LBB74_6:
	s_load_dword s14, s[4:5], 0x78
	v_cmp_gt_u32_e32 vcc_lo, 32, v0
	v_lshl_add_u32 v5, v0, 2, 0
	s_and_saveexec_b32 s0, vcc_lo
; %bb.7:
	v_mov_b32_e32 v1, 0
	ds_write_b32 v5, v1
; %bb.8:
	s_or_b32 exec_lo, exec_lo, s0
	v_mov_b32_e32 v6, 0
	v_mov_b32_e32 v7, 0
	;; [unrolled: 1-line block ×7, first 2 shown]
	s_and_b32 s0, exec_lo, s10
	s_mov_b32 s11, 0
	s_cselect_b32 s10, s8, 0
	s_mov_b32 s13, exec_lo
	s_waitcnt lgkmcnt(0)
	s_barrier
	buffer_gl0_inv
	v_cmpx_gt_i32_e64 s12, v0
	s_cbranch_execz .LBB74_12
; %bb.9:
	s_load_dwordx4 s[0:3], s[4:5], 0x0
	s_mul_hi_u32 s15, s27, s10
	s_mul_hi_i32 s29, s21, s10
	s_mul_i32 s28, s21, s10
	s_mul_i32 s8, s9, s24
	s_mul_i32 s24, s16, s6
	s_mul_i32 s30, s19, s25
	s_add_i32 s15, s10, s15
	s_lshl_b64 s[28:29], s[28:29], 2
	s_ashr_i32 s9, s8, 31
	s_ashr_i32 s25, s24, 31
	;; [unrolled: 1-line block ×3, first 2 shown]
	s_lshr_b32 s14, s15, s14
	v_lshlrev_b32_e32 v1, 3, v0
	s_mul_hi_i32 s21, s14, s20
	s_mul_i32 s20, s14, s20
	s_mov_b32 s34, s17
	v_mov_b32_e32 v11, 0
	v_mov_b32_e32 v13, v0
	;; [unrolled: 1-line block ×3, first 2 shown]
	s_waitcnt lgkmcnt(0)
	s_add_u32 s15, s2, s28
	s_addc_u32 s16, s3, s29
	s_lshl_b64 s[30:31], s[30:31], 2
	v_mov_b32_e32 v10, 0
	s_add_u32 s14, s15, s30
	s_addc_u32 s15, s16, s31
	s_lshl_b64 s[8:9], s[8:9], 2
	s_ashr_i32 s35, s17, 31
	s_add_i32 s16, s17, s17
	s_lshl_b32 s19, s17, 2
	s_lshl_b64 s[20:21], s[20:21], 2
	s_lshl_b64 s[24:25], s[24:25], 2
	s_add_u32 s0, s0, s8
	s_addc_u32 s1, s1, s9
	s_add_u32 s0, s0, s24
	s_addc_u32 s1, s1, s25
	;; [unrolled: 2-line block ×3, first 2 shown]
	v_add_co_u32 v2, s0, s0, v1
	s_lshl_b64 s[8:9], s[34:35], 3
	v_add_co_ci_u32_e64 v3, null, s1, 0, s0
	s_add_u32 s0, s2, s30
	s_addc_u32 s1, s3, s31
	s_add_u32 s0, s0, s28
	s_addc_u32 s1, s1, s29
	v_add_co_u32 v4, s0, s0, v1
	v_add_co_ci_u32_e64 v6, null, s1, 0, s0
	v_add_co_u32 v1, s0, v2, 4
	v_add_co_ci_u32_e64 v2, null, 0, v3, s0
	;; [unrolled: 2-line block ×3, first 2 shown]
	v_mov_b32_e32 v9, 0
	v_mov_b32_e32 v8, 0
	;; [unrolled: 1-line block ×4, first 2 shown]
	s_mul_i32 s1, s17, 3
	s_mul_i32 s2, s17, 5
	;; [unrolled: 1-line block ×3, first 2 shown]
.LBB74_10:                              ; =>This Inner Loop Header: Depth=1
	v_add_nc_u32_e32 v20, s16, v13
	v_add_nc_u32_e32 v22, s1, v13
	;; [unrolled: 1-line block ×5, first 2 shown]
	v_ashrrev_i32_e32 v21, 31, v20
	v_ashrrev_i32_e32 v23, 31, v22
	;; [unrolled: 1-line block ×5, first 2 shown]
	v_lshlrev_b64 v[20:21], 3, v[20:21]
	v_lshlrev_b64 v[22:23], 3, v[22:23]
	v_add_co_u32 v18, s0, v3, s8
	v_lshlrev_b64 v[24:25], 3, v[24:25]
	v_add_co_ci_u32_e64 v19, null, s9, v4, s0
	v_lshlrev_b64 v[26:27], 3, v[26:27]
	v_add_co_u32 v20, s0, s14, v20
	v_lshlrev_b64 v[28:29], 3, v[28:29]
	v_add_co_ci_u32_e64 v21, null, s15, v21, s0
	v_add_co_u32 v22, s0, s14, v22
	v_add_co_ci_u32_e64 v23, null, s15, v23, s0
	v_add_co_u32 v24, s0, s14, v24
	;; [unrolled: 2-line block ×4, first 2 shown]
	v_add_co_ci_u32_e64 v29, null, s15, v29, s0
	global_load_dwordx2 v[14:15], v[1:2], off offset:-4
	s_clause 0x1
	global_load_dwordx2 v[16:17], v[3:4], off offset:-4
	global_load_dwordx2 v[18:19], v[18:19], off offset:-4
	s_clause 0x4
	global_load_dwordx2 v[20:21], v[20:21], off
	global_load_dwordx2 v[22:23], v[22:23], off
	;; [unrolled: 1-line block ×5, first 2 shown]
	v_add_nc_u32_e32 v13, 0x60, v13
	v_add_co_u32 v1, s0, 0x300, v1
	v_add_co_ci_u32_e64 v2, null, 0, v2, s0
	v_add_co_u32 v3, s0, 0x300, v3
	v_add_co_ci_u32_e64 v4, null, 0, v4, s0
	v_cmp_le_i32_e64 s0, s12, v13
	s_or_b32 s11, s0, s11
	s_waitcnt vmcnt(4)
	v_fmac_f32_e32 v10, v14, v20
	v_fmac_f32_e32 v11, v14, v16
	;; [unrolled: 1-line block ×3, first 2 shown]
	s_waitcnt vmcnt(3)
	v_fmac_f32_e32 v9, v14, v22
	s_waitcnt vmcnt(2)
	v_fmac_f32_e32 v8, v14, v24
	;; [unrolled: 2-line block ×4, first 2 shown]
	v_fmac_f32_e32 v11, v15, v17
	v_fmac_f32_e32 v12, v15, v19
	;; [unrolled: 1-line block ×7, first 2 shown]
	s_andn2_b32 exec_lo, exec_lo, s11
	s_cbranch_execnz .LBB74_10
; %bb.11:
	s_or_b32 exec_lo, exec_lo, s11
.LBB74_12:
	s_or_b32 exec_lo, exec_lo, s13
	v_mbcnt_lo_u32_b32 v2, -1, 0
	v_xor_b32_e32 v1, 16, v2
	v_xor_b32_e32 v3, 8, v2
	v_cmp_gt_i32_e64 s0, 32, v1
	v_cndmask_b32_e64 v1, v2, v1, s0
	v_cmp_gt_i32_e64 s0, 32, v3
	v_lshlrev_b32_e32 v1, 2, v1
	v_cndmask_b32_e64 v3, v2, v3, s0
	ds_bpermute_b32 v4, v1, v11
	v_lshlrev_b32_e32 v3, 2, v3
	s_waitcnt lgkmcnt(0)
	v_add_f32_e32 v11, v11, v4
	v_xor_b32_e32 v4, 4, v2
	ds_bpermute_b32 v13, v3, v11
	v_cmp_gt_i32_e64 s0, 32, v4
	v_cndmask_b32_e64 v4, v2, v4, s0
	v_lshlrev_b32_e32 v4, 2, v4
	s_waitcnt lgkmcnt(0)
	v_add_f32_e32 v13, v11, v13
	v_xor_b32_e32 v11, 2, v2
	ds_bpermute_b32 v14, v4, v13
	v_cmp_gt_i32_e64 s0, 32, v11
	v_cndmask_b32_e64 v11, v2, v11, s0
	;; [unrolled: 7-line block ×3, first 2 shown]
	v_lshlrev_b32_e32 v13, 2, v2
	s_waitcnt lgkmcnt(0)
	v_add_f32_e32 v2, v14, v15
	v_lshrrev_b32_e32 v14, 3, v0
	ds_bpermute_b32 v15, v13, v2
	v_and_b32_e32 v14, 0x7c, v14
	v_add_nc_u32_e32 v14, 0, v14
	s_waitcnt lgkmcnt(0)
	v_add_f32_e32 v2, v2, v15
	ds_write_b32 v14, v2
	s_waitcnt lgkmcnt(0)
	s_barrier
	buffer_gl0_inv
	s_and_saveexec_b32 s0, vcc_lo
	s_cbranch_execz .LBB74_14
; %bb.13:
	ds_read_b32 v2, v5
	s_waitcnt lgkmcnt(0)
	ds_bpermute_b32 v15, v1, v2
	s_waitcnt lgkmcnt(0)
	v_add_f32_e32 v2, v2, v15
	ds_bpermute_b32 v15, v3, v2
	s_waitcnt lgkmcnt(0)
	v_add_f32_e32 v2, v2, v15
	ds_bpermute_b32 v15, v4, v2
	s_waitcnt lgkmcnt(0)
	v_add_f32_e32 v2, v2, v15
	ds_bpermute_b32 v15, v11, v2
	s_waitcnt lgkmcnt(0)
	v_add_f32_e32 v2, v2, v15
	ds_bpermute_b32 v15, v13, v2
	s_waitcnt lgkmcnt(0)
	v_add_f32_e32 v2, v2, v15
.LBB74_14:
	s_or_b32 exec_lo, exec_lo, s0
	ds_bpermute_b32 v15, v1, v12
	s_waitcnt lgkmcnt(0)
	s_barrier
	buffer_gl0_inv
	v_add_f32_e32 v12, v12, v15
	ds_bpermute_b32 v15, v3, v12
	s_waitcnt lgkmcnt(0)
	v_add_f32_e32 v12, v12, v15
	ds_bpermute_b32 v15, v4, v12
	s_waitcnt lgkmcnt(0)
	v_add_f32_e32 v12, v12, v15
	ds_bpermute_b32 v15, v11, v12
	s_waitcnt lgkmcnt(0)
	v_add_f32_e32 v12, v12, v15
	ds_bpermute_b32 v15, v13, v12
	s_waitcnt lgkmcnt(0)
	v_add_f32_e32 v12, v12, v15
	ds_write_b32 v14, v12
	s_waitcnt lgkmcnt(0)
	s_barrier
	buffer_gl0_inv
	s_and_saveexec_b32 s0, vcc_lo
	s_cbranch_execz .LBB74_16
; %bb.15:
	ds_read_b32 v12, v5
	s_waitcnt lgkmcnt(0)
	ds_bpermute_b32 v15, v1, v12
	s_waitcnt lgkmcnt(0)
	v_add_f32_e32 v12, v12, v15
	ds_bpermute_b32 v15, v3, v12
	s_waitcnt lgkmcnt(0)
	v_add_f32_e32 v12, v12, v15
	ds_bpermute_b32 v15, v4, v12
	s_waitcnt lgkmcnt(0)
	v_add_f32_e32 v12, v12, v15
	ds_bpermute_b32 v15, v11, v12
	s_waitcnt lgkmcnt(0)
	v_add_f32_e32 v12, v12, v15
	ds_bpermute_b32 v15, v13, v12
	s_waitcnt lgkmcnt(0)
	v_add_f32_e32 v12, v12, v15
.LBB74_16:
	s_or_b32 exec_lo, exec_lo, s0
	ds_bpermute_b32 v15, v1, v10
	s_waitcnt lgkmcnt(0)
	s_barrier
	buffer_gl0_inv
	v_add_f32_e32 v10, v10, v15
	ds_bpermute_b32 v15, v3, v10
	s_waitcnt lgkmcnt(0)
	v_add_f32_e32 v10, v10, v15
	ds_bpermute_b32 v15, v4, v10
	s_waitcnt lgkmcnt(0)
	v_add_f32_e32 v10, v10, v15
	ds_bpermute_b32 v15, v11, v10
	s_waitcnt lgkmcnt(0)
	v_add_f32_e32 v10, v10, v15
	ds_bpermute_b32 v15, v13, v10
	;; [unrolled: 43-line block ×6, first 2 shown]
	s_waitcnt lgkmcnt(0)
	v_add_f32_e32 v6, v6, v15
	ds_write_b32 v14, v6
	s_waitcnt lgkmcnt(0)
	s_barrier
	buffer_gl0_inv
	s_and_saveexec_b32 s0, vcc_lo
	s_cbranch_execz .LBB74_26
; %bb.25:
	ds_read_b32 v5, v5
	s_waitcnt lgkmcnt(0)
	ds_bpermute_b32 v1, v1, v5
	s_waitcnt lgkmcnt(0)
	v_add_f32_e32 v1, v5, v1
	ds_bpermute_b32 v3, v3, v1
	s_waitcnt lgkmcnt(0)
	v_add_f32_e32 v1, v1, v3
	;; [unrolled: 3-line block ×5, first 2 shown]
.LBB74_26:
	s_or_b32 exec_lo, exec_lo, s0
	s_barrier
	buffer_gl0_inv
	s_mov_b32 s0, exec_lo
	v_cmpx_gt_u32_e32 7, v0
	s_cbranch_execz .LBB74_28
; %bb.27:
	v_cmp_eq_u32_e32 vcc_lo, 1, v0
	s_load_dwordx2 s[0:1], s[4:5], 0x38
	s_mul_hi_i32 s3, s22, s10
	s_mul_i32 s2, s22, s10
	s_mul_i32 s4, s26, s7
	v_cndmask_b32_e32 v1, v2, v12, vcc_lo
	v_cmp_eq_u32_e32 vcc_lo, 2, v0
	s_lshl_b64 s[2:3], s[2:3], 2
	s_ashr_i32 s5, s4, 31
	v_cndmask_b32_e32 v3, v1, v10, vcc_lo
	v_cmp_eq_u32_e32 vcc_lo, 3, v0
	v_mad_u64_u32 v[1:2], null, s18, v0, s[6:7]
	v_cndmask_b32_e32 v2, v3, v9, vcc_lo
	v_cmp_eq_u32_e32 vcc_lo, 4, v0
	s_waitcnt lgkmcnt(0)
	s_add_u32 s2, s0, s2
	s_addc_u32 s3, s1, s3
	v_cndmask_b32_e32 v3, v2, v8, vcc_lo
	v_ashrrev_i32_e32 v2, 31, v1
	v_cmp_eq_u32_e32 vcc_lo, 5, v0
	s_lshl_b64 s[0:1], s[4:5], 2
	s_add_u32 s0, s2, s0
	v_lshlrev_b64 v[1:2], 2, v[1:2]
	v_cndmask_b32_e32 v3, v3, v7, vcc_lo
	v_cmp_eq_u32_e32 vcc_lo, 6, v0
	s_addc_u32 s1, s3, s1
	v_cndmask_b32_e32 v3, v3, v6, vcc_lo
	v_add_co_u32 v0, vcc_lo, s0, v1
	v_add_co_ci_u32_e64 v1, null, s1, v2, vcc_lo
	global_store_dword v[0:1], v3, off
.LBB74_28:
	s_endpgm
	.section	.rodata,"a",@progbits
	.p2align	6, 0x0
	.amdhsa_kernel _ZL13mul_mat_vec_fIffLi7ELi96ELb0ELb0EEvPKT_PKfPKi31ggml_cuda_mm_fusion_args_devicePfi15HIP_vector_typeIjLj3EEiiiSA_iiiSA_iiii
		.amdhsa_group_segment_fixed_size 0
		.amdhsa_private_segment_fixed_size 0
		.amdhsa_kernarg_size 144
		.amdhsa_user_sgpr_count 6
		.amdhsa_user_sgpr_private_segment_buffer 1
		.amdhsa_user_sgpr_dispatch_ptr 0
		.amdhsa_user_sgpr_queue_ptr 0
		.amdhsa_user_sgpr_kernarg_segment_ptr 1
		.amdhsa_user_sgpr_dispatch_id 0
		.amdhsa_user_sgpr_flat_scratch_init 0
		.amdhsa_user_sgpr_private_segment_size 0
		.amdhsa_wavefront_size32 1
		.amdhsa_uses_dynamic_stack 0
		.amdhsa_system_sgpr_private_segment_wavefront_offset 0
		.amdhsa_system_sgpr_workgroup_id_x 1
		.amdhsa_system_sgpr_workgroup_id_y 1
		.amdhsa_system_sgpr_workgroup_id_z 1
		.amdhsa_system_sgpr_workgroup_info 0
		.amdhsa_system_vgpr_workitem_id 0
		.amdhsa_next_free_vgpr 30
		.amdhsa_next_free_sgpr 36
		.amdhsa_reserve_vcc 1
		.amdhsa_reserve_flat_scratch 0
		.amdhsa_float_round_mode_32 0
		.amdhsa_float_round_mode_16_64 0
		.amdhsa_float_denorm_mode_32 3
		.amdhsa_float_denorm_mode_16_64 3
		.amdhsa_dx10_clamp 1
		.amdhsa_ieee_mode 1
		.amdhsa_fp16_overflow 0
		.amdhsa_workgroup_processor_mode 1
		.amdhsa_memory_ordered 1
		.amdhsa_forward_progress 1
		.amdhsa_shared_vgpr_count 0
		.amdhsa_exception_fp_ieee_invalid_op 0
		.amdhsa_exception_fp_denorm_src 0
		.amdhsa_exception_fp_ieee_div_zero 0
		.amdhsa_exception_fp_ieee_overflow 0
		.amdhsa_exception_fp_ieee_underflow 0
		.amdhsa_exception_fp_ieee_inexact 0
		.amdhsa_exception_int_div_zero 0
	.end_amdhsa_kernel
	.section	.text._ZL13mul_mat_vec_fIffLi7ELi96ELb0ELb0EEvPKT_PKfPKi31ggml_cuda_mm_fusion_args_devicePfi15HIP_vector_typeIjLj3EEiiiSA_iiiSA_iiii,"axG",@progbits,_ZL13mul_mat_vec_fIffLi7ELi96ELb0ELb0EEvPKT_PKfPKi31ggml_cuda_mm_fusion_args_devicePfi15HIP_vector_typeIjLj3EEiiiSA_iiiSA_iiii,comdat
.Lfunc_end74:
	.size	_ZL13mul_mat_vec_fIffLi7ELi96ELb0ELb0EEvPKT_PKfPKi31ggml_cuda_mm_fusion_args_devicePfi15HIP_vector_typeIjLj3EEiiiSA_iiiSA_iiii, .Lfunc_end74-_ZL13mul_mat_vec_fIffLi7ELi96ELb0ELb0EEvPKT_PKfPKi31ggml_cuda_mm_fusion_args_devicePfi15HIP_vector_typeIjLj3EEiiiSA_iiiSA_iiii
                                        ; -- End function
	.set _ZL13mul_mat_vec_fIffLi7ELi96ELb0ELb0EEvPKT_PKfPKi31ggml_cuda_mm_fusion_args_devicePfi15HIP_vector_typeIjLj3EEiiiSA_iiiSA_iiii.num_vgpr, 30
	.set _ZL13mul_mat_vec_fIffLi7ELi96ELb0ELb0EEvPKT_PKfPKi31ggml_cuda_mm_fusion_args_devicePfi15HIP_vector_typeIjLj3EEiiiSA_iiiSA_iiii.num_agpr, 0
	.set _ZL13mul_mat_vec_fIffLi7ELi96ELb0ELb0EEvPKT_PKfPKi31ggml_cuda_mm_fusion_args_devicePfi15HIP_vector_typeIjLj3EEiiiSA_iiiSA_iiii.numbered_sgpr, 36
	.set _ZL13mul_mat_vec_fIffLi7ELi96ELb0ELb0EEvPKT_PKfPKi31ggml_cuda_mm_fusion_args_devicePfi15HIP_vector_typeIjLj3EEiiiSA_iiiSA_iiii.num_named_barrier, 0
	.set _ZL13mul_mat_vec_fIffLi7ELi96ELb0ELb0EEvPKT_PKfPKi31ggml_cuda_mm_fusion_args_devicePfi15HIP_vector_typeIjLj3EEiiiSA_iiiSA_iiii.private_seg_size, 0
	.set _ZL13mul_mat_vec_fIffLi7ELi96ELb0ELb0EEvPKT_PKfPKi31ggml_cuda_mm_fusion_args_devicePfi15HIP_vector_typeIjLj3EEiiiSA_iiiSA_iiii.uses_vcc, 1
	.set _ZL13mul_mat_vec_fIffLi7ELi96ELb0ELb0EEvPKT_PKfPKi31ggml_cuda_mm_fusion_args_devicePfi15HIP_vector_typeIjLj3EEiiiSA_iiiSA_iiii.uses_flat_scratch, 0
	.set _ZL13mul_mat_vec_fIffLi7ELi96ELb0ELb0EEvPKT_PKfPKi31ggml_cuda_mm_fusion_args_devicePfi15HIP_vector_typeIjLj3EEiiiSA_iiiSA_iiii.has_dyn_sized_stack, 0
	.set _ZL13mul_mat_vec_fIffLi7ELi96ELb0ELb0EEvPKT_PKfPKi31ggml_cuda_mm_fusion_args_devicePfi15HIP_vector_typeIjLj3EEiiiSA_iiiSA_iiii.has_recursion, 0
	.set _ZL13mul_mat_vec_fIffLi7ELi96ELb0ELb0EEvPKT_PKfPKi31ggml_cuda_mm_fusion_args_devicePfi15HIP_vector_typeIjLj3EEiiiSA_iiiSA_iiii.has_indirect_call, 0
	.section	.AMDGPU.csdata,"",@progbits
; Kernel info:
; codeLenInByte = 2788
; TotalNumSgprs: 38
; NumVgprs: 30
; ScratchSize: 0
; MemoryBound: 0
; FloatMode: 240
; IeeeMode: 1
; LDSByteSize: 0 bytes/workgroup (compile time only)
; SGPRBlocks: 0
; VGPRBlocks: 3
; NumSGPRsForWavesPerEU: 38
; NumVGPRsForWavesPerEU: 30
; Occupancy: 16
; WaveLimiterHint : 0
; COMPUTE_PGM_RSRC2:SCRATCH_EN: 0
; COMPUTE_PGM_RSRC2:USER_SGPR: 6
; COMPUTE_PGM_RSRC2:TRAP_HANDLER: 0
; COMPUTE_PGM_RSRC2:TGID_X_EN: 1
; COMPUTE_PGM_RSRC2:TGID_Y_EN: 1
; COMPUTE_PGM_RSRC2:TGID_Z_EN: 1
; COMPUTE_PGM_RSRC2:TIDIG_COMP_CNT: 0
	.section	.text._ZL13mul_mat_vec_fIffLi7ELi128ELb0ELb0EEvPKT_PKfPKi31ggml_cuda_mm_fusion_args_devicePfi15HIP_vector_typeIjLj3EEiiiSA_iiiSA_iiii,"axG",@progbits,_ZL13mul_mat_vec_fIffLi7ELi128ELb0ELb0EEvPKT_PKfPKi31ggml_cuda_mm_fusion_args_devicePfi15HIP_vector_typeIjLj3EEiiiSA_iiiSA_iiii,comdat
	.globl	_ZL13mul_mat_vec_fIffLi7ELi128ELb0ELb0EEvPKT_PKfPKi31ggml_cuda_mm_fusion_args_devicePfi15HIP_vector_typeIjLj3EEiiiSA_iiiSA_iiii ; -- Begin function _ZL13mul_mat_vec_fIffLi7ELi128ELb0ELb0EEvPKT_PKfPKi31ggml_cuda_mm_fusion_args_devicePfi15HIP_vector_typeIjLj3EEiiiSA_iiiSA_iiii
	.p2align	8
	.type	_ZL13mul_mat_vec_fIffLi7ELi128ELb0ELb0EEvPKT_PKfPKi31ggml_cuda_mm_fusion_args_devicePfi15HIP_vector_typeIjLj3EEiiiSA_iiiSA_iiii,@function
_ZL13mul_mat_vec_fIffLi7ELi128ELb0ELb0EEvPKT_PKfPKi31ggml_cuda_mm_fusion_args_devicePfi15HIP_vector_typeIjLj3EEiiiSA_iiiSA_iiii: ; @_ZL13mul_mat_vec_fIffLi7ELi128ELb0ELb0EEvPKT_PKfPKi31ggml_cuda_mm_fusion_args_devicePfi15HIP_vector_typeIjLj3EEiiiSA_iiiSA_iiii
; %bb.0:
	s_clause 0x2
	s_load_dwordx2 s[0:1], s[4:5], 0x10
	s_load_dwordx8 s[12:19], s[4:5], 0x40
	s_load_dwordx4 s[20:23], s[4:5], 0x80
	s_waitcnt lgkmcnt(0)
	s_cmp_eq_u64 s[0:1], 0
	s_cselect_b32 s10, -1, 0
	s_cmp_lg_u64 s[0:1], 0
	s_cselect_b32 s11, -1, 0
	s_and_b32 vcc_lo, exec_lo, s10
	s_cbranch_vccnz .LBB75_2
; %bb.1:
	s_mul_i32 s2, s23, s8
	s_mov_b32 s3, 0
	s_add_i32 s2, s2, s7
	s_lshl_b64 s[24:25], s[2:3], 2
	s_add_u32 s0, s0, s24
	s_addc_u32 s1, s1, s25
	s_load_dword s9, s[0:1], 0x0
	s_cbranch_execz .LBB75_3
	s_branch .LBB75_4
.LBB75_2:
                                        ; implicit-def: $sgpr9
.LBB75_3:
	s_load_dwordx2 s[0:1], s[4:5], 0x5c
	s_waitcnt lgkmcnt(0)
	s_mul_hi_u32 s0, s0, s7
	s_add_i32 s0, s7, s0
	s_lshr_b32 s9, s0, s1
.LBB75_4:
	s_load_dwordx4 s[24:27], s[4:5], 0x68
	s_andn2_b32 vcc_lo, exec_lo, s11
	s_mov_b32 s19, s7
	s_cbranch_vccnz .LBB75_6
; %bb.5:
	s_mul_hi_u32 s0, s13, s7
	s_add_i32 s0, s7, s0
	s_lshr_b32 s0, s0, s14
	s_mul_i32 s0, s0, s15
	s_sub_i32 s19, s7, s0
.LBB75_6:
	s_load_dword s14, s[4:5], 0x78
	v_cmp_gt_u32_e32 vcc_lo, 32, v0
	v_lshl_add_u32 v5, v0, 2, 0
	s_and_saveexec_b32 s0, vcc_lo
; %bb.7:
	v_mov_b32_e32 v1, 0
	ds_write_b32 v5, v1
; %bb.8:
	s_or_b32 exec_lo, exec_lo, s0
	v_mov_b32_e32 v6, 0
	v_mov_b32_e32 v7, 0
	;; [unrolled: 1-line block ×7, first 2 shown]
	s_and_b32 s0, exec_lo, s10
	s_mov_b32 s11, 0
	s_cselect_b32 s10, s8, 0
	s_mov_b32 s13, exec_lo
	s_waitcnt lgkmcnt(0)
	s_barrier
	buffer_gl0_inv
	v_cmpx_gt_i32_e64 s12, v0
	s_cbranch_execz .LBB75_12
; %bb.9:
	s_load_dwordx4 s[0:3], s[4:5], 0x0
	s_mul_hi_u32 s15, s27, s10
	s_mul_hi_i32 s29, s21, s10
	s_mul_i32 s28, s21, s10
	s_mul_i32 s8, s9, s24
	;; [unrolled: 1-line block ×4, first 2 shown]
	s_add_i32 s15, s10, s15
	s_lshl_b64 s[28:29], s[28:29], 2
	s_ashr_i32 s9, s8, 31
	s_ashr_i32 s25, s24, 31
	;; [unrolled: 1-line block ×3, first 2 shown]
	s_lshr_b32 s14, s15, s14
	v_lshlrev_b32_e32 v1, 3, v0
	s_mul_hi_i32 s21, s14, s20
	s_mul_i32 s20, s14, s20
	s_mov_b32 s34, s17
	v_mov_b32_e32 v11, 0
	v_mov_b32_e32 v13, v0
	v_mov_b32_e32 v12, 0
	s_waitcnt lgkmcnt(0)
	s_add_u32 s15, s2, s28
	s_addc_u32 s16, s3, s29
	s_lshl_b64 s[30:31], s[30:31], 2
	v_mov_b32_e32 v10, 0
	s_add_u32 s14, s15, s30
	s_addc_u32 s15, s16, s31
	s_lshl_b64 s[8:9], s[8:9], 2
	s_ashr_i32 s35, s17, 31
	s_add_i32 s16, s17, s17
	s_lshl_b32 s19, s17, 2
	s_lshl_b64 s[20:21], s[20:21], 2
	s_lshl_b64 s[24:25], s[24:25], 2
	s_add_u32 s0, s0, s8
	s_addc_u32 s1, s1, s9
	s_add_u32 s0, s0, s24
	s_addc_u32 s1, s1, s25
	;; [unrolled: 2-line block ×3, first 2 shown]
	v_add_co_u32 v2, s0, s0, v1
	s_lshl_b64 s[8:9], s[34:35], 3
	v_add_co_ci_u32_e64 v3, null, s1, 0, s0
	s_add_u32 s0, s2, s30
	s_addc_u32 s1, s3, s31
	s_add_u32 s0, s0, s28
	s_addc_u32 s1, s1, s29
	v_add_co_u32 v4, s0, s0, v1
	v_add_co_ci_u32_e64 v6, null, s1, 0, s0
	v_add_co_u32 v1, s0, v2, 4
	v_add_co_ci_u32_e64 v2, null, 0, v3, s0
	;; [unrolled: 2-line block ×3, first 2 shown]
	v_mov_b32_e32 v9, 0
	v_mov_b32_e32 v8, 0
	;; [unrolled: 1-line block ×4, first 2 shown]
	s_mul_i32 s1, s17, 3
	s_mul_i32 s2, s17, 5
	s_mul_i32 s3, s17, 6
.LBB75_10:                              ; =>This Inner Loop Header: Depth=1
	v_add_nc_u32_e32 v20, s16, v13
	v_add_nc_u32_e32 v22, s1, v13
	;; [unrolled: 1-line block ×5, first 2 shown]
	v_ashrrev_i32_e32 v21, 31, v20
	v_ashrrev_i32_e32 v23, 31, v22
	;; [unrolled: 1-line block ×5, first 2 shown]
	v_lshlrev_b64 v[20:21], 3, v[20:21]
	v_lshlrev_b64 v[22:23], 3, v[22:23]
	v_add_co_u32 v18, s0, v3, s8
	v_lshlrev_b64 v[24:25], 3, v[24:25]
	v_add_co_ci_u32_e64 v19, null, s9, v4, s0
	v_lshlrev_b64 v[26:27], 3, v[26:27]
	v_add_co_u32 v20, s0, s14, v20
	v_lshlrev_b64 v[28:29], 3, v[28:29]
	v_add_co_ci_u32_e64 v21, null, s15, v21, s0
	v_add_co_u32 v22, s0, s14, v22
	v_add_co_ci_u32_e64 v23, null, s15, v23, s0
	v_add_co_u32 v24, s0, s14, v24
	;; [unrolled: 2-line block ×4, first 2 shown]
	v_add_co_ci_u32_e64 v29, null, s15, v29, s0
	global_load_dwordx2 v[14:15], v[1:2], off offset:-4
	s_clause 0x1
	global_load_dwordx2 v[16:17], v[3:4], off offset:-4
	global_load_dwordx2 v[18:19], v[18:19], off offset:-4
	s_clause 0x4
	global_load_dwordx2 v[20:21], v[20:21], off
	global_load_dwordx2 v[22:23], v[22:23], off
	;; [unrolled: 1-line block ×5, first 2 shown]
	v_add_nc_u32_e32 v13, 0x80, v13
	v_add_co_u32 v1, s0, 0x400, v1
	v_add_co_ci_u32_e64 v2, null, 0, v2, s0
	v_add_co_u32 v3, s0, 0x400, v3
	v_add_co_ci_u32_e64 v4, null, 0, v4, s0
	v_cmp_le_i32_e64 s0, s12, v13
	s_or_b32 s11, s0, s11
	s_waitcnt vmcnt(4)
	v_fmac_f32_e32 v10, v14, v20
	v_fmac_f32_e32 v11, v14, v16
	;; [unrolled: 1-line block ×3, first 2 shown]
	s_waitcnt vmcnt(3)
	v_fmac_f32_e32 v9, v14, v22
	s_waitcnt vmcnt(2)
	v_fmac_f32_e32 v8, v14, v24
	;; [unrolled: 2-line block ×4, first 2 shown]
	v_fmac_f32_e32 v11, v15, v17
	v_fmac_f32_e32 v12, v15, v19
	;; [unrolled: 1-line block ×7, first 2 shown]
	s_andn2_b32 exec_lo, exec_lo, s11
	s_cbranch_execnz .LBB75_10
; %bb.11:
	s_or_b32 exec_lo, exec_lo, s11
.LBB75_12:
	s_or_b32 exec_lo, exec_lo, s13
	v_mbcnt_lo_u32_b32 v2, -1, 0
	v_xor_b32_e32 v1, 16, v2
	v_xor_b32_e32 v3, 8, v2
	v_cmp_gt_i32_e64 s0, 32, v1
	v_cndmask_b32_e64 v1, v2, v1, s0
	v_cmp_gt_i32_e64 s0, 32, v3
	v_lshlrev_b32_e32 v1, 2, v1
	v_cndmask_b32_e64 v3, v2, v3, s0
	ds_bpermute_b32 v4, v1, v11
	v_lshlrev_b32_e32 v3, 2, v3
	s_waitcnt lgkmcnt(0)
	v_add_f32_e32 v11, v11, v4
	v_xor_b32_e32 v4, 4, v2
	ds_bpermute_b32 v13, v3, v11
	v_cmp_gt_i32_e64 s0, 32, v4
	v_cndmask_b32_e64 v4, v2, v4, s0
	v_lshlrev_b32_e32 v4, 2, v4
	s_waitcnt lgkmcnt(0)
	v_add_f32_e32 v13, v11, v13
	v_xor_b32_e32 v11, 2, v2
	ds_bpermute_b32 v14, v4, v13
	v_cmp_gt_i32_e64 s0, 32, v11
	v_cndmask_b32_e64 v11, v2, v11, s0
	;; [unrolled: 7-line block ×3, first 2 shown]
	v_lshlrev_b32_e32 v13, 2, v2
	s_waitcnt lgkmcnt(0)
	v_add_f32_e32 v2, v14, v15
	v_lshrrev_b32_e32 v14, 3, v0
	ds_bpermute_b32 v15, v13, v2
	v_and_b32_e32 v14, 0x7c, v14
	v_add_nc_u32_e32 v14, 0, v14
	s_waitcnt lgkmcnt(0)
	v_add_f32_e32 v2, v2, v15
	ds_write_b32 v14, v2
	s_waitcnt lgkmcnt(0)
	s_barrier
	buffer_gl0_inv
	s_and_saveexec_b32 s0, vcc_lo
	s_cbranch_execz .LBB75_14
; %bb.13:
	ds_read_b32 v2, v5
	s_waitcnt lgkmcnt(0)
	ds_bpermute_b32 v15, v1, v2
	s_waitcnt lgkmcnt(0)
	v_add_f32_e32 v2, v2, v15
	ds_bpermute_b32 v15, v3, v2
	s_waitcnt lgkmcnt(0)
	v_add_f32_e32 v2, v2, v15
	ds_bpermute_b32 v15, v4, v2
	s_waitcnt lgkmcnt(0)
	v_add_f32_e32 v2, v2, v15
	ds_bpermute_b32 v15, v11, v2
	s_waitcnt lgkmcnt(0)
	v_add_f32_e32 v2, v2, v15
	ds_bpermute_b32 v15, v13, v2
	s_waitcnt lgkmcnt(0)
	v_add_f32_e32 v2, v2, v15
.LBB75_14:
	s_or_b32 exec_lo, exec_lo, s0
	ds_bpermute_b32 v15, v1, v12
	s_waitcnt lgkmcnt(0)
	s_barrier
	buffer_gl0_inv
	v_add_f32_e32 v12, v12, v15
	ds_bpermute_b32 v15, v3, v12
	s_waitcnt lgkmcnt(0)
	v_add_f32_e32 v12, v12, v15
	ds_bpermute_b32 v15, v4, v12
	s_waitcnt lgkmcnt(0)
	v_add_f32_e32 v12, v12, v15
	ds_bpermute_b32 v15, v11, v12
	s_waitcnt lgkmcnt(0)
	v_add_f32_e32 v12, v12, v15
	ds_bpermute_b32 v15, v13, v12
	s_waitcnt lgkmcnt(0)
	v_add_f32_e32 v12, v12, v15
	ds_write_b32 v14, v12
	s_waitcnt lgkmcnt(0)
	s_barrier
	buffer_gl0_inv
	s_and_saveexec_b32 s0, vcc_lo
	s_cbranch_execz .LBB75_16
; %bb.15:
	ds_read_b32 v12, v5
	s_waitcnt lgkmcnt(0)
	ds_bpermute_b32 v15, v1, v12
	s_waitcnt lgkmcnt(0)
	v_add_f32_e32 v12, v12, v15
	ds_bpermute_b32 v15, v3, v12
	s_waitcnt lgkmcnt(0)
	v_add_f32_e32 v12, v12, v15
	ds_bpermute_b32 v15, v4, v12
	s_waitcnt lgkmcnt(0)
	v_add_f32_e32 v12, v12, v15
	ds_bpermute_b32 v15, v11, v12
	s_waitcnt lgkmcnt(0)
	v_add_f32_e32 v12, v12, v15
	ds_bpermute_b32 v15, v13, v12
	s_waitcnt lgkmcnt(0)
	v_add_f32_e32 v12, v12, v15
.LBB75_16:
	s_or_b32 exec_lo, exec_lo, s0
	ds_bpermute_b32 v15, v1, v10
	s_waitcnt lgkmcnt(0)
	s_barrier
	buffer_gl0_inv
	v_add_f32_e32 v10, v10, v15
	ds_bpermute_b32 v15, v3, v10
	s_waitcnt lgkmcnt(0)
	v_add_f32_e32 v10, v10, v15
	ds_bpermute_b32 v15, v4, v10
	s_waitcnt lgkmcnt(0)
	v_add_f32_e32 v10, v10, v15
	ds_bpermute_b32 v15, v11, v10
	s_waitcnt lgkmcnt(0)
	v_add_f32_e32 v10, v10, v15
	ds_bpermute_b32 v15, v13, v10
	;; [unrolled: 43-line block ×6, first 2 shown]
	s_waitcnt lgkmcnt(0)
	v_add_f32_e32 v6, v6, v15
	ds_write_b32 v14, v6
	s_waitcnt lgkmcnt(0)
	s_barrier
	buffer_gl0_inv
	s_and_saveexec_b32 s0, vcc_lo
	s_cbranch_execz .LBB75_26
; %bb.25:
	ds_read_b32 v5, v5
	s_waitcnt lgkmcnt(0)
	ds_bpermute_b32 v1, v1, v5
	s_waitcnt lgkmcnt(0)
	v_add_f32_e32 v1, v5, v1
	ds_bpermute_b32 v3, v3, v1
	s_waitcnt lgkmcnt(0)
	v_add_f32_e32 v1, v1, v3
	;; [unrolled: 3-line block ×5, first 2 shown]
.LBB75_26:
	s_or_b32 exec_lo, exec_lo, s0
	s_barrier
	buffer_gl0_inv
	s_mov_b32 s0, exec_lo
	v_cmpx_gt_u32_e32 7, v0
	s_cbranch_execz .LBB75_28
; %bb.27:
	v_cmp_eq_u32_e32 vcc_lo, 1, v0
	s_load_dwordx2 s[0:1], s[4:5], 0x38
	s_mul_hi_i32 s3, s22, s10
	s_mul_i32 s2, s22, s10
	s_mul_i32 s4, s26, s7
	v_cndmask_b32_e32 v1, v2, v12, vcc_lo
	v_cmp_eq_u32_e32 vcc_lo, 2, v0
	s_lshl_b64 s[2:3], s[2:3], 2
	s_ashr_i32 s5, s4, 31
	v_cndmask_b32_e32 v3, v1, v10, vcc_lo
	v_cmp_eq_u32_e32 vcc_lo, 3, v0
	v_mad_u64_u32 v[1:2], null, s18, v0, s[6:7]
	v_cndmask_b32_e32 v2, v3, v9, vcc_lo
	v_cmp_eq_u32_e32 vcc_lo, 4, v0
	s_waitcnt lgkmcnt(0)
	s_add_u32 s2, s0, s2
	s_addc_u32 s3, s1, s3
	v_cndmask_b32_e32 v3, v2, v8, vcc_lo
	v_ashrrev_i32_e32 v2, 31, v1
	v_cmp_eq_u32_e32 vcc_lo, 5, v0
	s_lshl_b64 s[0:1], s[4:5], 2
	s_add_u32 s0, s2, s0
	v_lshlrev_b64 v[1:2], 2, v[1:2]
	v_cndmask_b32_e32 v3, v3, v7, vcc_lo
	v_cmp_eq_u32_e32 vcc_lo, 6, v0
	s_addc_u32 s1, s3, s1
	v_cndmask_b32_e32 v3, v3, v6, vcc_lo
	v_add_co_u32 v0, vcc_lo, s0, v1
	v_add_co_ci_u32_e64 v1, null, s1, v2, vcc_lo
	global_store_dword v[0:1], v3, off
.LBB75_28:
	s_endpgm
	.section	.rodata,"a",@progbits
	.p2align	6, 0x0
	.amdhsa_kernel _ZL13mul_mat_vec_fIffLi7ELi128ELb0ELb0EEvPKT_PKfPKi31ggml_cuda_mm_fusion_args_devicePfi15HIP_vector_typeIjLj3EEiiiSA_iiiSA_iiii
		.amdhsa_group_segment_fixed_size 0
		.amdhsa_private_segment_fixed_size 0
		.amdhsa_kernarg_size 144
		.amdhsa_user_sgpr_count 6
		.amdhsa_user_sgpr_private_segment_buffer 1
		.amdhsa_user_sgpr_dispatch_ptr 0
		.amdhsa_user_sgpr_queue_ptr 0
		.amdhsa_user_sgpr_kernarg_segment_ptr 1
		.amdhsa_user_sgpr_dispatch_id 0
		.amdhsa_user_sgpr_flat_scratch_init 0
		.amdhsa_user_sgpr_private_segment_size 0
		.amdhsa_wavefront_size32 1
		.amdhsa_uses_dynamic_stack 0
		.amdhsa_system_sgpr_private_segment_wavefront_offset 0
		.amdhsa_system_sgpr_workgroup_id_x 1
		.amdhsa_system_sgpr_workgroup_id_y 1
		.amdhsa_system_sgpr_workgroup_id_z 1
		.amdhsa_system_sgpr_workgroup_info 0
		.amdhsa_system_vgpr_workitem_id 0
		.amdhsa_next_free_vgpr 30
		.amdhsa_next_free_sgpr 36
		.amdhsa_reserve_vcc 1
		.amdhsa_reserve_flat_scratch 0
		.amdhsa_float_round_mode_32 0
		.amdhsa_float_round_mode_16_64 0
		.amdhsa_float_denorm_mode_32 3
		.amdhsa_float_denorm_mode_16_64 3
		.amdhsa_dx10_clamp 1
		.amdhsa_ieee_mode 1
		.amdhsa_fp16_overflow 0
		.amdhsa_workgroup_processor_mode 1
		.amdhsa_memory_ordered 1
		.amdhsa_forward_progress 1
		.amdhsa_shared_vgpr_count 0
		.amdhsa_exception_fp_ieee_invalid_op 0
		.amdhsa_exception_fp_denorm_src 0
		.amdhsa_exception_fp_ieee_div_zero 0
		.amdhsa_exception_fp_ieee_overflow 0
		.amdhsa_exception_fp_ieee_underflow 0
		.amdhsa_exception_fp_ieee_inexact 0
		.amdhsa_exception_int_div_zero 0
	.end_amdhsa_kernel
	.section	.text._ZL13mul_mat_vec_fIffLi7ELi128ELb0ELb0EEvPKT_PKfPKi31ggml_cuda_mm_fusion_args_devicePfi15HIP_vector_typeIjLj3EEiiiSA_iiiSA_iiii,"axG",@progbits,_ZL13mul_mat_vec_fIffLi7ELi128ELb0ELb0EEvPKT_PKfPKi31ggml_cuda_mm_fusion_args_devicePfi15HIP_vector_typeIjLj3EEiiiSA_iiiSA_iiii,comdat
.Lfunc_end75:
	.size	_ZL13mul_mat_vec_fIffLi7ELi128ELb0ELb0EEvPKT_PKfPKi31ggml_cuda_mm_fusion_args_devicePfi15HIP_vector_typeIjLj3EEiiiSA_iiiSA_iiii, .Lfunc_end75-_ZL13mul_mat_vec_fIffLi7ELi128ELb0ELb0EEvPKT_PKfPKi31ggml_cuda_mm_fusion_args_devicePfi15HIP_vector_typeIjLj3EEiiiSA_iiiSA_iiii
                                        ; -- End function
	.set _ZL13mul_mat_vec_fIffLi7ELi128ELb0ELb0EEvPKT_PKfPKi31ggml_cuda_mm_fusion_args_devicePfi15HIP_vector_typeIjLj3EEiiiSA_iiiSA_iiii.num_vgpr, 30
	.set _ZL13mul_mat_vec_fIffLi7ELi128ELb0ELb0EEvPKT_PKfPKi31ggml_cuda_mm_fusion_args_devicePfi15HIP_vector_typeIjLj3EEiiiSA_iiiSA_iiii.num_agpr, 0
	.set _ZL13mul_mat_vec_fIffLi7ELi128ELb0ELb0EEvPKT_PKfPKi31ggml_cuda_mm_fusion_args_devicePfi15HIP_vector_typeIjLj3EEiiiSA_iiiSA_iiii.numbered_sgpr, 36
	.set _ZL13mul_mat_vec_fIffLi7ELi128ELb0ELb0EEvPKT_PKfPKi31ggml_cuda_mm_fusion_args_devicePfi15HIP_vector_typeIjLj3EEiiiSA_iiiSA_iiii.num_named_barrier, 0
	.set _ZL13mul_mat_vec_fIffLi7ELi128ELb0ELb0EEvPKT_PKfPKi31ggml_cuda_mm_fusion_args_devicePfi15HIP_vector_typeIjLj3EEiiiSA_iiiSA_iiii.private_seg_size, 0
	.set _ZL13mul_mat_vec_fIffLi7ELi128ELb0ELb0EEvPKT_PKfPKi31ggml_cuda_mm_fusion_args_devicePfi15HIP_vector_typeIjLj3EEiiiSA_iiiSA_iiii.uses_vcc, 1
	.set _ZL13mul_mat_vec_fIffLi7ELi128ELb0ELb0EEvPKT_PKfPKi31ggml_cuda_mm_fusion_args_devicePfi15HIP_vector_typeIjLj3EEiiiSA_iiiSA_iiii.uses_flat_scratch, 0
	.set _ZL13mul_mat_vec_fIffLi7ELi128ELb0ELb0EEvPKT_PKfPKi31ggml_cuda_mm_fusion_args_devicePfi15HIP_vector_typeIjLj3EEiiiSA_iiiSA_iiii.has_dyn_sized_stack, 0
	.set _ZL13mul_mat_vec_fIffLi7ELi128ELb0ELb0EEvPKT_PKfPKi31ggml_cuda_mm_fusion_args_devicePfi15HIP_vector_typeIjLj3EEiiiSA_iiiSA_iiii.has_recursion, 0
	.set _ZL13mul_mat_vec_fIffLi7ELi128ELb0ELb0EEvPKT_PKfPKi31ggml_cuda_mm_fusion_args_devicePfi15HIP_vector_typeIjLj3EEiiiSA_iiiSA_iiii.has_indirect_call, 0
	.section	.AMDGPU.csdata,"",@progbits
; Kernel info:
; codeLenInByte = 2788
; TotalNumSgprs: 38
; NumVgprs: 30
; ScratchSize: 0
; MemoryBound: 0
; FloatMode: 240
; IeeeMode: 1
; LDSByteSize: 0 bytes/workgroup (compile time only)
; SGPRBlocks: 0
; VGPRBlocks: 3
; NumSGPRsForWavesPerEU: 38
; NumVGPRsForWavesPerEU: 30
; Occupancy: 16
; WaveLimiterHint : 0
; COMPUTE_PGM_RSRC2:SCRATCH_EN: 0
; COMPUTE_PGM_RSRC2:USER_SGPR: 6
; COMPUTE_PGM_RSRC2:TRAP_HANDLER: 0
; COMPUTE_PGM_RSRC2:TGID_X_EN: 1
; COMPUTE_PGM_RSRC2:TGID_Y_EN: 1
; COMPUTE_PGM_RSRC2:TGID_Z_EN: 1
; COMPUTE_PGM_RSRC2:TIDIG_COMP_CNT: 0
	.section	.text._ZL13mul_mat_vec_fIffLi7ELi160ELb0ELb0EEvPKT_PKfPKi31ggml_cuda_mm_fusion_args_devicePfi15HIP_vector_typeIjLj3EEiiiSA_iiiSA_iiii,"axG",@progbits,_ZL13mul_mat_vec_fIffLi7ELi160ELb0ELb0EEvPKT_PKfPKi31ggml_cuda_mm_fusion_args_devicePfi15HIP_vector_typeIjLj3EEiiiSA_iiiSA_iiii,comdat
	.globl	_ZL13mul_mat_vec_fIffLi7ELi160ELb0ELb0EEvPKT_PKfPKi31ggml_cuda_mm_fusion_args_devicePfi15HIP_vector_typeIjLj3EEiiiSA_iiiSA_iiii ; -- Begin function _ZL13mul_mat_vec_fIffLi7ELi160ELb0ELb0EEvPKT_PKfPKi31ggml_cuda_mm_fusion_args_devicePfi15HIP_vector_typeIjLj3EEiiiSA_iiiSA_iiii
	.p2align	8
	.type	_ZL13mul_mat_vec_fIffLi7ELi160ELb0ELb0EEvPKT_PKfPKi31ggml_cuda_mm_fusion_args_devicePfi15HIP_vector_typeIjLj3EEiiiSA_iiiSA_iiii,@function
_ZL13mul_mat_vec_fIffLi7ELi160ELb0ELb0EEvPKT_PKfPKi31ggml_cuda_mm_fusion_args_devicePfi15HIP_vector_typeIjLj3EEiiiSA_iiiSA_iiii: ; @_ZL13mul_mat_vec_fIffLi7ELi160ELb0ELb0EEvPKT_PKfPKi31ggml_cuda_mm_fusion_args_devicePfi15HIP_vector_typeIjLj3EEiiiSA_iiiSA_iiii
; %bb.0:
	s_clause 0x2
	s_load_dwordx2 s[0:1], s[4:5], 0x10
	s_load_dwordx8 s[12:19], s[4:5], 0x40
	s_load_dwordx4 s[20:23], s[4:5], 0x80
	s_waitcnt lgkmcnt(0)
	s_cmp_eq_u64 s[0:1], 0
	s_cselect_b32 s10, -1, 0
	s_cmp_lg_u64 s[0:1], 0
	s_cselect_b32 s11, -1, 0
	s_and_b32 vcc_lo, exec_lo, s10
	s_cbranch_vccnz .LBB76_2
; %bb.1:
	s_mul_i32 s2, s23, s8
	s_mov_b32 s3, 0
	s_add_i32 s2, s2, s7
	s_lshl_b64 s[24:25], s[2:3], 2
	s_add_u32 s0, s0, s24
	s_addc_u32 s1, s1, s25
	s_load_dword s9, s[0:1], 0x0
	s_cbranch_execz .LBB76_3
	s_branch .LBB76_4
.LBB76_2:
                                        ; implicit-def: $sgpr9
.LBB76_3:
	s_load_dwordx2 s[0:1], s[4:5], 0x5c
	s_waitcnt lgkmcnt(0)
	s_mul_hi_u32 s0, s0, s7
	s_add_i32 s0, s7, s0
	s_lshr_b32 s9, s0, s1
.LBB76_4:
	s_load_dwordx4 s[24:27], s[4:5], 0x68
	s_andn2_b32 vcc_lo, exec_lo, s11
	s_mov_b32 s19, s7
	s_cbranch_vccnz .LBB76_6
; %bb.5:
	s_mul_hi_u32 s0, s13, s7
	s_add_i32 s0, s7, s0
	s_lshr_b32 s0, s0, s14
	s_mul_i32 s0, s0, s15
	s_sub_i32 s19, s7, s0
.LBB76_6:
	s_load_dword s14, s[4:5], 0x78
	v_cmp_gt_u32_e32 vcc_lo, 32, v0
	v_lshl_add_u32 v5, v0, 2, 0
	s_and_saveexec_b32 s0, vcc_lo
; %bb.7:
	v_mov_b32_e32 v1, 0
	ds_write_b32 v5, v1
; %bb.8:
	s_or_b32 exec_lo, exec_lo, s0
	v_mov_b32_e32 v6, 0
	v_mov_b32_e32 v7, 0
	;; [unrolled: 1-line block ×7, first 2 shown]
	s_and_b32 s0, exec_lo, s10
	s_mov_b32 s11, 0
	s_cselect_b32 s10, s8, 0
	s_mov_b32 s13, exec_lo
	s_waitcnt lgkmcnt(0)
	s_barrier
	buffer_gl0_inv
	v_cmpx_gt_i32_e64 s12, v0
	s_cbranch_execz .LBB76_12
; %bb.9:
	s_load_dwordx4 s[0:3], s[4:5], 0x0
	s_mul_hi_u32 s15, s27, s10
	s_mul_hi_i32 s29, s21, s10
	s_mul_i32 s28, s21, s10
	s_mul_i32 s8, s9, s24
	;; [unrolled: 1-line block ×4, first 2 shown]
	s_add_i32 s15, s10, s15
	s_lshl_b64 s[28:29], s[28:29], 2
	s_ashr_i32 s9, s8, 31
	s_ashr_i32 s25, s24, 31
	;; [unrolled: 1-line block ×3, first 2 shown]
	s_lshr_b32 s14, s15, s14
	v_lshlrev_b32_e32 v1, 3, v0
	s_mul_hi_i32 s21, s14, s20
	s_mul_i32 s20, s14, s20
	s_mov_b32 s34, s17
	v_mov_b32_e32 v11, 0
	v_mov_b32_e32 v13, v0
	v_mov_b32_e32 v12, 0
	s_waitcnt lgkmcnt(0)
	s_add_u32 s15, s2, s28
	s_addc_u32 s16, s3, s29
	s_lshl_b64 s[30:31], s[30:31], 2
	v_mov_b32_e32 v10, 0
	s_add_u32 s14, s15, s30
	s_addc_u32 s15, s16, s31
	s_lshl_b64 s[8:9], s[8:9], 2
	s_ashr_i32 s35, s17, 31
	s_add_i32 s16, s17, s17
	s_lshl_b32 s19, s17, 2
	s_lshl_b64 s[20:21], s[20:21], 2
	s_lshl_b64 s[24:25], s[24:25], 2
	s_add_u32 s0, s0, s8
	s_addc_u32 s1, s1, s9
	s_add_u32 s0, s0, s24
	s_addc_u32 s1, s1, s25
	;; [unrolled: 2-line block ×3, first 2 shown]
	v_add_co_u32 v2, s0, s0, v1
	s_lshl_b64 s[8:9], s[34:35], 3
	v_add_co_ci_u32_e64 v3, null, s1, 0, s0
	s_add_u32 s0, s2, s30
	s_addc_u32 s1, s3, s31
	s_add_u32 s0, s0, s28
	s_addc_u32 s1, s1, s29
	v_add_co_u32 v4, s0, s0, v1
	v_add_co_ci_u32_e64 v6, null, s1, 0, s0
	v_add_co_u32 v1, s0, v2, 4
	v_add_co_ci_u32_e64 v2, null, 0, v3, s0
	;; [unrolled: 2-line block ×3, first 2 shown]
	v_mov_b32_e32 v9, 0
	v_mov_b32_e32 v8, 0
	;; [unrolled: 1-line block ×4, first 2 shown]
	s_mul_i32 s1, s17, 3
	s_mul_i32 s2, s17, 5
	;; [unrolled: 1-line block ×3, first 2 shown]
.LBB76_10:                              ; =>This Inner Loop Header: Depth=1
	v_add_nc_u32_e32 v20, s16, v13
	v_add_nc_u32_e32 v22, s1, v13
	;; [unrolled: 1-line block ×5, first 2 shown]
	v_ashrrev_i32_e32 v21, 31, v20
	v_ashrrev_i32_e32 v23, 31, v22
	v_ashrrev_i32_e32 v25, 31, v24
	v_ashrrev_i32_e32 v27, 31, v26
	v_ashrrev_i32_e32 v29, 31, v28
	v_lshlrev_b64 v[20:21], 3, v[20:21]
	v_lshlrev_b64 v[22:23], 3, v[22:23]
	v_add_co_u32 v18, s0, v3, s8
	v_lshlrev_b64 v[24:25], 3, v[24:25]
	v_add_co_ci_u32_e64 v19, null, s9, v4, s0
	v_lshlrev_b64 v[26:27], 3, v[26:27]
	v_add_co_u32 v20, s0, s14, v20
	v_lshlrev_b64 v[28:29], 3, v[28:29]
	v_add_co_ci_u32_e64 v21, null, s15, v21, s0
	v_add_co_u32 v22, s0, s14, v22
	v_add_co_ci_u32_e64 v23, null, s15, v23, s0
	v_add_co_u32 v24, s0, s14, v24
	;; [unrolled: 2-line block ×4, first 2 shown]
	v_add_co_ci_u32_e64 v29, null, s15, v29, s0
	global_load_dwordx2 v[14:15], v[1:2], off offset:-4
	s_clause 0x1
	global_load_dwordx2 v[16:17], v[3:4], off offset:-4
	global_load_dwordx2 v[18:19], v[18:19], off offset:-4
	s_clause 0x4
	global_load_dwordx2 v[20:21], v[20:21], off
	global_load_dwordx2 v[22:23], v[22:23], off
	global_load_dwordx2 v[24:25], v[24:25], off
	global_load_dwordx2 v[26:27], v[26:27], off
	global_load_dwordx2 v[28:29], v[28:29], off
	v_add_nc_u32_e32 v13, 0xa0, v13
	v_add_co_u32 v1, s0, 0x500, v1
	v_add_co_ci_u32_e64 v2, null, 0, v2, s0
	v_add_co_u32 v3, s0, 0x500, v3
	v_add_co_ci_u32_e64 v4, null, 0, v4, s0
	v_cmp_le_i32_e64 s0, s12, v13
	s_or_b32 s11, s0, s11
	s_waitcnt vmcnt(4)
	v_fmac_f32_e32 v10, v14, v20
	v_fmac_f32_e32 v11, v14, v16
	;; [unrolled: 1-line block ×3, first 2 shown]
	s_waitcnt vmcnt(3)
	v_fmac_f32_e32 v9, v14, v22
	s_waitcnt vmcnt(2)
	v_fmac_f32_e32 v8, v14, v24
	;; [unrolled: 2-line block ×4, first 2 shown]
	v_fmac_f32_e32 v11, v15, v17
	v_fmac_f32_e32 v12, v15, v19
	;; [unrolled: 1-line block ×7, first 2 shown]
	s_andn2_b32 exec_lo, exec_lo, s11
	s_cbranch_execnz .LBB76_10
; %bb.11:
	s_or_b32 exec_lo, exec_lo, s11
.LBB76_12:
	s_or_b32 exec_lo, exec_lo, s13
	v_mbcnt_lo_u32_b32 v2, -1, 0
	v_xor_b32_e32 v1, 16, v2
	v_xor_b32_e32 v3, 8, v2
	v_cmp_gt_i32_e64 s0, 32, v1
	v_cndmask_b32_e64 v1, v2, v1, s0
	v_cmp_gt_i32_e64 s0, 32, v3
	v_lshlrev_b32_e32 v1, 2, v1
	v_cndmask_b32_e64 v3, v2, v3, s0
	ds_bpermute_b32 v4, v1, v11
	v_lshlrev_b32_e32 v3, 2, v3
	s_waitcnt lgkmcnt(0)
	v_add_f32_e32 v11, v11, v4
	v_xor_b32_e32 v4, 4, v2
	ds_bpermute_b32 v13, v3, v11
	v_cmp_gt_i32_e64 s0, 32, v4
	v_cndmask_b32_e64 v4, v2, v4, s0
	v_lshlrev_b32_e32 v4, 2, v4
	s_waitcnt lgkmcnt(0)
	v_add_f32_e32 v13, v11, v13
	v_xor_b32_e32 v11, 2, v2
	ds_bpermute_b32 v14, v4, v13
	v_cmp_gt_i32_e64 s0, 32, v11
	v_cndmask_b32_e64 v11, v2, v11, s0
	;; [unrolled: 7-line block ×3, first 2 shown]
	v_lshlrev_b32_e32 v13, 2, v2
	s_waitcnt lgkmcnt(0)
	v_add_f32_e32 v2, v14, v15
	v_lshrrev_b32_e32 v14, 3, v0
	ds_bpermute_b32 v15, v13, v2
	v_and_b32_e32 v14, 0x7c, v14
	v_add_nc_u32_e32 v14, 0, v14
	s_waitcnt lgkmcnt(0)
	v_add_f32_e32 v2, v2, v15
	ds_write_b32 v14, v2
	s_waitcnt lgkmcnt(0)
	s_barrier
	buffer_gl0_inv
	s_and_saveexec_b32 s0, vcc_lo
	s_cbranch_execz .LBB76_14
; %bb.13:
	ds_read_b32 v2, v5
	s_waitcnt lgkmcnt(0)
	ds_bpermute_b32 v15, v1, v2
	s_waitcnt lgkmcnt(0)
	v_add_f32_e32 v2, v2, v15
	ds_bpermute_b32 v15, v3, v2
	s_waitcnt lgkmcnt(0)
	v_add_f32_e32 v2, v2, v15
	ds_bpermute_b32 v15, v4, v2
	s_waitcnt lgkmcnt(0)
	v_add_f32_e32 v2, v2, v15
	ds_bpermute_b32 v15, v11, v2
	s_waitcnt lgkmcnt(0)
	v_add_f32_e32 v2, v2, v15
	ds_bpermute_b32 v15, v13, v2
	s_waitcnt lgkmcnt(0)
	v_add_f32_e32 v2, v2, v15
.LBB76_14:
	s_or_b32 exec_lo, exec_lo, s0
	ds_bpermute_b32 v15, v1, v12
	s_waitcnt lgkmcnt(0)
	s_barrier
	buffer_gl0_inv
	v_add_f32_e32 v12, v12, v15
	ds_bpermute_b32 v15, v3, v12
	s_waitcnt lgkmcnt(0)
	v_add_f32_e32 v12, v12, v15
	ds_bpermute_b32 v15, v4, v12
	s_waitcnt lgkmcnt(0)
	v_add_f32_e32 v12, v12, v15
	ds_bpermute_b32 v15, v11, v12
	s_waitcnt lgkmcnt(0)
	v_add_f32_e32 v12, v12, v15
	ds_bpermute_b32 v15, v13, v12
	s_waitcnt lgkmcnt(0)
	v_add_f32_e32 v12, v12, v15
	ds_write_b32 v14, v12
	s_waitcnt lgkmcnt(0)
	s_barrier
	buffer_gl0_inv
	s_and_saveexec_b32 s0, vcc_lo
	s_cbranch_execz .LBB76_16
; %bb.15:
	ds_read_b32 v12, v5
	s_waitcnt lgkmcnt(0)
	ds_bpermute_b32 v15, v1, v12
	s_waitcnt lgkmcnt(0)
	v_add_f32_e32 v12, v12, v15
	ds_bpermute_b32 v15, v3, v12
	s_waitcnt lgkmcnt(0)
	v_add_f32_e32 v12, v12, v15
	ds_bpermute_b32 v15, v4, v12
	s_waitcnt lgkmcnt(0)
	v_add_f32_e32 v12, v12, v15
	ds_bpermute_b32 v15, v11, v12
	s_waitcnt lgkmcnt(0)
	v_add_f32_e32 v12, v12, v15
	ds_bpermute_b32 v15, v13, v12
	s_waitcnt lgkmcnt(0)
	v_add_f32_e32 v12, v12, v15
.LBB76_16:
	s_or_b32 exec_lo, exec_lo, s0
	ds_bpermute_b32 v15, v1, v10
	s_waitcnt lgkmcnt(0)
	s_barrier
	buffer_gl0_inv
	v_add_f32_e32 v10, v10, v15
	ds_bpermute_b32 v15, v3, v10
	s_waitcnt lgkmcnt(0)
	v_add_f32_e32 v10, v10, v15
	ds_bpermute_b32 v15, v4, v10
	s_waitcnt lgkmcnt(0)
	v_add_f32_e32 v10, v10, v15
	ds_bpermute_b32 v15, v11, v10
	s_waitcnt lgkmcnt(0)
	v_add_f32_e32 v10, v10, v15
	ds_bpermute_b32 v15, v13, v10
	;; [unrolled: 43-line block ×6, first 2 shown]
	s_waitcnt lgkmcnt(0)
	v_add_f32_e32 v6, v6, v15
	ds_write_b32 v14, v6
	s_waitcnt lgkmcnt(0)
	s_barrier
	buffer_gl0_inv
	s_and_saveexec_b32 s0, vcc_lo
	s_cbranch_execz .LBB76_26
; %bb.25:
	ds_read_b32 v5, v5
	s_waitcnt lgkmcnt(0)
	ds_bpermute_b32 v1, v1, v5
	s_waitcnt lgkmcnt(0)
	v_add_f32_e32 v1, v5, v1
	ds_bpermute_b32 v3, v3, v1
	s_waitcnt lgkmcnt(0)
	v_add_f32_e32 v1, v1, v3
	;; [unrolled: 3-line block ×5, first 2 shown]
.LBB76_26:
	s_or_b32 exec_lo, exec_lo, s0
	s_barrier
	buffer_gl0_inv
	s_mov_b32 s0, exec_lo
	v_cmpx_gt_u32_e32 7, v0
	s_cbranch_execz .LBB76_28
; %bb.27:
	v_cmp_eq_u32_e32 vcc_lo, 1, v0
	s_load_dwordx2 s[0:1], s[4:5], 0x38
	s_mul_hi_i32 s3, s22, s10
	s_mul_i32 s2, s22, s10
	s_mul_i32 s4, s26, s7
	v_cndmask_b32_e32 v1, v2, v12, vcc_lo
	v_cmp_eq_u32_e32 vcc_lo, 2, v0
	s_lshl_b64 s[2:3], s[2:3], 2
	s_ashr_i32 s5, s4, 31
	v_cndmask_b32_e32 v3, v1, v10, vcc_lo
	v_cmp_eq_u32_e32 vcc_lo, 3, v0
	v_mad_u64_u32 v[1:2], null, s18, v0, s[6:7]
	v_cndmask_b32_e32 v2, v3, v9, vcc_lo
	v_cmp_eq_u32_e32 vcc_lo, 4, v0
	s_waitcnt lgkmcnt(0)
	s_add_u32 s2, s0, s2
	s_addc_u32 s3, s1, s3
	v_cndmask_b32_e32 v3, v2, v8, vcc_lo
	v_ashrrev_i32_e32 v2, 31, v1
	v_cmp_eq_u32_e32 vcc_lo, 5, v0
	s_lshl_b64 s[0:1], s[4:5], 2
	s_add_u32 s0, s2, s0
	v_lshlrev_b64 v[1:2], 2, v[1:2]
	v_cndmask_b32_e32 v3, v3, v7, vcc_lo
	v_cmp_eq_u32_e32 vcc_lo, 6, v0
	s_addc_u32 s1, s3, s1
	v_cndmask_b32_e32 v3, v3, v6, vcc_lo
	v_add_co_u32 v0, vcc_lo, s0, v1
	v_add_co_ci_u32_e64 v1, null, s1, v2, vcc_lo
	global_store_dword v[0:1], v3, off
.LBB76_28:
	s_endpgm
	.section	.rodata,"a",@progbits
	.p2align	6, 0x0
	.amdhsa_kernel _ZL13mul_mat_vec_fIffLi7ELi160ELb0ELb0EEvPKT_PKfPKi31ggml_cuda_mm_fusion_args_devicePfi15HIP_vector_typeIjLj3EEiiiSA_iiiSA_iiii
		.amdhsa_group_segment_fixed_size 0
		.amdhsa_private_segment_fixed_size 0
		.amdhsa_kernarg_size 144
		.amdhsa_user_sgpr_count 6
		.amdhsa_user_sgpr_private_segment_buffer 1
		.amdhsa_user_sgpr_dispatch_ptr 0
		.amdhsa_user_sgpr_queue_ptr 0
		.amdhsa_user_sgpr_kernarg_segment_ptr 1
		.amdhsa_user_sgpr_dispatch_id 0
		.amdhsa_user_sgpr_flat_scratch_init 0
		.amdhsa_user_sgpr_private_segment_size 0
		.amdhsa_wavefront_size32 1
		.amdhsa_uses_dynamic_stack 0
		.amdhsa_system_sgpr_private_segment_wavefront_offset 0
		.amdhsa_system_sgpr_workgroup_id_x 1
		.amdhsa_system_sgpr_workgroup_id_y 1
		.amdhsa_system_sgpr_workgroup_id_z 1
		.amdhsa_system_sgpr_workgroup_info 0
		.amdhsa_system_vgpr_workitem_id 0
		.amdhsa_next_free_vgpr 30
		.amdhsa_next_free_sgpr 36
		.amdhsa_reserve_vcc 1
		.amdhsa_reserve_flat_scratch 0
		.amdhsa_float_round_mode_32 0
		.amdhsa_float_round_mode_16_64 0
		.amdhsa_float_denorm_mode_32 3
		.amdhsa_float_denorm_mode_16_64 3
		.amdhsa_dx10_clamp 1
		.amdhsa_ieee_mode 1
		.amdhsa_fp16_overflow 0
		.amdhsa_workgroup_processor_mode 1
		.amdhsa_memory_ordered 1
		.amdhsa_forward_progress 1
		.amdhsa_shared_vgpr_count 0
		.amdhsa_exception_fp_ieee_invalid_op 0
		.amdhsa_exception_fp_denorm_src 0
		.amdhsa_exception_fp_ieee_div_zero 0
		.amdhsa_exception_fp_ieee_overflow 0
		.amdhsa_exception_fp_ieee_underflow 0
		.amdhsa_exception_fp_ieee_inexact 0
		.amdhsa_exception_int_div_zero 0
	.end_amdhsa_kernel
	.section	.text._ZL13mul_mat_vec_fIffLi7ELi160ELb0ELb0EEvPKT_PKfPKi31ggml_cuda_mm_fusion_args_devicePfi15HIP_vector_typeIjLj3EEiiiSA_iiiSA_iiii,"axG",@progbits,_ZL13mul_mat_vec_fIffLi7ELi160ELb0ELb0EEvPKT_PKfPKi31ggml_cuda_mm_fusion_args_devicePfi15HIP_vector_typeIjLj3EEiiiSA_iiiSA_iiii,comdat
.Lfunc_end76:
	.size	_ZL13mul_mat_vec_fIffLi7ELi160ELb0ELb0EEvPKT_PKfPKi31ggml_cuda_mm_fusion_args_devicePfi15HIP_vector_typeIjLj3EEiiiSA_iiiSA_iiii, .Lfunc_end76-_ZL13mul_mat_vec_fIffLi7ELi160ELb0ELb0EEvPKT_PKfPKi31ggml_cuda_mm_fusion_args_devicePfi15HIP_vector_typeIjLj3EEiiiSA_iiiSA_iiii
                                        ; -- End function
	.set _ZL13mul_mat_vec_fIffLi7ELi160ELb0ELb0EEvPKT_PKfPKi31ggml_cuda_mm_fusion_args_devicePfi15HIP_vector_typeIjLj3EEiiiSA_iiiSA_iiii.num_vgpr, 30
	.set _ZL13mul_mat_vec_fIffLi7ELi160ELb0ELb0EEvPKT_PKfPKi31ggml_cuda_mm_fusion_args_devicePfi15HIP_vector_typeIjLj3EEiiiSA_iiiSA_iiii.num_agpr, 0
	.set _ZL13mul_mat_vec_fIffLi7ELi160ELb0ELb0EEvPKT_PKfPKi31ggml_cuda_mm_fusion_args_devicePfi15HIP_vector_typeIjLj3EEiiiSA_iiiSA_iiii.numbered_sgpr, 36
	.set _ZL13mul_mat_vec_fIffLi7ELi160ELb0ELb0EEvPKT_PKfPKi31ggml_cuda_mm_fusion_args_devicePfi15HIP_vector_typeIjLj3EEiiiSA_iiiSA_iiii.num_named_barrier, 0
	.set _ZL13mul_mat_vec_fIffLi7ELi160ELb0ELb0EEvPKT_PKfPKi31ggml_cuda_mm_fusion_args_devicePfi15HIP_vector_typeIjLj3EEiiiSA_iiiSA_iiii.private_seg_size, 0
	.set _ZL13mul_mat_vec_fIffLi7ELi160ELb0ELb0EEvPKT_PKfPKi31ggml_cuda_mm_fusion_args_devicePfi15HIP_vector_typeIjLj3EEiiiSA_iiiSA_iiii.uses_vcc, 1
	.set _ZL13mul_mat_vec_fIffLi7ELi160ELb0ELb0EEvPKT_PKfPKi31ggml_cuda_mm_fusion_args_devicePfi15HIP_vector_typeIjLj3EEiiiSA_iiiSA_iiii.uses_flat_scratch, 0
	.set _ZL13mul_mat_vec_fIffLi7ELi160ELb0ELb0EEvPKT_PKfPKi31ggml_cuda_mm_fusion_args_devicePfi15HIP_vector_typeIjLj3EEiiiSA_iiiSA_iiii.has_dyn_sized_stack, 0
	.set _ZL13mul_mat_vec_fIffLi7ELi160ELb0ELb0EEvPKT_PKfPKi31ggml_cuda_mm_fusion_args_devicePfi15HIP_vector_typeIjLj3EEiiiSA_iiiSA_iiii.has_recursion, 0
	.set _ZL13mul_mat_vec_fIffLi7ELi160ELb0ELb0EEvPKT_PKfPKi31ggml_cuda_mm_fusion_args_devicePfi15HIP_vector_typeIjLj3EEiiiSA_iiiSA_iiii.has_indirect_call, 0
	.section	.AMDGPU.csdata,"",@progbits
; Kernel info:
; codeLenInByte = 2788
; TotalNumSgprs: 38
; NumVgprs: 30
; ScratchSize: 0
; MemoryBound: 0
; FloatMode: 240
; IeeeMode: 1
; LDSByteSize: 0 bytes/workgroup (compile time only)
; SGPRBlocks: 0
; VGPRBlocks: 3
; NumSGPRsForWavesPerEU: 38
; NumVGPRsForWavesPerEU: 30
; Occupancy: 16
; WaveLimiterHint : 0
; COMPUTE_PGM_RSRC2:SCRATCH_EN: 0
; COMPUTE_PGM_RSRC2:USER_SGPR: 6
; COMPUTE_PGM_RSRC2:TRAP_HANDLER: 0
; COMPUTE_PGM_RSRC2:TGID_X_EN: 1
; COMPUTE_PGM_RSRC2:TGID_Y_EN: 1
; COMPUTE_PGM_RSRC2:TGID_Z_EN: 1
; COMPUTE_PGM_RSRC2:TIDIG_COMP_CNT: 0
	.section	.text._ZL13mul_mat_vec_fIffLi7ELi192ELb0ELb0EEvPKT_PKfPKi31ggml_cuda_mm_fusion_args_devicePfi15HIP_vector_typeIjLj3EEiiiSA_iiiSA_iiii,"axG",@progbits,_ZL13mul_mat_vec_fIffLi7ELi192ELb0ELb0EEvPKT_PKfPKi31ggml_cuda_mm_fusion_args_devicePfi15HIP_vector_typeIjLj3EEiiiSA_iiiSA_iiii,comdat
	.globl	_ZL13mul_mat_vec_fIffLi7ELi192ELb0ELb0EEvPKT_PKfPKi31ggml_cuda_mm_fusion_args_devicePfi15HIP_vector_typeIjLj3EEiiiSA_iiiSA_iiii ; -- Begin function _ZL13mul_mat_vec_fIffLi7ELi192ELb0ELb0EEvPKT_PKfPKi31ggml_cuda_mm_fusion_args_devicePfi15HIP_vector_typeIjLj3EEiiiSA_iiiSA_iiii
	.p2align	8
	.type	_ZL13mul_mat_vec_fIffLi7ELi192ELb0ELb0EEvPKT_PKfPKi31ggml_cuda_mm_fusion_args_devicePfi15HIP_vector_typeIjLj3EEiiiSA_iiiSA_iiii,@function
_ZL13mul_mat_vec_fIffLi7ELi192ELb0ELb0EEvPKT_PKfPKi31ggml_cuda_mm_fusion_args_devicePfi15HIP_vector_typeIjLj3EEiiiSA_iiiSA_iiii: ; @_ZL13mul_mat_vec_fIffLi7ELi192ELb0ELb0EEvPKT_PKfPKi31ggml_cuda_mm_fusion_args_devicePfi15HIP_vector_typeIjLj3EEiiiSA_iiiSA_iiii
; %bb.0:
	s_clause 0x2
	s_load_dwordx2 s[0:1], s[4:5], 0x10
	s_load_dwordx8 s[12:19], s[4:5], 0x40
	s_load_dwordx4 s[20:23], s[4:5], 0x80
	s_waitcnt lgkmcnt(0)
	s_cmp_eq_u64 s[0:1], 0
	s_cselect_b32 s10, -1, 0
	s_cmp_lg_u64 s[0:1], 0
	s_cselect_b32 s11, -1, 0
	s_and_b32 vcc_lo, exec_lo, s10
	s_cbranch_vccnz .LBB77_2
; %bb.1:
	s_mul_i32 s2, s23, s8
	s_mov_b32 s3, 0
	s_add_i32 s2, s2, s7
	s_lshl_b64 s[24:25], s[2:3], 2
	s_add_u32 s0, s0, s24
	s_addc_u32 s1, s1, s25
	s_load_dword s9, s[0:1], 0x0
	s_cbranch_execz .LBB77_3
	s_branch .LBB77_4
.LBB77_2:
                                        ; implicit-def: $sgpr9
.LBB77_3:
	s_load_dwordx2 s[0:1], s[4:5], 0x5c
	s_waitcnt lgkmcnt(0)
	s_mul_hi_u32 s0, s0, s7
	s_add_i32 s0, s7, s0
	s_lshr_b32 s9, s0, s1
.LBB77_4:
	s_load_dwordx4 s[24:27], s[4:5], 0x68
	s_andn2_b32 vcc_lo, exec_lo, s11
	s_mov_b32 s19, s7
	s_cbranch_vccnz .LBB77_6
; %bb.5:
	s_mul_hi_u32 s0, s13, s7
	s_add_i32 s0, s7, s0
	s_lshr_b32 s0, s0, s14
	s_mul_i32 s0, s0, s15
	s_sub_i32 s19, s7, s0
.LBB77_6:
	s_load_dword s14, s[4:5], 0x78
	v_cmp_gt_u32_e32 vcc_lo, 32, v0
	v_lshl_add_u32 v5, v0, 2, 0
	s_and_saveexec_b32 s0, vcc_lo
; %bb.7:
	v_mov_b32_e32 v1, 0
	ds_write_b32 v5, v1
; %bb.8:
	s_or_b32 exec_lo, exec_lo, s0
	v_mov_b32_e32 v6, 0
	v_mov_b32_e32 v7, 0
	;; [unrolled: 1-line block ×7, first 2 shown]
	s_and_b32 s0, exec_lo, s10
	s_mov_b32 s11, 0
	s_cselect_b32 s10, s8, 0
	s_mov_b32 s13, exec_lo
	s_waitcnt lgkmcnt(0)
	s_barrier
	buffer_gl0_inv
	v_cmpx_gt_i32_e64 s12, v0
	s_cbranch_execz .LBB77_12
; %bb.9:
	s_load_dwordx4 s[0:3], s[4:5], 0x0
	s_mul_hi_u32 s15, s27, s10
	s_mul_hi_i32 s29, s21, s10
	s_mul_i32 s28, s21, s10
	s_mul_i32 s8, s9, s24
	;; [unrolled: 1-line block ×4, first 2 shown]
	s_add_i32 s15, s10, s15
	s_lshl_b64 s[28:29], s[28:29], 2
	s_ashr_i32 s9, s8, 31
	s_ashr_i32 s25, s24, 31
	;; [unrolled: 1-line block ×3, first 2 shown]
	s_lshr_b32 s14, s15, s14
	v_lshlrev_b32_e32 v1, 3, v0
	s_mul_hi_i32 s21, s14, s20
	s_mul_i32 s20, s14, s20
	s_mov_b32 s34, s17
	v_mov_b32_e32 v11, 0
	v_mov_b32_e32 v13, v0
	;; [unrolled: 1-line block ×3, first 2 shown]
	s_waitcnt lgkmcnt(0)
	s_add_u32 s15, s2, s28
	s_addc_u32 s16, s3, s29
	s_lshl_b64 s[30:31], s[30:31], 2
	v_mov_b32_e32 v10, 0
	s_add_u32 s14, s15, s30
	s_addc_u32 s15, s16, s31
	s_lshl_b64 s[8:9], s[8:9], 2
	s_ashr_i32 s35, s17, 31
	s_add_i32 s16, s17, s17
	s_lshl_b32 s19, s17, 2
	s_lshl_b64 s[20:21], s[20:21], 2
	s_lshl_b64 s[24:25], s[24:25], 2
	s_add_u32 s0, s0, s8
	s_addc_u32 s1, s1, s9
	s_add_u32 s0, s0, s24
	s_addc_u32 s1, s1, s25
	s_add_u32 s0, s0, s20
	s_addc_u32 s1, s1, s21
	v_add_co_u32 v2, s0, s0, v1
	s_lshl_b64 s[8:9], s[34:35], 3
	v_add_co_ci_u32_e64 v3, null, s1, 0, s0
	s_add_u32 s0, s2, s30
	s_addc_u32 s1, s3, s31
	s_add_u32 s0, s0, s28
	s_addc_u32 s1, s1, s29
	v_add_co_u32 v4, s0, s0, v1
	v_add_co_ci_u32_e64 v6, null, s1, 0, s0
	v_add_co_u32 v1, s0, v2, 4
	v_add_co_ci_u32_e64 v2, null, 0, v3, s0
	;; [unrolled: 2-line block ×3, first 2 shown]
	v_mov_b32_e32 v9, 0
	v_mov_b32_e32 v8, 0
	v_mov_b32_e32 v7, 0
	v_mov_b32_e32 v6, 0
	s_mul_i32 s1, s17, 3
	s_mul_i32 s2, s17, 5
	;; [unrolled: 1-line block ×3, first 2 shown]
.LBB77_10:                              ; =>This Inner Loop Header: Depth=1
	v_add_nc_u32_e32 v20, s16, v13
	v_add_nc_u32_e32 v22, s1, v13
	;; [unrolled: 1-line block ×5, first 2 shown]
	v_ashrrev_i32_e32 v21, 31, v20
	v_ashrrev_i32_e32 v23, 31, v22
	;; [unrolled: 1-line block ×5, first 2 shown]
	v_lshlrev_b64 v[20:21], 3, v[20:21]
	v_lshlrev_b64 v[22:23], 3, v[22:23]
	v_add_co_u32 v18, s0, v3, s8
	v_lshlrev_b64 v[24:25], 3, v[24:25]
	v_add_co_ci_u32_e64 v19, null, s9, v4, s0
	v_lshlrev_b64 v[26:27], 3, v[26:27]
	v_add_co_u32 v20, s0, s14, v20
	v_lshlrev_b64 v[28:29], 3, v[28:29]
	v_add_co_ci_u32_e64 v21, null, s15, v21, s0
	v_add_co_u32 v22, s0, s14, v22
	v_add_co_ci_u32_e64 v23, null, s15, v23, s0
	v_add_co_u32 v24, s0, s14, v24
	;; [unrolled: 2-line block ×4, first 2 shown]
	v_add_co_ci_u32_e64 v29, null, s15, v29, s0
	global_load_dwordx2 v[14:15], v[1:2], off offset:-4
	s_clause 0x1
	global_load_dwordx2 v[16:17], v[3:4], off offset:-4
	global_load_dwordx2 v[18:19], v[18:19], off offset:-4
	s_clause 0x4
	global_load_dwordx2 v[20:21], v[20:21], off
	global_load_dwordx2 v[22:23], v[22:23], off
	;; [unrolled: 1-line block ×5, first 2 shown]
	v_add_nc_u32_e32 v13, 0xc0, v13
	v_add_co_u32 v1, s0, 0x600, v1
	v_add_co_ci_u32_e64 v2, null, 0, v2, s0
	v_add_co_u32 v3, s0, 0x600, v3
	v_add_co_ci_u32_e64 v4, null, 0, v4, s0
	v_cmp_le_i32_e64 s0, s12, v13
	s_or_b32 s11, s0, s11
	s_waitcnt vmcnt(4)
	v_fmac_f32_e32 v10, v14, v20
	v_fmac_f32_e32 v11, v14, v16
	;; [unrolled: 1-line block ×3, first 2 shown]
	s_waitcnt vmcnt(3)
	v_fmac_f32_e32 v9, v14, v22
	s_waitcnt vmcnt(2)
	v_fmac_f32_e32 v8, v14, v24
	;; [unrolled: 2-line block ×4, first 2 shown]
	v_fmac_f32_e32 v11, v15, v17
	v_fmac_f32_e32 v12, v15, v19
	;; [unrolled: 1-line block ×7, first 2 shown]
	s_andn2_b32 exec_lo, exec_lo, s11
	s_cbranch_execnz .LBB77_10
; %bb.11:
	s_or_b32 exec_lo, exec_lo, s11
.LBB77_12:
	s_or_b32 exec_lo, exec_lo, s13
	v_mbcnt_lo_u32_b32 v2, -1, 0
	v_xor_b32_e32 v1, 16, v2
	v_xor_b32_e32 v3, 8, v2
	v_cmp_gt_i32_e64 s0, 32, v1
	v_cndmask_b32_e64 v1, v2, v1, s0
	v_cmp_gt_i32_e64 s0, 32, v3
	v_lshlrev_b32_e32 v1, 2, v1
	v_cndmask_b32_e64 v3, v2, v3, s0
	ds_bpermute_b32 v4, v1, v11
	v_lshlrev_b32_e32 v3, 2, v3
	s_waitcnt lgkmcnt(0)
	v_add_f32_e32 v11, v11, v4
	v_xor_b32_e32 v4, 4, v2
	ds_bpermute_b32 v13, v3, v11
	v_cmp_gt_i32_e64 s0, 32, v4
	v_cndmask_b32_e64 v4, v2, v4, s0
	v_lshlrev_b32_e32 v4, 2, v4
	s_waitcnt lgkmcnt(0)
	v_add_f32_e32 v13, v11, v13
	v_xor_b32_e32 v11, 2, v2
	ds_bpermute_b32 v14, v4, v13
	v_cmp_gt_i32_e64 s0, 32, v11
	v_cndmask_b32_e64 v11, v2, v11, s0
	v_lshlrev_b32_e32 v11, 2, v11
	s_waitcnt lgkmcnt(0)
	v_add_f32_e32 v14, v13, v14
	v_xor_b32_e32 v13, 1, v2
	ds_bpermute_b32 v15, v11, v14
	v_cmp_gt_i32_e64 s0, 32, v13
	v_cndmask_b32_e64 v2, v2, v13, s0
	v_lshlrev_b32_e32 v13, 2, v2
	s_waitcnt lgkmcnt(0)
	v_add_f32_e32 v2, v14, v15
	v_lshrrev_b32_e32 v14, 3, v0
	ds_bpermute_b32 v15, v13, v2
	v_and_b32_e32 v14, 0x7c, v14
	v_add_nc_u32_e32 v14, 0, v14
	s_waitcnt lgkmcnt(0)
	v_add_f32_e32 v2, v2, v15
	ds_write_b32 v14, v2
	s_waitcnt lgkmcnt(0)
	s_barrier
	buffer_gl0_inv
	s_and_saveexec_b32 s0, vcc_lo
	s_cbranch_execz .LBB77_14
; %bb.13:
	ds_read_b32 v2, v5
	s_waitcnt lgkmcnt(0)
	ds_bpermute_b32 v15, v1, v2
	s_waitcnt lgkmcnt(0)
	v_add_f32_e32 v2, v2, v15
	ds_bpermute_b32 v15, v3, v2
	s_waitcnt lgkmcnt(0)
	v_add_f32_e32 v2, v2, v15
	ds_bpermute_b32 v15, v4, v2
	s_waitcnt lgkmcnt(0)
	v_add_f32_e32 v2, v2, v15
	ds_bpermute_b32 v15, v11, v2
	s_waitcnt lgkmcnt(0)
	v_add_f32_e32 v2, v2, v15
	ds_bpermute_b32 v15, v13, v2
	s_waitcnt lgkmcnt(0)
	v_add_f32_e32 v2, v2, v15
.LBB77_14:
	s_or_b32 exec_lo, exec_lo, s0
	ds_bpermute_b32 v15, v1, v12
	s_waitcnt lgkmcnt(0)
	s_barrier
	buffer_gl0_inv
	v_add_f32_e32 v12, v12, v15
	ds_bpermute_b32 v15, v3, v12
	s_waitcnt lgkmcnt(0)
	v_add_f32_e32 v12, v12, v15
	ds_bpermute_b32 v15, v4, v12
	s_waitcnt lgkmcnt(0)
	v_add_f32_e32 v12, v12, v15
	ds_bpermute_b32 v15, v11, v12
	s_waitcnt lgkmcnt(0)
	v_add_f32_e32 v12, v12, v15
	ds_bpermute_b32 v15, v13, v12
	s_waitcnt lgkmcnt(0)
	v_add_f32_e32 v12, v12, v15
	ds_write_b32 v14, v12
	s_waitcnt lgkmcnt(0)
	s_barrier
	buffer_gl0_inv
	s_and_saveexec_b32 s0, vcc_lo
	s_cbranch_execz .LBB77_16
; %bb.15:
	ds_read_b32 v12, v5
	s_waitcnt lgkmcnt(0)
	ds_bpermute_b32 v15, v1, v12
	s_waitcnt lgkmcnt(0)
	v_add_f32_e32 v12, v12, v15
	ds_bpermute_b32 v15, v3, v12
	s_waitcnt lgkmcnt(0)
	v_add_f32_e32 v12, v12, v15
	ds_bpermute_b32 v15, v4, v12
	s_waitcnt lgkmcnt(0)
	v_add_f32_e32 v12, v12, v15
	ds_bpermute_b32 v15, v11, v12
	s_waitcnt lgkmcnt(0)
	v_add_f32_e32 v12, v12, v15
	ds_bpermute_b32 v15, v13, v12
	s_waitcnt lgkmcnt(0)
	v_add_f32_e32 v12, v12, v15
.LBB77_16:
	s_or_b32 exec_lo, exec_lo, s0
	ds_bpermute_b32 v15, v1, v10
	s_waitcnt lgkmcnt(0)
	s_barrier
	buffer_gl0_inv
	v_add_f32_e32 v10, v10, v15
	ds_bpermute_b32 v15, v3, v10
	s_waitcnt lgkmcnt(0)
	v_add_f32_e32 v10, v10, v15
	ds_bpermute_b32 v15, v4, v10
	s_waitcnt lgkmcnt(0)
	v_add_f32_e32 v10, v10, v15
	ds_bpermute_b32 v15, v11, v10
	s_waitcnt lgkmcnt(0)
	v_add_f32_e32 v10, v10, v15
	ds_bpermute_b32 v15, v13, v10
	;; [unrolled: 43-line block ×6, first 2 shown]
	s_waitcnt lgkmcnt(0)
	v_add_f32_e32 v6, v6, v15
	ds_write_b32 v14, v6
	s_waitcnt lgkmcnt(0)
	s_barrier
	buffer_gl0_inv
	s_and_saveexec_b32 s0, vcc_lo
	s_cbranch_execz .LBB77_26
; %bb.25:
	ds_read_b32 v5, v5
	s_waitcnt lgkmcnt(0)
	ds_bpermute_b32 v1, v1, v5
	s_waitcnt lgkmcnt(0)
	v_add_f32_e32 v1, v5, v1
	ds_bpermute_b32 v3, v3, v1
	s_waitcnt lgkmcnt(0)
	v_add_f32_e32 v1, v1, v3
	;; [unrolled: 3-line block ×5, first 2 shown]
.LBB77_26:
	s_or_b32 exec_lo, exec_lo, s0
	s_barrier
	buffer_gl0_inv
	s_mov_b32 s0, exec_lo
	v_cmpx_gt_u32_e32 7, v0
	s_cbranch_execz .LBB77_28
; %bb.27:
	v_cmp_eq_u32_e32 vcc_lo, 1, v0
	s_load_dwordx2 s[0:1], s[4:5], 0x38
	s_mul_hi_i32 s3, s22, s10
	s_mul_i32 s2, s22, s10
	s_mul_i32 s4, s26, s7
	v_cndmask_b32_e32 v1, v2, v12, vcc_lo
	v_cmp_eq_u32_e32 vcc_lo, 2, v0
	s_lshl_b64 s[2:3], s[2:3], 2
	s_ashr_i32 s5, s4, 31
	v_cndmask_b32_e32 v3, v1, v10, vcc_lo
	v_cmp_eq_u32_e32 vcc_lo, 3, v0
	v_mad_u64_u32 v[1:2], null, s18, v0, s[6:7]
	v_cndmask_b32_e32 v2, v3, v9, vcc_lo
	v_cmp_eq_u32_e32 vcc_lo, 4, v0
	s_waitcnt lgkmcnt(0)
	s_add_u32 s2, s0, s2
	s_addc_u32 s3, s1, s3
	v_cndmask_b32_e32 v3, v2, v8, vcc_lo
	v_ashrrev_i32_e32 v2, 31, v1
	v_cmp_eq_u32_e32 vcc_lo, 5, v0
	s_lshl_b64 s[0:1], s[4:5], 2
	s_add_u32 s0, s2, s0
	v_lshlrev_b64 v[1:2], 2, v[1:2]
	v_cndmask_b32_e32 v3, v3, v7, vcc_lo
	v_cmp_eq_u32_e32 vcc_lo, 6, v0
	s_addc_u32 s1, s3, s1
	v_cndmask_b32_e32 v3, v3, v6, vcc_lo
	v_add_co_u32 v0, vcc_lo, s0, v1
	v_add_co_ci_u32_e64 v1, null, s1, v2, vcc_lo
	global_store_dword v[0:1], v3, off
.LBB77_28:
	s_endpgm
	.section	.rodata,"a",@progbits
	.p2align	6, 0x0
	.amdhsa_kernel _ZL13mul_mat_vec_fIffLi7ELi192ELb0ELb0EEvPKT_PKfPKi31ggml_cuda_mm_fusion_args_devicePfi15HIP_vector_typeIjLj3EEiiiSA_iiiSA_iiii
		.amdhsa_group_segment_fixed_size 0
		.amdhsa_private_segment_fixed_size 0
		.amdhsa_kernarg_size 144
		.amdhsa_user_sgpr_count 6
		.amdhsa_user_sgpr_private_segment_buffer 1
		.amdhsa_user_sgpr_dispatch_ptr 0
		.amdhsa_user_sgpr_queue_ptr 0
		.amdhsa_user_sgpr_kernarg_segment_ptr 1
		.amdhsa_user_sgpr_dispatch_id 0
		.amdhsa_user_sgpr_flat_scratch_init 0
		.amdhsa_user_sgpr_private_segment_size 0
		.amdhsa_wavefront_size32 1
		.amdhsa_uses_dynamic_stack 0
		.amdhsa_system_sgpr_private_segment_wavefront_offset 0
		.amdhsa_system_sgpr_workgroup_id_x 1
		.amdhsa_system_sgpr_workgroup_id_y 1
		.amdhsa_system_sgpr_workgroup_id_z 1
		.amdhsa_system_sgpr_workgroup_info 0
		.amdhsa_system_vgpr_workitem_id 0
		.amdhsa_next_free_vgpr 30
		.amdhsa_next_free_sgpr 36
		.amdhsa_reserve_vcc 1
		.amdhsa_reserve_flat_scratch 0
		.amdhsa_float_round_mode_32 0
		.amdhsa_float_round_mode_16_64 0
		.amdhsa_float_denorm_mode_32 3
		.amdhsa_float_denorm_mode_16_64 3
		.amdhsa_dx10_clamp 1
		.amdhsa_ieee_mode 1
		.amdhsa_fp16_overflow 0
		.amdhsa_workgroup_processor_mode 1
		.amdhsa_memory_ordered 1
		.amdhsa_forward_progress 1
		.amdhsa_shared_vgpr_count 0
		.amdhsa_exception_fp_ieee_invalid_op 0
		.amdhsa_exception_fp_denorm_src 0
		.amdhsa_exception_fp_ieee_div_zero 0
		.amdhsa_exception_fp_ieee_overflow 0
		.amdhsa_exception_fp_ieee_underflow 0
		.amdhsa_exception_fp_ieee_inexact 0
		.amdhsa_exception_int_div_zero 0
	.end_amdhsa_kernel
	.section	.text._ZL13mul_mat_vec_fIffLi7ELi192ELb0ELb0EEvPKT_PKfPKi31ggml_cuda_mm_fusion_args_devicePfi15HIP_vector_typeIjLj3EEiiiSA_iiiSA_iiii,"axG",@progbits,_ZL13mul_mat_vec_fIffLi7ELi192ELb0ELb0EEvPKT_PKfPKi31ggml_cuda_mm_fusion_args_devicePfi15HIP_vector_typeIjLj3EEiiiSA_iiiSA_iiii,comdat
.Lfunc_end77:
	.size	_ZL13mul_mat_vec_fIffLi7ELi192ELb0ELb0EEvPKT_PKfPKi31ggml_cuda_mm_fusion_args_devicePfi15HIP_vector_typeIjLj3EEiiiSA_iiiSA_iiii, .Lfunc_end77-_ZL13mul_mat_vec_fIffLi7ELi192ELb0ELb0EEvPKT_PKfPKi31ggml_cuda_mm_fusion_args_devicePfi15HIP_vector_typeIjLj3EEiiiSA_iiiSA_iiii
                                        ; -- End function
	.set _ZL13mul_mat_vec_fIffLi7ELi192ELb0ELb0EEvPKT_PKfPKi31ggml_cuda_mm_fusion_args_devicePfi15HIP_vector_typeIjLj3EEiiiSA_iiiSA_iiii.num_vgpr, 30
	.set _ZL13mul_mat_vec_fIffLi7ELi192ELb0ELb0EEvPKT_PKfPKi31ggml_cuda_mm_fusion_args_devicePfi15HIP_vector_typeIjLj3EEiiiSA_iiiSA_iiii.num_agpr, 0
	.set _ZL13mul_mat_vec_fIffLi7ELi192ELb0ELb0EEvPKT_PKfPKi31ggml_cuda_mm_fusion_args_devicePfi15HIP_vector_typeIjLj3EEiiiSA_iiiSA_iiii.numbered_sgpr, 36
	.set _ZL13mul_mat_vec_fIffLi7ELi192ELb0ELb0EEvPKT_PKfPKi31ggml_cuda_mm_fusion_args_devicePfi15HIP_vector_typeIjLj3EEiiiSA_iiiSA_iiii.num_named_barrier, 0
	.set _ZL13mul_mat_vec_fIffLi7ELi192ELb0ELb0EEvPKT_PKfPKi31ggml_cuda_mm_fusion_args_devicePfi15HIP_vector_typeIjLj3EEiiiSA_iiiSA_iiii.private_seg_size, 0
	.set _ZL13mul_mat_vec_fIffLi7ELi192ELb0ELb0EEvPKT_PKfPKi31ggml_cuda_mm_fusion_args_devicePfi15HIP_vector_typeIjLj3EEiiiSA_iiiSA_iiii.uses_vcc, 1
	.set _ZL13mul_mat_vec_fIffLi7ELi192ELb0ELb0EEvPKT_PKfPKi31ggml_cuda_mm_fusion_args_devicePfi15HIP_vector_typeIjLj3EEiiiSA_iiiSA_iiii.uses_flat_scratch, 0
	.set _ZL13mul_mat_vec_fIffLi7ELi192ELb0ELb0EEvPKT_PKfPKi31ggml_cuda_mm_fusion_args_devicePfi15HIP_vector_typeIjLj3EEiiiSA_iiiSA_iiii.has_dyn_sized_stack, 0
	.set _ZL13mul_mat_vec_fIffLi7ELi192ELb0ELb0EEvPKT_PKfPKi31ggml_cuda_mm_fusion_args_devicePfi15HIP_vector_typeIjLj3EEiiiSA_iiiSA_iiii.has_recursion, 0
	.set _ZL13mul_mat_vec_fIffLi7ELi192ELb0ELb0EEvPKT_PKfPKi31ggml_cuda_mm_fusion_args_devicePfi15HIP_vector_typeIjLj3EEiiiSA_iiiSA_iiii.has_indirect_call, 0
	.section	.AMDGPU.csdata,"",@progbits
; Kernel info:
; codeLenInByte = 2788
; TotalNumSgprs: 38
; NumVgprs: 30
; ScratchSize: 0
; MemoryBound: 0
; FloatMode: 240
; IeeeMode: 1
; LDSByteSize: 0 bytes/workgroup (compile time only)
; SGPRBlocks: 0
; VGPRBlocks: 3
; NumSGPRsForWavesPerEU: 38
; NumVGPRsForWavesPerEU: 30
; Occupancy: 16
; WaveLimiterHint : 0
; COMPUTE_PGM_RSRC2:SCRATCH_EN: 0
; COMPUTE_PGM_RSRC2:USER_SGPR: 6
; COMPUTE_PGM_RSRC2:TRAP_HANDLER: 0
; COMPUTE_PGM_RSRC2:TGID_X_EN: 1
; COMPUTE_PGM_RSRC2:TGID_Y_EN: 1
; COMPUTE_PGM_RSRC2:TGID_Z_EN: 1
; COMPUTE_PGM_RSRC2:TIDIG_COMP_CNT: 0
	.section	.text._ZL13mul_mat_vec_fIffLi7ELi224ELb0ELb0EEvPKT_PKfPKi31ggml_cuda_mm_fusion_args_devicePfi15HIP_vector_typeIjLj3EEiiiSA_iiiSA_iiii,"axG",@progbits,_ZL13mul_mat_vec_fIffLi7ELi224ELb0ELb0EEvPKT_PKfPKi31ggml_cuda_mm_fusion_args_devicePfi15HIP_vector_typeIjLj3EEiiiSA_iiiSA_iiii,comdat
	.globl	_ZL13mul_mat_vec_fIffLi7ELi224ELb0ELb0EEvPKT_PKfPKi31ggml_cuda_mm_fusion_args_devicePfi15HIP_vector_typeIjLj3EEiiiSA_iiiSA_iiii ; -- Begin function _ZL13mul_mat_vec_fIffLi7ELi224ELb0ELb0EEvPKT_PKfPKi31ggml_cuda_mm_fusion_args_devicePfi15HIP_vector_typeIjLj3EEiiiSA_iiiSA_iiii
	.p2align	8
	.type	_ZL13mul_mat_vec_fIffLi7ELi224ELb0ELb0EEvPKT_PKfPKi31ggml_cuda_mm_fusion_args_devicePfi15HIP_vector_typeIjLj3EEiiiSA_iiiSA_iiii,@function
_ZL13mul_mat_vec_fIffLi7ELi224ELb0ELb0EEvPKT_PKfPKi31ggml_cuda_mm_fusion_args_devicePfi15HIP_vector_typeIjLj3EEiiiSA_iiiSA_iiii: ; @_ZL13mul_mat_vec_fIffLi7ELi224ELb0ELb0EEvPKT_PKfPKi31ggml_cuda_mm_fusion_args_devicePfi15HIP_vector_typeIjLj3EEiiiSA_iiiSA_iiii
; %bb.0:
	s_clause 0x2
	s_load_dwordx2 s[0:1], s[4:5], 0x10
	s_load_dwordx8 s[12:19], s[4:5], 0x40
	s_load_dwordx4 s[20:23], s[4:5], 0x80
	s_waitcnt lgkmcnt(0)
	s_cmp_eq_u64 s[0:1], 0
	s_cselect_b32 s10, -1, 0
	s_cmp_lg_u64 s[0:1], 0
	s_cselect_b32 s11, -1, 0
	s_and_b32 vcc_lo, exec_lo, s10
	s_cbranch_vccnz .LBB78_2
; %bb.1:
	s_mul_i32 s2, s23, s8
	s_mov_b32 s3, 0
	s_add_i32 s2, s2, s7
	s_lshl_b64 s[24:25], s[2:3], 2
	s_add_u32 s0, s0, s24
	s_addc_u32 s1, s1, s25
	s_load_dword s9, s[0:1], 0x0
	s_cbranch_execz .LBB78_3
	s_branch .LBB78_4
.LBB78_2:
                                        ; implicit-def: $sgpr9
.LBB78_3:
	s_load_dwordx2 s[0:1], s[4:5], 0x5c
	s_waitcnt lgkmcnt(0)
	s_mul_hi_u32 s0, s0, s7
	s_add_i32 s0, s7, s0
	s_lshr_b32 s9, s0, s1
.LBB78_4:
	s_load_dwordx4 s[24:27], s[4:5], 0x68
	s_andn2_b32 vcc_lo, exec_lo, s11
	s_mov_b32 s19, s7
	s_cbranch_vccnz .LBB78_6
; %bb.5:
	s_mul_hi_u32 s0, s13, s7
	s_add_i32 s0, s7, s0
	s_lshr_b32 s0, s0, s14
	s_mul_i32 s0, s0, s15
	s_sub_i32 s19, s7, s0
.LBB78_6:
	s_load_dword s14, s[4:5], 0x78
	v_cmp_gt_u32_e32 vcc_lo, 32, v0
	v_lshl_add_u32 v5, v0, 2, 0
	s_and_saveexec_b32 s0, vcc_lo
; %bb.7:
	v_mov_b32_e32 v1, 0
	ds_write_b32 v5, v1
; %bb.8:
	s_or_b32 exec_lo, exec_lo, s0
	v_mov_b32_e32 v6, 0
	v_mov_b32_e32 v7, 0
	;; [unrolled: 1-line block ×7, first 2 shown]
	s_and_b32 s0, exec_lo, s10
	s_mov_b32 s11, 0
	s_cselect_b32 s10, s8, 0
	s_mov_b32 s13, exec_lo
	s_waitcnt lgkmcnt(0)
	s_barrier
	buffer_gl0_inv
	v_cmpx_gt_i32_e64 s12, v0
	s_cbranch_execz .LBB78_12
; %bb.9:
	s_load_dwordx4 s[0:3], s[4:5], 0x0
	s_mul_hi_u32 s15, s27, s10
	s_mul_hi_i32 s29, s21, s10
	s_mul_i32 s28, s21, s10
	s_mul_i32 s8, s9, s24
	;; [unrolled: 1-line block ×4, first 2 shown]
	s_add_i32 s15, s10, s15
	s_lshl_b64 s[28:29], s[28:29], 2
	s_ashr_i32 s9, s8, 31
	s_ashr_i32 s25, s24, 31
	;; [unrolled: 1-line block ×3, first 2 shown]
	s_lshr_b32 s14, s15, s14
	v_lshlrev_b32_e32 v1, 3, v0
	s_mul_hi_i32 s21, s14, s20
	s_mul_i32 s20, s14, s20
	s_mov_b32 s34, s17
	v_mov_b32_e32 v11, 0
	v_mov_b32_e32 v13, v0
	;; [unrolled: 1-line block ×3, first 2 shown]
	s_waitcnt lgkmcnt(0)
	s_add_u32 s15, s2, s28
	s_addc_u32 s16, s3, s29
	s_lshl_b64 s[30:31], s[30:31], 2
	v_mov_b32_e32 v10, 0
	s_add_u32 s14, s15, s30
	s_addc_u32 s15, s16, s31
	s_lshl_b64 s[8:9], s[8:9], 2
	s_ashr_i32 s35, s17, 31
	s_add_i32 s16, s17, s17
	s_lshl_b32 s19, s17, 2
	s_lshl_b64 s[20:21], s[20:21], 2
	s_lshl_b64 s[24:25], s[24:25], 2
	s_add_u32 s0, s0, s8
	s_addc_u32 s1, s1, s9
	s_add_u32 s0, s0, s24
	s_addc_u32 s1, s1, s25
	;; [unrolled: 2-line block ×3, first 2 shown]
	v_add_co_u32 v2, s0, s0, v1
	s_lshl_b64 s[8:9], s[34:35], 3
	v_add_co_ci_u32_e64 v3, null, s1, 0, s0
	s_add_u32 s0, s2, s30
	s_addc_u32 s1, s3, s31
	s_add_u32 s0, s0, s28
	s_addc_u32 s1, s1, s29
	v_add_co_u32 v4, s0, s0, v1
	v_add_co_ci_u32_e64 v6, null, s1, 0, s0
	v_add_co_u32 v1, s0, v2, 4
	v_add_co_ci_u32_e64 v2, null, 0, v3, s0
	;; [unrolled: 2-line block ×3, first 2 shown]
	v_mov_b32_e32 v9, 0
	v_mov_b32_e32 v8, 0
	;; [unrolled: 1-line block ×4, first 2 shown]
	s_mul_i32 s1, s17, 3
	s_mul_i32 s2, s17, 5
	;; [unrolled: 1-line block ×3, first 2 shown]
.LBB78_10:                              ; =>This Inner Loop Header: Depth=1
	v_add_nc_u32_e32 v20, s16, v13
	v_add_nc_u32_e32 v22, s1, v13
	;; [unrolled: 1-line block ×5, first 2 shown]
	v_ashrrev_i32_e32 v21, 31, v20
	v_ashrrev_i32_e32 v23, 31, v22
	;; [unrolled: 1-line block ×5, first 2 shown]
	v_lshlrev_b64 v[20:21], 3, v[20:21]
	v_lshlrev_b64 v[22:23], 3, v[22:23]
	v_add_co_u32 v18, s0, v3, s8
	v_lshlrev_b64 v[24:25], 3, v[24:25]
	v_add_co_ci_u32_e64 v19, null, s9, v4, s0
	v_lshlrev_b64 v[26:27], 3, v[26:27]
	v_add_co_u32 v20, s0, s14, v20
	v_lshlrev_b64 v[28:29], 3, v[28:29]
	v_add_co_ci_u32_e64 v21, null, s15, v21, s0
	v_add_co_u32 v22, s0, s14, v22
	v_add_co_ci_u32_e64 v23, null, s15, v23, s0
	v_add_co_u32 v24, s0, s14, v24
	;; [unrolled: 2-line block ×4, first 2 shown]
	v_add_co_ci_u32_e64 v29, null, s15, v29, s0
	global_load_dwordx2 v[14:15], v[1:2], off offset:-4
	s_clause 0x1
	global_load_dwordx2 v[16:17], v[3:4], off offset:-4
	global_load_dwordx2 v[18:19], v[18:19], off offset:-4
	s_clause 0x4
	global_load_dwordx2 v[20:21], v[20:21], off
	global_load_dwordx2 v[22:23], v[22:23], off
	;; [unrolled: 1-line block ×5, first 2 shown]
	v_add_nc_u32_e32 v13, 0xe0, v13
	v_add_co_u32 v1, s0, 0x700, v1
	v_add_co_ci_u32_e64 v2, null, 0, v2, s0
	v_add_co_u32 v3, s0, 0x700, v3
	v_add_co_ci_u32_e64 v4, null, 0, v4, s0
	v_cmp_le_i32_e64 s0, s12, v13
	s_or_b32 s11, s0, s11
	s_waitcnt vmcnt(4)
	v_fmac_f32_e32 v10, v14, v20
	v_fmac_f32_e32 v11, v14, v16
	;; [unrolled: 1-line block ×3, first 2 shown]
	s_waitcnt vmcnt(3)
	v_fmac_f32_e32 v9, v14, v22
	s_waitcnt vmcnt(2)
	v_fmac_f32_e32 v8, v14, v24
	;; [unrolled: 2-line block ×4, first 2 shown]
	v_fmac_f32_e32 v11, v15, v17
	v_fmac_f32_e32 v12, v15, v19
	;; [unrolled: 1-line block ×7, first 2 shown]
	s_andn2_b32 exec_lo, exec_lo, s11
	s_cbranch_execnz .LBB78_10
; %bb.11:
	s_or_b32 exec_lo, exec_lo, s11
.LBB78_12:
	s_or_b32 exec_lo, exec_lo, s13
	v_mbcnt_lo_u32_b32 v2, -1, 0
	v_xor_b32_e32 v1, 16, v2
	v_xor_b32_e32 v3, 8, v2
	v_cmp_gt_i32_e64 s0, 32, v1
	v_cndmask_b32_e64 v1, v2, v1, s0
	v_cmp_gt_i32_e64 s0, 32, v3
	v_lshlrev_b32_e32 v1, 2, v1
	v_cndmask_b32_e64 v3, v2, v3, s0
	ds_bpermute_b32 v4, v1, v11
	v_lshlrev_b32_e32 v3, 2, v3
	s_waitcnt lgkmcnt(0)
	v_add_f32_e32 v11, v11, v4
	v_xor_b32_e32 v4, 4, v2
	ds_bpermute_b32 v13, v3, v11
	v_cmp_gt_i32_e64 s0, 32, v4
	v_cndmask_b32_e64 v4, v2, v4, s0
	v_lshlrev_b32_e32 v4, 2, v4
	s_waitcnt lgkmcnt(0)
	v_add_f32_e32 v13, v11, v13
	v_xor_b32_e32 v11, 2, v2
	ds_bpermute_b32 v14, v4, v13
	v_cmp_gt_i32_e64 s0, 32, v11
	v_cndmask_b32_e64 v11, v2, v11, s0
	;; [unrolled: 7-line block ×3, first 2 shown]
	v_lshlrev_b32_e32 v13, 2, v2
	s_waitcnt lgkmcnt(0)
	v_add_f32_e32 v2, v14, v15
	v_lshrrev_b32_e32 v14, 3, v0
	ds_bpermute_b32 v15, v13, v2
	v_and_b32_e32 v14, 0x7c, v14
	v_add_nc_u32_e32 v14, 0, v14
	s_waitcnt lgkmcnt(0)
	v_add_f32_e32 v2, v2, v15
	ds_write_b32 v14, v2
	s_waitcnt lgkmcnt(0)
	s_barrier
	buffer_gl0_inv
	s_and_saveexec_b32 s0, vcc_lo
	s_cbranch_execz .LBB78_14
; %bb.13:
	ds_read_b32 v2, v5
	s_waitcnt lgkmcnt(0)
	ds_bpermute_b32 v15, v1, v2
	s_waitcnt lgkmcnt(0)
	v_add_f32_e32 v2, v2, v15
	ds_bpermute_b32 v15, v3, v2
	s_waitcnt lgkmcnt(0)
	v_add_f32_e32 v2, v2, v15
	ds_bpermute_b32 v15, v4, v2
	s_waitcnt lgkmcnt(0)
	v_add_f32_e32 v2, v2, v15
	ds_bpermute_b32 v15, v11, v2
	s_waitcnt lgkmcnt(0)
	v_add_f32_e32 v2, v2, v15
	ds_bpermute_b32 v15, v13, v2
	s_waitcnt lgkmcnt(0)
	v_add_f32_e32 v2, v2, v15
.LBB78_14:
	s_or_b32 exec_lo, exec_lo, s0
	ds_bpermute_b32 v15, v1, v12
	s_waitcnt lgkmcnt(0)
	s_barrier
	buffer_gl0_inv
	v_add_f32_e32 v12, v12, v15
	ds_bpermute_b32 v15, v3, v12
	s_waitcnt lgkmcnt(0)
	v_add_f32_e32 v12, v12, v15
	ds_bpermute_b32 v15, v4, v12
	s_waitcnt lgkmcnt(0)
	v_add_f32_e32 v12, v12, v15
	ds_bpermute_b32 v15, v11, v12
	s_waitcnt lgkmcnt(0)
	v_add_f32_e32 v12, v12, v15
	ds_bpermute_b32 v15, v13, v12
	s_waitcnt lgkmcnt(0)
	v_add_f32_e32 v12, v12, v15
	ds_write_b32 v14, v12
	s_waitcnt lgkmcnt(0)
	s_barrier
	buffer_gl0_inv
	s_and_saveexec_b32 s0, vcc_lo
	s_cbranch_execz .LBB78_16
; %bb.15:
	ds_read_b32 v12, v5
	s_waitcnt lgkmcnt(0)
	ds_bpermute_b32 v15, v1, v12
	s_waitcnt lgkmcnt(0)
	v_add_f32_e32 v12, v12, v15
	ds_bpermute_b32 v15, v3, v12
	s_waitcnt lgkmcnt(0)
	v_add_f32_e32 v12, v12, v15
	ds_bpermute_b32 v15, v4, v12
	s_waitcnt lgkmcnt(0)
	v_add_f32_e32 v12, v12, v15
	ds_bpermute_b32 v15, v11, v12
	s_waitcnt lgkmcnt(0)
	v_add_f32_e32 v12, v12, v15
	ds_bpermute_b32 v15, v13, v12
	s_waitcnt lgkmcnt(0)
	v_add_f32_e32 v12, v12, v15
.LBB78_16:
	s_or_b32 exec_lo, exec_lo, s0
	ds_bpermute_b32 v15, v1, v10
	s_waitcnt lgkmcnt(0)
	s_barrier
	buffer_gl0_inv
	v_add_f32_e32 v10, v10, v15
	ds_bpermute_b32 v15, v3, v10
	s_waitcnt lgkmcnt(0)
	v_add_f32_e32 v10, v10, v15
	ds_bpermute_b32 v15, v4, v10
	s_waitcnt lgkmcnt(0)
	v_add_f32_e32 v10, v10, v15
	ds_bpermute_b32 v15, v11, v10
	s_waitcnt lgkmcnt(0)
	v_add_f32_e32 v10, v10, v15
	ds_bpermute_b32 v15, v13, v10
	;; [unrolled: 43-line block ×6, first 2 shown]
	s_waitcnt lgkmcnt(0)
	v_add_f32_e32 v6, v6, v15
	ds_write_b32 v14, v6
	s_waitcnt lgkmcnt(0)
	s_barrier
	buffer_gl0_inv
	s_and_saveexec_b32 s0, vcc_lo
	s_cbranch_execz .LBB78_26
; %bb.25:
	ds_read_b32 v5, v5
	s_waitcnt lgkmcnt(0)
	ds_bpermute_b32 v1, v1, v5
	s_waitcnt lgkmcnt(0)
	v_add_f32_e32 v1, v5, v1
	ds_bpermute_b32 v3, v3, v1
	s_waitcnt lgkmcnt(0)
	v_add_f32_e32 v1, v1, v3
	;; [unrolled: 3-line block ×5, first 2 shown]
.LBB78_26:
	s_or_b32 exec_lo, exec_lo, s0
	s_barrier
	buffer_gl0_inv
	s_mov_b32 s0, exec_lo
	v_cmpx_gt_u32_e32 7, v0
	s_cbranch_execz .LBB78_28
; %bb.27:
	v_cmp_eq_u32_e32 vcc_lo, 1, v0
	s_load_dwordx2 s[0:1], s[4:5], 0x38
	s_mul_hi_i32 s3, s22, s10
	s_mul_i32 s2, s22, s10
	s_mul_i32 s4, s26, s7
	v_cndmask_b32_e32 v1, v2, v12, vcc_lo
	v_cmp_eq_u32_e32 vcc_lo, 2, v0
	s_lshl_b64 s[2:3], s[2:3], 2
	s_ashr_i32 s5, s4, 31
	v_cndmask_b32_e32 v3, v1, v10, vcc_lo
	v_cmp_eq_u32_e32 vcc_lo, 3, v0
	v_mad_u64_u32 v[1:2], null, s18, v0, s[6:7]
	v_cndmask_b32_e32 v2, v3, v9, vcc_lo
	v_cmp_eq_u32_e32 vcc_lo, 4, v0
	s_waitcnt lgkmcnt(0)
	s_add_u32 s2, s0, s2
	s_addc_u32 s3, s1, s3
	v_cndmask_b32_e32 v3, v2, v8, vcc_lo
	v_ashrrev_i32_e32 v2, 31, v1
	v_cmp_eq_u32_e32 vcc_lo, 5, v0
	s_lshl_b64 s[0:1], s[4:5], 2
	s_add_u32 s0, s2, s0
	v_lshlrev_b64 v[1:2], 2, v[1:2]
	v_cndmask_b32_e32 v3, v3, v7, vcc_lo
	v_cmp_eq_u32_e32 vcc_lo, 6, v0
	s_addc_u32 s1, s3, s1
	v_cndmask_b32_e32 v3, v3, v6, vcc_lo
	v_add_co_u32 v0, vcc_lo, s0, v1
	v_add_co_ci_u32_e64 v1, null, s1, v2, vcc_lo
	global_store_dword v[0:1], v3, off
.LBB78_28:
	s_endpgm
	.section	.rodata,"a",@progbits
	.p2align	6, 0x0
	.amdhsa_kernel _ZL13mul_mat_vec_fIffLi7ELi224ELb0ELb0EEvPKT_PKfPKi31ggml_cuda_mm_fusion_args_devicePfi15HIP_vector_typeIjLj3EEiiiSA_iiiSA_iiii
		.amdhsa_group_segment_fixed_size 0
		.amdhsa_private_segment_fixed_size 0
		.amdhsa_kernarg_size 144
		.amdhsa_user_sgpr_count 6
		.amdhsa_user_sgpr_private_segment_buffer 1
		.amdhsa_user_sgpr_dispatch_ptr 0
		.amdhsa_user_sgpr_queue_ptr 0
		.amdhsa_user_sgpr_kernarg_segment_ptr 1
		.amdhsa_user_sgpr_dispatch_id 0
		.amdhsa_user_sgpr_flat_scratch_init 0
		.amdhsa_user_sgpr_private_segment_size 0
		.amdhsa_wavefront_size32 1
		.amdhsa_uses_dynamic_stack 0
		.amdhsa_system_sgpr_private_segment_wavefront_offset 0
		.amdhsa_system_sgpr_workgroup_id_x 1
		.amdhsa_system_sgpr_workgroup_id_y 1
		.amdhsa_system_sgpr_workgroup_id_z 1
		.amdhsa_system_sgpr_workgroup_info 0
		.amdhsa_system_vgpr_workitem_id 0
		.amdhsa_next_free_vgpr 30
		.amdhsa_next_free_sgpr 36
		.amdhsa_reserve_vcc 1
		.amdhsa_reserve_flat_scratch 0
		.amdhsa_float_round_mode_32 0
		.amdhsa_float_round_mode_16_64 0
		.amdhsa_float_denorm_mode_32 3
		.amdhsa_float_denorm_mode_16_64 3
		.amdhsa_dx10_clamp 1
		.amdhsa_ieee_mode 1
		.amdhsa_fp16_overflow 0
		.amdhsa_workgroup_processor_mode 1
		.amdhsa_memory_ordered 1
		.amdhsa_forward_progress 1
		.amdhsa_shared_vgpr_count 0
		.amdhsa_exception_fp_ieee_invalid_op 0
		.amdhsa_exception_fp_denorm_src 0
		.amdhsa_exception_fp_ieee_div_zero 0
		.amdhsa_exception_fp_ieee_overflow 0
		.amdhsa_exception_fp_ieee_underflow 0
		.amdhsa_exception_fp_ieee_inexact 0
		.amdhsa_exception_int_div_zero 0
	.end_amdhsa_kernel
	.section	.text._ZL13mul_mat_vec_fIffLi7ELi224ELb0ELb0EEvPKT_PKfPKi31ggml_cuda_mm_fusion_args_devicePfi15HIP_vector_typeIjLj3EEiiiSA_iiiSA_iiii,"axG",@progbits,_ZL13mul_mat_vec_fIffLi7ELi224ELb0ELb0EEvPKT_PKfPKi31ggml_cuda_mm_fusion_args_devicePfi15HIP_vector_typeIjLj3EEiiiSA_iiiSA_iiii,comdat
.Lfunc_end78:
	.size	_ZL13mul_mat_vec_fIffLi7ELi224ELb0ELb0EEvPKT_PKfPKi31ggml_cuda_mm_fusion_args_devicePfi15HIP_vector_typeIjLj3EEiiiSA_iiiSA_iiii, .Lfunc_end78-_ZL13mul_mat_vec_fIffLi7ELi224ELb0ELb0EEvPKT_PKfPKi31ggml_cuda_mm_fusion_args_devicePfi15HIP_vector_typeIjLj3EEiiiSA_iiiSA_iiii
                                        ; -- End function
	.set _ZL13mul_mat_vec_fIffLi7ELi224ELb0ELb0EEvPKT_PKfPKi31ggml_cuda_mm_fusion_args_devicePfi15HIP_vector_typeIjLj3EEiiiSA_iiiSA_iiii.num_vgpr, 30
	.set _ZL13mul_mat_vec_fIffLi7ELi224ELb0ELb0EEvPKT_PKfPKi31ggml_cuda_mm_fusion_args_devicePfi15HIP_vector_typeIjLj3EEiiiSA_iiiSA_iiii.num_agpr, 0
	.set _ZL13mul_mat_vec_fIffLi7ELi224ELb0ELb0EEvPKT_PKfPKi31ggml_cuda_mm_fusion_args_devicePfi15HIP_vector_typeIjLj3EEiiiSA_iiiSA_iiii.numbered_sgpr, 36
	.set _ZL13mul_mat_vec_fIffLi7ELi224ELb0ELb0EEvPKT_PKfPKi31ggml_cuda_mm_fusion_args_devicePfi15HIP_vector_typeIjLj3EEiiiSA_iiiSA_iiii.num_named_barrier, 0
	.set _ZL13mul_mat_vec_fIffLi7ELi224ELb0ELb0EEvPKT_PKfPKi31ggml_cuda_mm_fusion_args_devicePfi15HIP_vector_typeIjLj3EEiiiSA_iiiSA_iiii.private_seg_size, 0
	.set _ZL13mul_mat_vec_fIffLi7ELi224ELb0ELb0EEvPKT_PKfPKi31ggml_cuda_mm_fusion_args_devicePfi15HIP_vector_typeIjLj3EEiiiSA_iiiSA_iiii.uses_vcc, 1
	.set _ZL13mul_mat_vec_fIffLi7ELi224ELb0ELb0EEvPKT_PKfPKi31ggml_cuda_mm_fusion_args_devicePfi15HIP_vector_typeIjLj3EEiiiSA_iiiSA_iiii.uses_flat_scratch, 0
	.set _ZL13mul_mat_vec_fIffLi7ELi224ELb0ELb0EEvPKT_PKfPKi31ggml_cuda_mm_fusion_args_devicePfi15HIP_vector_typeIjLj3EEiiiSA_iiiSA_iiii.has_dyn_sized_stack, 0
	.set _ZL13mul_mat_vec_fIffLi7ELi224ELb0ELb0EEvPKT_PKfPKi31ggml_cuda_mm_fusion_args_devicePfi15HIP_vector_typeIjLj3EEiiiSA_iiiSA_iiii.has_recursion, 0
	.set _ZL13mul_mat_vec_fIffLi7ELi224ELb0ELb0EEvPKT_PKfPKi31ggml_cuda_mm_fusion_args_devicePfi15HIP_vector_typeIjLj3EEiiiSA_iiiSA_iiii.has_indirect_call, 0
	.section	.AMDGPU.csdata,"",@progbits
; Kernel info:
; codeLenInByte = 2788
; TotalNumSgprs: 38
; NumVgprs: 30
; ScratchSize: 0
; MemoryBound: 0
; FloatMode: 240
; IeeeMode: 1
; LDSByteSize: 0 bytes/workgroup (compile time only)
; SGPRBlocks: 0
; VGPRBlocks: 3
; NumSGPRsForWavesPerEU: 38
; NumVGPRsForWavesPerEU: 30
; Occupancy: 16
; WaveLimiterHint : 0
; COMPUTE_PGM_RSRC2:SCRATCH_EN: 0
; COMPUTE_PGM_RSRC2:USER_SGPR: 6
; COMPUTE_PGM_RSRC2:TRAP_HANDLER: 0
; COMPUTE_PGM_RSRC2:TGID_X_EN: 1
; COMPUTE_PGM_RSRC2:TGID_Y_EN: 1
; COMPUTE_PGM_RSRC2:TGID_Z_EN: 1
; COMPUTE_PGM_RSRC2:TIDIG_COMP_CNT: 0
	.section	.text._ZL13mul_mat_vec_fIffLi7ELi256ELb0ELb0EEvPKT_PKfPKi31ggml_cuda_mm_fusion_args_devicePfi15HIP_vector_typeIjLj3EEiiiSA_iiiSA_iiii,"axG",@progbits,_ZL13mul_mat_vec_fIffLi7ELi256ELb0ELb0EEvPKT_PKfPKi31ggml_cuda_mm_fusion_args_devicePfi15HIP_vector_typeIjLj3EEiiiSA_iiiSA_iiii,comdat
	.globl	_ZL13mul_mat_vec_fIffLi7ELi256ELb0ELb0EEvPKT_PKfPKi31ggml_cuda_mm_fusion_args_devicePfi15HIP_vector_typeIjLj3EEiiiSA_iiiSA_iiii ; -- Begin function _ZL13mul_mat_vec_fIffLi7ELi256ELb0ELb0EEvPKT_PKfPKi31ggml_cuda_mm_fusion_args_devicePfi15HIP_vector_typeIjLj3EEiiiSA_iiiSA_iiii
	.p2align	8
	.type	_ZL13mul_mat_vec_fIffLi7ELi256ELb0ELb0EEvPKT_PKfPKi31ggml_cuda_mm_fusion_args_devicePfi15HIP_vector_typeIjLj3EEiiiSA_iiiSA_iiii,@function
_ZL13mul_mat_vec_fIffLi7ELi256ELb0ELb0EEvPKT_PKfPKi31ggml_cuda_mm_fusion_args_devicePfi15HIP_vector_typeIjLj3EEiiiSA_iiiSA_iiii: ; @_ZL13mul_mat_vec_fIffLi7ELi256ELb0ELb0EEvPKT_PKfPKi31ggml_cuda_mm_fusion_args_devicePfi15HIP_vector_typeIjLj3EEiiiSA_iiiSA_iiii
; %bb.0:
	s_clause 0x2
	s_load_dwordx2 s[0:1], s[4:5], 0x10
	s_load_dwordx8 s[12:19], s[4:5], 0x40
	s_load_dwordx4 s[20:23], s[4:5], 0x80
	s_waitcnt lgkmcnt(0)
	s_cmp_eq_u64 s[0:1], 0
	s_cselect_b32 s10, -1, 0
	s_cmp_lg_u64 s[0:1], 0
	s_cselect_b32 s11, -1, 0
	s_and_b32 vcc_lo, exec_lo, s10
	s_cbranch_vccnz .LBB79_2
; %bb.1:
	s_mul_i32 s2, s23, s8
	s_mov_b32 s3, 0
	s_add_i32 s2, s2, s7
	s_lshl_b64 s[24:25], s[2:3], 2
	s_add_u32 s0, s0, s24
	s_addc_u32 s1, s1, s25
	s_load_dword s9, s[0:1], 0x0
	s_cbranch_execz .LBB79_3
	s_branch .LBB79_4
.LBB79_2:
                                        ; implicit-def: $sgpr9
.LBB79_3:
	s_load_dwordx2 s[0:1], s[4:5], 0x5c
	s_waitcnt lgkmcnt(0)
	s_mul_hi_u32 s0, s0, s7
	s_add_i32 s0, s7, s0
	s_lshr_b32 s9, s0, s1
.LBB79_4:
	s_load_dwordx4 s[24:27], s[4:5], 0x68
	s_andn2_b32 vcc_lo, exec_lo, s11
	s_mov_b32 s19, s7
	s_cbranch_vccnz .LBB79_6
; %bb.5:
	s_mul_hi_u32 s0, s13, s7
	s_add_i32 s0, s7, s0
	s_lshr_b32 s0, s0, s14
	s_mul_i32 s0, s0, s15
	s_sub_i32 s19, s7, s0
.LBB79_6:
	s_load_dword s14, s[4:5], 0x78
	v_cmp_gt_u32_e32 vcc_lo, 32, v0
	v_lshl_add_u32 v5, v0, 2, 0
	s_and_saveexec_b32 s0, vcc_lo
; %bb.7:
	v_mov_b32_e32 v1, 0
	ds_write_b32 v5, v1
; %bb.8:
	s_or_b32 exec_lo, exec_lo, s0
	v_mov_b32_e32 v6, 0
	v_mov_b32_e32 v7, 0
	;; [unrolled: 1-line block ×7, first 2 shown]
	s_and_b32 s0, exec_lo, s10
	s_mov_b32 s11, 0
	s_cselect_b32 s10, s8, 0
	s_mov_b32 s13, exec_lo
	s_waitcnt lgkmcnt(0)
	s_barrier
	buffer_gl0_inv
	v_cmpx_gt_i32_e64 s12, v0
	s_cbranch_execz .LBB79_12
; %bb.9:
	s_load_dwordx4 s[0:3], s[4:5], 0x0
	s_mul_hi_u32 s15, s27, s10
	s_mul_hi_i32 s29, s21, s10
	s_mul_i32 s28, s21, s10
	s_mul_i32 s8, s9, s24
	;; [unrolled: 1-line block ×4, first 2 shown]
	s_add_i32 s15, s10, s15
	s_lshl_b64 s[28:29], s[28:29], 2
	s_ashr_i32 s9, s8, 31
	s_ashr_i32 s25, s24, 31
	;; [unrolled: 1-line block ×3, first 2 shown]
	s_lshr_b32 s14, s15, s14
	v_lshlrev_b32_e32 v1, 3, v0
	s_mul_hi_i32 s21, s14, s20
	s_mul_i32 s20, s14, s20
	s_mov_b32 s34, s17
	v_mov_b32_e32 v11, 0
	v_mov_b32_e32 v13, v0
	;; [unrolled: 1-line block ×3, first 2 shown]
	s_waitcnt lgkmcnt(0)
	s_add_u32 s15, s2, s28
	s_addc_u32 s16, s3, s29
	s_lshl_b64 s[30:31], s[30:31], 2
	v_mov_b32_e32 v10, 0
	s_add_u32 s14, s15, s30
	s_addc_u32 s15, s16, s31
	s_lshl_b64 s[8:9], s[8:9], 2
	s_ashr_i32 s35, s17, 31
	s_add_i32 s16, s17, s17
	s_lshl_b32 s19, s17, 2
	s_lshl_b64 s[20:21], s[20:21], 2
	s_lshl_b64 s[24:25], s[24:25], 2
	s_add_u32 s0, s0, s8
	s_addc_u32 s1, s1, s9
	s_add_u32 s0, s0, s24
	s_addc_u32 s1, s1, s25
	;; [unrolled: 2-line block ×3, first 2 shown]
	v_add_co_u32 v2, s0, s0, v1
	s_lshl_b64 s[8:9], s[34:35], 3
	v_add_co_ci_u32_e64 v3, null, s1, 0, s0
	s_add_u32 s0, s2, s30
	s_addc_u32 s1, s3, s31
	s_add_u32 s0, s0, s28
	s_addc_u32 s1, s1, s29
	v_add_co_u32 v4, s0, s0, v1
	v_add_co_ci_u32_e64 v6, null, s1, 0, s0
	v_add_co_u32 v1, s0, v2, 4
	v_add_co_ci_u32_e64 v2, null, 0, v3, s0
	;; [unrolled: 2-line block ×3, first 2 shown]
	v_mov_b32_e32 v9, 0
	v_mov_b32_e32 v8, 0
	;; [unrolled: 1-line block ×4, first 2 shown]
	s_mul_i32 s1, s17, 3
	s_mul_i32 s2, s17, 5
	;; [unrolled: 1-line block ×3, first 2 shown]
.LBB79_10:                              ; =>This Inner Loop Header: Depth=1
	v_add_nc_u32_e32 v20, s16, v13
	v_add_nc_u32_e32 v22, s1, v13
	v_add_nc_u32_e32 v24, s19, v13
	v_add_nc_u32_e32 v26, s2, v13
	v_add_nc_u32_e32 v28, s3, v13
	v_ashrrev_i32_e32 v21, 31, v20
	v_ashrrev_i32_e32 v23, 31, v22
	;; [unrolled: 1-line block ×5, first 2 shown]
	v_lshlrev_b64 v[20:21], 3, v[20:21]
	v_lshlrev_b64 v[22:23], 3, v[22:23]
	v_add_co_u32 v18, s0, v3, s8
	v_lshlrev_b64 v[24:25], 3, v[24:25]
	v_add_co_ci_u32_e64 v19, null, s9, v4, s0
	v_lshlrev_b64 v[26:27], 3, v[26:27]
	v_add_co_u32 v20, s0, s14, v20
	v_lshlrev_b64 v[28:29], 3, v[28:29]
	v_add_co_ci_u32_e64 v21, null, s15, v21, s0
	v_add_co_u32 v22, s0, s14, v22
	v_add_co_ci_u32_e64 v23, null, s15, v23, s0
	v_add_co_u32 v24, s0, s14, v24
	;; [unrolled: 2-line block ×4, first 2 shown]
	v_add_co_ci_u32_e64 v29, null, s15, v29, s0
	global_load_dwordx2 v[14:15], v[1:2], off offset:-4
	s_clause 0x1
	global_load_dwordx2 v[16:17], v[3:4], off offset:-4
	global_load_dwordx2 v[18:19], v[18:19], off offset:-4
	s_clause 0x4
	global_load_dwordx2 v[20:21], v[20:21], off
	global_load_dwordx2 v[22:23], v[22:23], off
	;; [unrolled: 1-line block ×5, first 2 shown]
	v_add_nc_u32_e32 v13, 0x100, v13
	v_add_co_u32 v1, s0, 0x800, v1
	v_add_co_ci_u32_e64 v2, null, 0, v2, s0
	v_add_co_u32 v3, s0, 0x800, v3
	v_add_co_ci_u32_e64 v4, null, 0, v4, s0
	v_cmp_le_i32_e64 s0, s12, v13
	s_or_b32 s11, s0, s11
	s_waitcnt vmcnt(4)
	v_fmac_f32_e32 v10, v14, v20
	v_fmac_f32_e32 v11, v14, v16
	;; [unrolled: 1-line block ×3, first 2 shown]
	s_waitcnt vmcnt(3)
	v_fmac_f32_e32 v9, v14, v22
	s_waitcnt vmcnt(2)
	v_fmac_f32_e32 v8, v14, v24
	;; [unrolled: 2-line block ×4, first 2 shown]
	v_fmac_f32_e32 v11, v15, v17
	v_fmac_f32_e32 v12, v15, v19
	;; [unrolled: 1-line block ×7, first 2 shown]
	s_andn2_b32 exec_lo, exec_lo, s11
	s_cbranch_execnz .LBB79_10
; %bb.11:
	s_or_b32 exec_lo, exec_lo, s11
.LBB79_12:
	s_or_b32 exec_lo, exec_lo, s13
	v_mbcnt_lo_u32_b32 v2, -1, 0
	v_xor_b32_e32 v1, 16, v2
	v_xor_b32_e32 v3, 8, v2
	v_cmp_gt_i32_e64 s0, 32, v1
	v_cndmask_b32_e64 v1, v2, v1, s0
	v_cmp_gt_i32_e64 s0, 32, v3
	v_lshlrev_b32_e32 v1, 2, v1
	v_cndmask_b32_e64 v3, v2, v3, s0
	ds_bpermute_b32 v4, v1, v11
	v_lshlrev_b32_e32 v3, 2, v3
	s_waitcnt lgkmcnt(0)
	v_add_f32_e32 v11, v11, v4
	v_xor_b32_e32 v4, 4, v2
	ds_bpermute_b32 v13, v3, v11
	v_cmp_gt_i32_e64 s0, 32, v4
	v_cndmask_b32_e64 v4, v2, v4, s0
	v_lshlrev_b32_e32 v4, 2, v4
	s_waitcnt lgkmcnt(0)
	v_add_f32_e32 v13, v11, v13
	v_xor_b32_e32 v11, 2, v2
	ds_bpermute_b32 v14, v4, v13
	v_cmp_gt_i32_e64 s0, 32, v11
	v_cndmask_b32_e64 v11, v2, v11, s0
	;; [unrolled: 7-line block ×3, first 2 shown]
	v_lshlrev_b32_e32 v13, 2, v2
	s_waitcnt lgkmcnt(0)
	v_add_f32_e32 v2, v14, v15
	v_lshrrev_b32_e32 v14, 3, v0
	ds_bpermute_b32 v15, v13, v2
	v_and_b32_e32 v14, 0x7c, v14
	v_add_nc_u32_e32 v14, 0, v14
	s_waitcnt lgkmcnt(0)
	v_add_f32_e32 v2, v2, v15
	ds_write_b32 v14, v2
	s_waitcnt lgkmcnt(0)
	s_barrier
	buffer_gl0_inv
	s_and_saveexec_b32 s0, vcc_lo
	s_cbranch_execz .LBB79_14
; %bb.13:
	ds_read_b32 v2, v5
	s_waitcnt lgkmcnt(0)
	ds_bpermute_b32 v15, v1, v2
	s_waitcnt lgkmcnt(0)
	v_add_f32_e32 v2, v2, v15
	ds_bpermute_b32 v15, v3, v2
	s_waitcnt lgkmcnt(0)
	v_add_f32_e32 v2, v2, v15
	ds_bpermute_b32 v15, v4, v2
	s_waitcnt lgkmcnt(0)
	v_add_f32_e32 v2, v2, v15
	ds_bpermute_b32 v15, v11, v2
	s_waitcnt lgkmcnt(0)
	v_add_f32_e32 v2, v2, v15
	ds_bpermute_b32 v15, v13, v2
	s_waitcnt lgkmcnt(0)
	v_add_f32_e32 v2, v2, v15
.LBB79_14:
	s_or_b32 exec_lo, exec_lo, s0
	ds_bpermute_b32 v15, v1, v12
	s_waitcnt lgkmcnt(0)
	s_barrier
	buffer_gl0_inv
	v_add_f32_e32 v12, v12, v15
	ds_bpermute_b32 v15, v3, v12
	s_waitcnt lgkmcnt(0)
	v_add_f32_e32 v12, v12, v15
	ds_bpermute_b32 v15, v4, v12
	s_waitcnt lgkmcnt(0)
	v_add_f32_e32 v12, v12, v15
	ds_bpermute_b32 v15, v11, v12
	s_waitcnt lgkmcnt(0)
	v_add_f32_e32 v12, v12, v15
	ds_bpermute_b32 v15, v13, v12
	s_waitcnt lgkmcnt(0)
	v_add_f32_e32 v12, v12, v15
	ds_write_b32 v14, v12
	s_waitcnt lgkmcnt(0)
	s_barrier
	buffer_gl0_inv
	s_and_saveexec_b32 s0, vcc_lo
	s_cbranch_execz .LBB79_16
; %bb.15:
	ds_read_b32 v12, v5
	s_waitcnt lgkmcnt(0)
	ds_bpermute_b32 v15, v1, v12
	s_waitcnt lgkmcnt(0)
	v_add_f32_e32 v12, v12, v15
	ds_bpermute_b32 v15, v3, v12
	s_waitcnt lgkmcnt(0)
	v_add_f32_e32 v12, v12, v15
	ds_bpermute_b32 v15, v4, v12
	s_waitcnt lgkmcnt(0)
	v_add_f32_e32 v12, v12, v15
	ds_bpermute_b32 v15, v11, v12
	s_waitcnt lgkmcnt(0)
	v_add_f32_e32 v12, v12, v15
	ds_bpermute_b32 v15, v13, v12
	s_waitcnt lgkmcnt(0)
	v_add_f32_e32 v12, v12, v15
.LBB79_16:
	s_or_b32 exec_lo, exec_lo, s0
	ds_bpermute_b32 v15, v1, v10
	s_waitcnt lgkmcnt(0)
	s_barrier
	buffer_gl0_inv
	v_add_f32_e32 v10, v10, v15
	ds_bpermute_b32 v15, v3, v10
	s_waitcnt lgkmcnt(0)
	v_add_f32_e32 v10, v10, v15
	ds_bpermute_b32 v15, v4, v10
	s_waitcnt lgkmcnt(0)
	v_add_f32_e32 v10, v10, v15
	ds_bpermute_b32 v15, v11, v10
	s_waitcnt lgkmcnt(0)
	v_add_f32_e32 v10, v10, v15
	ds_bpermute_b32 v15, v13, v10
	s_waitcnt lgkmcnt(0)
	v_add_f32_e32 v10, v10, v15
	ds_write_b32 v14, v10
	s_waitcnt lgkmcnt(0)
	s_barrier
	buffer_gl0_inv
	s_and_saveexec_b32 s0, vcc_lo
	s_cbranch_execz .LBB79_18
; %bb.17:
	ds_read_b32 v10, v5
	s_waitcnt lgkmcnt(0)
	ds_bpermute_b32 v15, v1, v10
	s_waitcnt lgkmcnt(0)
	v_add_f32_e32 v10, v10, v15
	ds_bpermute_b32 v15, v3, v10
	s_waitcnt lgkmcnt(0)
	v_add_f32_e32 v10, v10, v15
	ds_bpermute_b32 v15, v4, v10
	s_waitcnt lgkmcnt(0)
	v_add_f32_e32 v10, v10, v15
	ds_bpermute_b32 v15, v11, v10
	s_waitcnt lgkmcnt(0)
	v_add_f32_e32 v10, v10, v15
	ds_bpermute_b32 v15, v13, v10
	s_waitcnt lgkmcnt(0)
	v_add_f32_e32 v10, v10, v15
.LBB79_18:
	s_or_b32 exec_lo, exec_lo, s0
	ds_bpermute_b32 v15, v1, v9
	s_waitcnt lgkmcnt(0)
	s_barrier
	buffer_gl0_inv
	v_add_f32_e32 v9, v9, v15
	ds_bpermute_b32 v15, v3, v9
	s_waitcnt lgkmcnt(0)
	v_add_f32_e32 v9, v9, v15
	ds_bpermute_b32 v15, v4, v9
	s_waitcnt lgkmcnt(0)
	v_add_f32_e32 v9, v9, v15
	ds_bpermute_b32 v15, v11, v9
	s_waitcnt lgkmcnt(0)
	v_add_f32_e32 v9, v9, v15
	ds_bpermute_b32 v15, v13, v9
	s_waitcnt lgkmcnt(0)
	v_add_f32_e32 v9, v9, v15
	ds_write_b32 v14, v9
	s_waitcnt lgkmcnt(0)
	s_barrier
	buffer_gl0_inv
	s_and_saveexec_b32 s0, vcc_lo
	s_cbranch_execz .LBB79_20
; %bb.19:
	ds_read_b32 v9, v5
	s_waitcnt lgkmcnt(0)
	ds_bpermute_b32 v15, v1, v9
	s_waitcnt lgkmcnt(0)
	v_add_f32_e32 v9, v9, v15
	ds_bpermute_b32 v15, v3, v9
	s_waitcnt lgkmcnt(0)
	v_add_f32_e32 v9, v9, v15
	ds_bpermute_b32 v15, v4, v9
	s_waitcnt lgkmcnt(0)
	v_add_f32_e32 v9, v9, v15
	ds_bpermute_b32 v15, v11, v9
	s_waitcnt lgkmcnt(0)
	v_add_f32_e32 v9, v9, v15
	ds_bpermute_b32 v15, v13, v9
	s_waitcnt lgkmcnt(0)
	v_add_f32_e32 v9, v9, v15
.LBB79_20:
	s_or_b32 exec_lo, exec_lo, s0
	ds_bpermute_b32 v15, v1, v8
	s_waitcnt lgkmcnt(0)
	s_barrier
	buffer_gl0_inv
	v_add_f32_e32 v8, v8, v15
	ds_bpermute_b32 v15, v3, v8
	s_waitcnt lgkmcnt(0)
	v_add_f32_e32 v8, v8, v15
	ds_bpermute_b32 v15, v4, v8
	s_waitcnt lgkmcnt(0)
	v_add_f32_e32 v8, v8, v15
	ds_bpermute_b32 v15, v11, v8
	s_waitcnt lgkmcnt(0)
	v_add_f32_e32 v8, v8, v15
	ds_bpermute_b32 v15, v13, v8
	s_waitcnt lgkmcnt(0)
	v_add_f32_e32 v8, v8, v15
	ds_write_b32 v14, v8
	s_waitcnt lgkmcnt(0)
	s_barrier
	buffer_gl0_inv
	s_and_saveexec_b32 s0, vcc_lo
	s_cbranch_execz .LBB79_22
; %bb.21:
	ds_read_b32 v8, v5
	s_waitcnt lgkmcnt(0)
	ds_bpermute_b32 v15, v1, v8
	s_waitcnt lgkmcnt(0)
	v_add_f32_e32 v8, v8, v15
	ds_bpermute_b32 v15, v3, v8
	s_waitcnt lgkmcnt(0)
	v_add_f32_e32 v8, v8, v15
	ds_bpermute_b32 v15, v4, v8
	s_waitcnt lgkmcnt(0)
	v_add_f32_e32 v8, v8, v15
	ds_bpermute_b32 v15, v11, v8
	s_waitcnt lgkmcnt(0)
	v_add_f32_e32 v8, v8, v15
	ds_bpermute_b32 v15, v13, v8
	s_waitcnt lgkmcnt(0)
	v_add_f32_e32 v8, v8, v15
.LBB79_22:
	s_or_b32 exec_lo, exec_lo, s0
	ds_bpermute_b32 v15, v1, v7
	s_waitcnt lgkmcnt(0)
	s_barrier
	buffer_gl0_inv
	v_add_f32_e32 v7, v7, v15
	ds_bpermute_b32 v15, v3, v7
	s_waitcnt lgkmcnt(0)
	v_add_f32_e32 v7, v7, v15
	ds_bpermute_b32 v15, v4, v7
	s_waitcnt lgkmcnt(0)
	v_add_f32_e32 v7, v7, v15
	ds_bpermute_b32 v15, v11, v7
	s_waitcnt lgkmcnt(0)
	v_add_f32_e32 v7, v7, v15
	ds_bpermute_b32 v15, v13, v7
	s_waitcnt lgkmcnt(0)
	v_add_f32_e32 v7, v7, v15
	ds_write_b32 v14, v7
	s_waitcnt lgkmcnt(0)
	s_barrier
	buffer_gl0_inv
	s_and_saveexec_b32 s0, vcc_lo
	s_cbranch_execz .LBB79_24
; %bb.23:
	ds_read_b32 v7, v5
	s_waitcnt lgkmcnt(0)
	ds_bpermute_b32 v15, v1, v7
	s_waitcnt lgkmcnt(0)
	v_add_f32_e32 v7, v7, v15
	ds_bpermute_b32 v15, v3, v7
	s_waitcnt lgkmcnt(0)
	v_add_f32_e32 v7, v7, v15
	ds_bpermute_b32 v15, v4, v7
	s_waitcnt lgkmcnt(0)
	v_add_f32_e32 v7, v7, v15
	ds_bpermute_b32 v15, v11, v7
	s_waitcnt lgkmcnt(0)
	v_add_f32_e32 v7, v7, v15
	ds_bpermute_b32 v15, v13, v7
	s_waitcnt lgkmcnt(0)
	v_add_f32_e32 v7, v7, v15
.LBB79_24:
	s_or_b32 exec_lo, exec_lo, s0
	ds_bpermute_b32 v15, v1, v6
	s_waitcnt lgkmcnt(0)
	s_barrier
	buffer_gl0_inv
	v_add_f32_e32 v6, v6, v15
	ds_bpermute_b32 v15, v3, v6
	s_waitcnt lgkmcnt(0)
	v_add_f32_e32 v6, v6, v15
	ds_bpermute_b32 v15, v4, v6
	s_waitcnt lgkmcnt(0)
	v_add_f32_e32 v6, v6, v15
	ds_bpermute_b32 v15, v11, v6
	s_waitcnt lgkmcnt(0)
	v_add_f32_e32 v6, v6, v15
	ds_bpermute_b32 v15, v13, v6
	s_waitcnt lgkmcnt(0)
	v_add_f32_e32 v6, v6, v15
	ds_write_b32 v14, v6
	s_waitcnt lgkmcnt(0)
	s_barrier
	buffer_gl0_inv
	s_and_saveexec_b32 s0, vcc_lo
	s_cbranch_execz .LBB79_26
; %bb.25:
	ds_read_b32 v5, v5
	s_waitcnt lgkmcnt(0)
	ds_bpermute_b32 v1, v1, v5
	s_waitcnt lgkmcnt(0)
	v_add_f32_e32 v1, v5, v1
	ds_bpermute_b32 v3, v3, v1
	s_waitcnt lgkmcnt(0)
	v_add_f32_e32 v1, v1, v3
	;; [unrolled: 3-line block ×5, first 2 shown]
.LBB79_26:
	s_or_b32 exec_lo, exec_lo, s0
	s_barrier
	buffer_gl0_inv
	s_mov_b32 s0, exec_lo
	v_cmpx_gt_u32_e32 7, v0
	s_cbranch_execz .LBB79_28
; %bb.27:
	v_cmp_eq_u32_e32 vcc_lo, 1, v0
	s_load_dwordx2 s[0:1], s[4:5], 0x38
	s_mul_hi_i32 s3, s22, s10
	s_mul_i32 s2, s22, s10
	s_mul_i32 s4, s26, s7
	v_cndmask_b32_e32 v1, v2, v12, vcc_lo
	v_cmp_eq_u32_e32 vcc_lo, 2, v0
	s_lshl_b64 s[2:3], s[2:3], 2
	s_ashr_i32 s5, s4, 31
	v_cndmask_b32_e32 v3, v1, v10, vcc_lo
	v_cmp_eq_u32_e32 vcc_lo, 3, v0
	v_mad_u64_u32 v[1:2], null, s18, v0, s[6:7]
	v_cndmask_b32_e32 v2, v3, v9, vcc_lo
	v_cmp_eq_u32_e32 vcc_lo, 4, v0
	s_waitcnt lgkmcnt(0)
	s_add_u32 s2, s0, s2
	s_addc_u32 s3, s1, s3
	v_cndmask_b32_e32 v3, v2, v8, vcc_lo
	v_ashrrev_i32_e32 v2, 31, v1
	v_cmp_eq_u32_e32 vcc_lo, 5, v0
	s_lshl_b64 s[0:1], s[4:5], 2
	s_add_u32 s0, s2, s0
	v_lshlrev_b64 v[1:2], 2, v[1:2]
	v_cndmask_b32_e32 v3, v3, v7, vcc_lo
	v_cmp_eq_u32_e32 vcc_lo, 6, v0
	s_addc_u32 s1, s3, s1
	v_cndmask_b32_e32 v3, v3, v6, vcc_lo
	v_add_co_u32 v0, vcc_lo, s0, v1
	v_add_co_ci_u32_e64 v1, null, s1, v2, vcc_lo
	global_store_dword v[0:1], v3, off
.LBB79_28:
	s_endpgm
	.section	.rodata,"a",@progbits
	.p2align	6, 0x0
	.amdhsa_kernel _ZL13mul_mat_vec_fIffLi7ELi256ELb0ELb0EEvPKT_PKfPKi31ggml_cuda_mm_fusion_args_devicePfi15HIP_vector_typeIjLj3EEiiiSA_iiiSA_iiii
		.amdhsa_group_segment_fixed_size 0
		.amdhsa_private_segment_fixed_size 0
		.amdhsa_kernarg_size 144
		.amdhsa_user_sgpr_count 6
		.amdhsa_user_sgpr_private_segment_buffer 1
		.amdhsa_user_sgpr_dispatch_ptr 0
		.amdhsa_user_sgpr_queue_ptr 0
		.amdhsa_user_sgpr_kernarg_segment_ptr 1
		.amdhsa_user_sgpr_dispatch_id 0
		.amdhsa_user_sgpr_flat_scratch_init 0
		.amdhsa_user_sgpr_private_segment_size 0
		.amdhsa_wavefront_size32 1
		.amdhsa_uses_dynamic_stack 0
		.amdhsa_system_sgpr_private_segment_wavefront_offset 0
		.amdhsa_system_sgpr_workgroup_id_x 1
		.amdhsa_system_sgpr_workgroup_id_y 1
		.amdhsa_system_sgpr_workgroup_id_z 1
		.amdhsa_system_sgpr_workgroup_info 0
		.amdhsa_system_vgpr_workitem_id 0
		.amdhsa_next_free_vgpr 30
		.amdhsa_next_free_sgpr 36
		.amdhsa_reserve_vcc 1
		.amdhsa_reserve_flat_scratch 0
		.amdhsa_float_round_mode_32 0
		.amdhsa_float_round_mode_16_64 0
		.amdhsa_float_denorm_mode_32 3
		.amdhsa_float_denorm_mode_16_64 3
		.amdhsa_dx10_clamp 1
		.amdhsa_ieee_mode 1
		.amdhsa_fp16_overflow 0
		.amdhsa_workgroup_processor_mode 1
		.amdhsa_memory_ordered 1
		.amdhsa_forward_progress 1
		.amdhsa_shared_vgpr_count 0
		.amdhsa_exception_fp_ieee_invalid_op 0
		.amdhsa_exception_fp_denorm_src 0
		.amdhsa_exception_fp_ieee_div_zero 0
		.amdhsa_exception_fp_ieee_overflow 0
		.amdhsa_exception_fp_ieee_underflow 0
		.amdhsa_exception_fp_ieee_inexact 0
		.amdhsa_exception_int_div_zero 0
	.end_amdhsa_kernel
	.section	.text._ZL13mul_mat_vec_fIffLi7ELi256ELb0ELb0EEvPKT_PKfPKi31ggml_cuda_mm_fusion_args_devicePfi15HIP_vector_typeIjLj3EEiiiSA_iiiSA_iiii,"axG",@progbits,_ZL13mul_mat_vec_fIffLi7ELi256ELb0ELb0EEvPKT_PKfPKi31ggml_cuda_mm_fusion_args_devicePfi15HIP_vector_typeIjLj3EEiiiSA_iiiSA_iiii,comdat
.Lfunc_end79:
	.size	_ZL13mul_mat_vec_fIffLi7ELi256ELb0ELb0EEvPKT_PKfPKi31ggml_cuda_mm_fusion_args_devicePfi15HIP_vector_typeIjLj3EEiiiSA_iiiSA_iiii, .Lfunc_end79-_ZL13mul_mat_vec_fIffLi7ELi256ELb0ELb0EEvPKT_PKfPKi31ggml_cuda_mm_fusion_args_devicePfi15HIP_vector_typeIjLj3EEiiiSA_iiiSA_iiii
                                        ; -- End function
	.set _ZL13mul_mat_vec_fIffLi7ELi256ELb0ELb0EEvPKT_PKfPKi31ggml_cuda_mm_fusion_args_devicePfi15HIP_vector_typeIjLj3EEiiiSA_iiiSA_iiii.num_vgpr, 30
	.set _ZL13mul_mat_vec_fIffLi7ELi256ELb0ELb0EEvPKT_PKfPKi31ggml_cuda_mm_fusion_args_devicePfi15HIP_vector_typeIjLj3EEiiiSA_iiiSA_iiii.num_agpr, 0
	.set _ZL13mul_mat_vec_fIffLi7ELi256ELb0ELb0EEvPKT_PKfPKi31ggml_cuda_mm_fusion_args_devicePfi15HIP_vector_typeIjLj3EEiiiSA_iiiSA_iiii.numbered_sgpr, 36
	.set _ZL13mul_mat_vec_fIffLi7ELi256ELb0ELb0EEvPKT_PKfPKi31ggml_cuda_mm_fusion_args_devicePfi15HIP_vector_typeIjLj3EEiiiSA_iiiSA_iiii.num_named_barrier, 0
	.set _ZL13mul_mat_vec_fIffLi7ELi256ELb0ELb0EEvPKT_PKfPKi31ggml_cuda_mm_fusion_args_devicePfi15HIP_vector_typeIjLj3EEiiiSA_iiiSA_iiii.private_seg_size, 0
	.set _ZL13mul_mat_vec_fIffLi7ELi256ELb0ELb0EEvPKT_PKfPKi31ggml_cuda_mm_fusion_args_devicePfi15HIP_vector_typeIjLj3EEiiiSA_iiiSA_iiii.uses_vcc, 1
	.set _ZL13mul_mat_vec_fIffLi7ELi256ELb0ELb0EEvPKT_PKfPKi31ggml_cuda_mm_fusion_args_devicePfi15HIP_vector_typeIjLj3EEiiiSA_iiiSA_iiii.uses_flat_scratch, 0
	.set _ZL13mul_mat_vec_fIffLi7ELi256ELb0ELb0EEvPKT_PKfPKi31ggml_cuda_mm_fusion_args_devicePfi15HIP_vector_typeIjLj3EEiiiSA_iiiSA_iiii.has_dyn_sized_stack, 0
	.set _ZL13mul_mat_vec_fIffLi7ELi256ELb0ELb0EEvPKT_PKfPKi31ggml_cuda_mm_fusion_args_devicePfi15HIP_vector_typeIjLj3EEiiiSA_iiiSA_iiii.has_recursion, 0
	.set _ZL13mul_mat_vec_fIffLi7ELi256ELb0ELb0EEvPKT_PKfPKi31ggml_cuda_mm_fusion_args_devicePfi15HIP_vector_typeIjLj3EEiiiSA_iiiSA_iiii.has_indirect_call, 0
	.section	.AMDGPU.csdata,"",@progbits
; Kernel info:
; codeLenInByte = 2788
; TotalNumSgprs: 38
; NumVgprs: 30
; ScratchSize: 0
; MemoryBound: 0
; FloatMode: 240
; IeeeMode: 1
; LDSByteSize: 0 bytes/workgroup (compile time only)
; SGPRBlocks: 0
; VGPRBlocks: 3
; NumSGPRsForWavesPerEU: 38
; NumVGPRsForWavesPerEU: 30
; Occupancy: 16
; WaveLimiterHint : 0
; COMPUTE_PGM_RSRC2:SCRATCH_EN: 0
; COMPUTE_PGM_RSRC2:USER_SGPR: 6
; COMPUTE_PGM_RSRC2:TRAP_HANDLER: 0
; COMPUTE_PGM_RSRC2:TGID_X_EN: 1
; COMPUTE_PGM_RSRC2:TGID_Y_EN: 1
; COMPUTE_PGM_RSRC2:TGID_Z_EN: 1
; COMPUTE_PGM_RSRC2:TIDIG_COMP_CNT: 0
	.section	.text._ZL13mul_mat_vec_fIffLi8ELi32ELb0ELb0EEvPKT_PKfPKi31ggml_cuda_mm_fusion_args_devicePfi15HIP_vector_typeIjLj3EEiiiSA_iiiSA_iiii,"axG",@progbits,_ZL13mul_mat_vec_fIffLi8ELi32ELb0ELb0EEvPKT_PKfPKi31ggml_cuda_mm_fusion_args_devicePfi15HIP_vector_typeIjLj3EEiiiSA_iiiSA_iiii,comdat
	.globl	_ZL13mul_mat_vec_fIffLi8ELi32ELb0ELb0EEvPKT_PKfPKi31ggml_cuda_mm_fusion_args_devicePfi15HIP_vector_typeIjLj3EEiiiSA_iiiSA_iiii ; -- Begin function _ZL13mul_mat_vec_fIffLi8ELi32ELb0ELb0EEvPKT_PKfPKi31ggml_cuda_mm_fusion_args_devicePfi15HIP_vector_typeIjLj3EEiiiSA_iiiSA_iiii
	.p2align	8
	.type	_ZL13mul_mat_vec_fIffLi8ELi32ELb0ELb0EEvPKT_PKfPKi31ggml_cuda_mm_fusion_args_devicePfi15HIP_vector_typeIjLj3EEiiiSA_iiiSA_iiii,@function
_ZL13mul_mat_vec_fIffLi8ELi32ELb0ELb0EEvPKT_PKfPKi31ggml_cuda_mm_fusion_args_devicePfi15HIP_vector_typeIjLj3EEiiiSA_iiiSA_iiii: ; @_ZL13mul_mat_vec_fIffLi8ELi32ELb0ELb0EEvPKT_PKfPKi31ggml_cuda_mm_fusion_args_devicePfi15HIP_vector_typeIjLj3EEiiiSA_iiiSA_iiii
; %bb.0:
	s_clause 0x2
	s_load_dwordx2 s[20:21], s[4:5], 0x10
	s_load_dwordx8 s[12:19], s[4:5], 0x40
	s_load_dwordx4 s[0:3], s[4:5], 0x80
	s_waitcnt lgkmcnt(0)
	s_cmp_eq_u64 s[20:21], 0
	s_cselect_b32 s9, -1, 0
	s_cmp_lg_u64 s[20:21], 0
	s_cselect_b32 s25, -1, 0
	s_and_b32 vcc_lo, exec_lo, s9
	s_cbranch_vccnz .LBB80_2
; %bb.1:
	s_mul_i32 s3, s3, s8
	s_mov_b32 s11, 0
	s_add_i32 s10, s3, s7
	s_lshl_b64 s[22:23], s[10:11], 2
	s_add_u32 s20, s20, s22
	s_addc_u32 s21, s21, s23
	s_load_dword s24, s[20:21], 0x0
	s_load_dwordx4 s[20:23], s[4:5], 0x68
	s_cbranch_execz .LBB80_3
	s_branch .LBB80_4
.LBB80_2:
                                        ; implicit-def: $sgpr24
	s_load_dwordx4 s[20:23], s[4:5], 0x68
.LBB80_3:
	s_load_dwordx2 s[10:11], s[4:5], 0x5c
	s_waitcnt lgkmcnt(0)
	s_mul_hi_u32 s3, s10, s7
	s_add_i32 s3, s7, s3
	s_lshr_b32 s24, s3, s11
.LBB80_4:
	s_load_dword s19, s[4:5], 0x78
	s_andn2_b32 vcc_lo, exec_lo, s25
	s_mov_b32 s25, s7
	s_cbranch_vccnz .LBB80_6
; %bb.5:
	s_mul_hi_u32 s3, s13, s7
	s_add_i32 s3, s7, s3
	s_lshr_b32 s3, s3, s14
	s_mul_i32 s3, s3, s15
	s_sub_i32 s25, s7, s3
.LBB80_6:
	v_mov_b32_e32 v6, 0
	v_mov_b32_e32 v7, 0
	v_mov_b32_e32 v8, 0
	v_mov_b32_e32 v9, 0
	v_mov_b32_e32 v10, 0
	v_mov_b32_e32 v11, 0
	v_mov_b32_e32 v12, 0
	v_mov_b32_e32 v5, 0
	s_and_b32 s3, exec_lo, s9
	s_mov_b32 s14, 0
	s_cselect_b32 s3, s8, 0
	s_mov_b32 s13, exec_lo
	v_cmpx_gt_i32_e64 s12, v0
	s_cbranch_execz .LBB80_10
; %bb.7:
	s_load_dwordx4 s[8:11], s[4:5], 0x0
	s_waitcnt lgkmcnt(0)
	s_mul_hi_u32 s23, s23, s3
	s_mul_hi_i32 s29, s1, s3
	s_mul_i32 s28, s1, s3
	s_mul_i32 s24, s24, s20
	;; [unrolled: 1-line block ×4, first 2 shown]
	s_add_i32 s1, s3, s23
	s_lshl_b64 s[28:29], s[28:29], 2
	s_ashr_i32 s25, s24, 31
	s_ashr_i32 s27, s26, 31
	;; [unrolled: 1-line block ×3, first 2 shown]
	s_lshr_b32 s16, s1, s19
	v_lshlrev_b32_e32 v1, 3, v0
	s_mul_hi_i32 s1, s16, s0
	s_mul_i32 s0, s16, s0
	s_mov_b32 s30, s17
	v_mov_b32_e32 v5, 0
	v_mov_b32_e32 v13, v0
	;; [unrolled: 1-line block ×3, first 2 shown]
	s_add_u32 s19, s10, s28
	s_addc_u32 s23, s11, s29
	s_lshl_b64 s[34:35], s[20:21], 2
	v_mov_b32_e32 v11, 0
	s_add_u32 s16, s19, s34
	s_addc_u32 s19, s23, s35
	s_lshl_b64 s[24:25], s[24:25], 2
	s_ashr_i32 s31, s17, 31
	s_add_i32 s20, s17, s17
	s_lshl_b32 s21, s17, 2
	s_lshl_b64 s[0:1], s[0:1], 2
	s_lshl_b64 s[26:27], s[26:27], 2
	s_add_u32 s8, s8, s24
	s_addc_u32 s9, s9, s25
	s_add_u32 s8, s8, s26
	s_addc_u32 s9, s9, s27
	;; [unrolled: 2-line block ×3, first 2 shown]
	v_add_co_u32 v2, s0, s0, v1
	v_add_co_ci_u32_e64 v3, null, s1, 0, s0
	s_lshl_b64 s[0:1], s[30:31], 3
	s_add_u32 s8, s10, s34
	s_addc_u32 s9, s11, s35
	s_add_u32 s8, s8, s28
	s_addc_u32 s9, s9, s29
	v_add_co_u32 v4, s8, s8, v1
	v_add_co_ci_u32_e64 v6, null, s9, 0, s8
	v_add_co_u32 v1, vcc_lo, v2, 4
	v_add_co_ci_u32_e64 v2, null, 0, v3, vcc_lo
	v_add_co_u32 v3, vcc_lo, v4, 4
	v_add_co_ci_u32_e64 v4, null, 0, v6, vcc_lo
	v_mov_b32_e32 v10, 0
	v_mov_b32_e32 v9, 0
	v_mov_b32_e32 v8, 0
	v_mov_b32_e32 v7, 0
	v_mov_b32_e32 v6, 0
	s_mul_i32 s15, s17, 3
	s_mul_i32 s8, s17, 5
	;; [unrolled: 1-line block ×4, first 2 shown]
.LBB80_8:                               ; =>This Inner Loop Header: Depth=1
	v_add_nc_u32_e32 v20, s20, v13
	v_add_nc_u32_e32 v22, s15, v13
	;; [unrolled: 1-line block ×5, first 2 shown]
	v_ashrrev_i32_e32 v21, 31, v20
	v_ashrrev_i32_e32 v23, 31, v22
	;; [unrolled: 1-line block ×3, first 2 shown]
	v_add_nc_u32_e32 v30, s10, v13
	v_ashrrev_i32_e32 v27, 31, v26
	v_lshlrev_b64 v[20:21], 3, v[20:21]
	v_lshlrev_b64 v[22:23], 3, v[22:23]
	v_ashrrev_i32_e32 v29, 31, v28
	v_add_co_u32 v18, vcc_lo, v3, s0
	v_lshlrev_b64 v[24:25], 3, v[24:25]
	v_ashrrev_i32_e32 v31, 31, v30
	v_add_co_ci_u32_e64 v19, null, s1, v4, vcc_lo
	v_lshlrev_b64 v[26:27], 3, v[26:27]
	v_add_co_u32 v20, vcc_lo, s16, v20
	v_lshlrev_b64 v[28:29], 3, v[28:29]
	v_add_co_ci_u32_e64 v21, null, s19, v21, vcc_lo
	v_add_co_u32 v22, vcc_lo, s16, v22
	v_lshlrev_b64 v[30:31], 3, v[30:31]
	v_add_co_ci_u32_e64 v23, null, s19, v23, vcc_lo
	v_add_co_u32 v24, vcc_lo, s16, v24
	v_add_co_ci_u32_e64 v25, null, s19, v25, vcc_lo
	v_add_co_u32 v26, vcc_lo, s16, v26
	;; [unrolled: 2-line block ×4, first 2 shown]
	v_add_co_ci_u32_e64 v31, null, s19, v31, vcc_lo
	global_load_dwordx2 v[14:15], v[1:2], off offset:-4
	s_clause 0x1
	global_load_dwordx2 v[16:17], v[3:4], off offset:-4
	global_load_dwordx2 v[18:19], v[18:19], off offset:-4
	s_clause 0x5
	global_load_dwordx2 v[20:21], v[20:21], off
	global_load_dwordx2 v[22:23], v[22:23], off
	;; [unrolled: 1-line block ×6, first 2 shown]
	v_add_nc_u32_e32 v13, 32, v13
	v_add_co_u32 v1, vcc_lo, 0x100, v1
	v_add_co_ci_u32_e64 v2, null, 0, v2, vcc_lo
	v_add_co_u32 v3, vcc_lo, 0x100, v3
	v_add_co_ci_u32_e64 v4, null, 0, v4, vcc_lo
	v_cmp_le_i32_e32 vcc_lo, s12, v13
	s_or_b32 s14, vcc_lo, s14
	s_waitcnt vmcnt(5)
	v_fmac_f32_e32 v11, v14, v20
	v_fmac_f32_e32 v5, v14, v16
	;; [unrolled: 1-line block ×3, first 2 shown]
	s_waitcnt vmcnt(4)
	v_fmac_f32_e32 v10, v14, v22
	s_waitcnt vmcnt(3)
	v_fmac_f32_e32 v9, v14, v24
	;; [unrolled: 2-line block ×5, first 2 shown]
	v_fmac_f32_e32 v5, v15, v17
	v_fmac_f32_e32 v12, v15, v19
	;; [unrolled: 1-line block ×8, first 2 shown]
	s_andn2_b32 exec_lo, exec_lo, s14
	s_cbranch_execnz .LBB80_8
; %bb.9:
	s_or_b32 exec_lo, exec_lo, s14
.LBB80_10:
	s_or_b32 exec_lo, exec_lo, s13
	v_mbcnt_lo_u32_b32 v1, -1, 0
	s_mov_b32 s0, exec_lo
	v_xor_b32_e32 v2, 16, v1
	v_xor_b32_e32 v18, 8, v1
	v_cmp_gt_i32_e32 vcc_lo, 32, v2
	v_cndmask_b32_e32 v2, v1, v2, vcc_lo
	v_cmp_gt_i32_e32 vcc_lo, 32, v18
	v_lshlrev_b32_e32 v2, 2, v2
	v_cndmask_b32_e32 v18, v1, v18, vcc_lo
	ds_bpermute_b32 v3, v2, v5
	ds_bpermute_b32 v4, v2, v12
	;; [unrolled: 1-line block ×8, first 2 shown]
	v_lshlrev_b32_e32 v18, 2, v18
	s_waitcnt lgkmcnt(0)
	v_add_f32_e32 v3, v5, v3
	v_add_f32_e32 v4, v12, v4
	;; [unrolled: 1-line block ×8, first 2 shown]
	ds_bpermute_b32 v6, v18, v3
	ds_bpermute_b32 v11, v18, v4
	ds_bpermute_b32 v12, v18, v5
	ds_bpermute_b32 v13, v18, v10
	ds_bpermute_b32 v14, v18, v9
	ds_bpermute_b32 v15, v18, v8
	ds_bpermute_b32 v16, v18, v7
	ds_bpermute_b32 v17, v18, v2
	v_xor_b32_e32 v18, 4, v1
	v_cmp_gt_i32_e32 vcc_lo, 32, v18
	v_cndmask_b32_e32 v18, v1, v18, vcc_lo
	s_waitcnt lgkmcnt(7)
	v_add_f32_e32 v3, v3, v6
	s_waitcnt lgkmcnt(6)
	v_add_f32_e32 v4, v4, v11
	s_waitcnt lgkmcnt(5)
	v_add_f32_e32 v5, v5, v12
	v_lshlrev_b32_e32 v18, 2, v18
	s_waitcnt lgkmcnt(4)
	v_add_f32_e32 v6, v10, v13
	s_waitcnt lgkmcnt(3)
	v_add_f32_e32 v9, v9, v14
	s_waitcnt lgkmcnt(2)
	v_add_f32_e32 v8, v8, v15
	s_waitcnt lgkmcnt(1)
	v_add_f32_e32 v7, v7, v16
	s_waitcnt lgkmcnt(0)
	v_add_f32_e32 v2, v2, v17
	ds_bpermute_b32 v10, v18, v3
	ds_bpermute_b32 v11, v18, v4
	ds_bpermute_b32 v12, v18, v5
	ds_bpermute_b32 v13, v18, v6
	ds_bpermute_b32 v14, v18, v9
	ds_bpermute_b32 v15, v18, v8
	ds_bpermute_b32 v16, v18, v7
	ds_bpermute_b32 v17, v18, v2
	v_xor_b32_e32 v18, 2, v1
	v_cmp_gt_i32_e32 vcc_lo, 32, v18
	v_cndmask_b32_e32 v18, v1, v18, vcc_lo
	s_waitcnt lgkmcnt(7)
	v_add_f32_e32 v3, v3, v10
	s_waitcnt lgkmcnt(6)
	v_add_f32_e32 v4, v4, v11
	s_waitcnt lgkmcnt(5)
	v_add_f32_e32 v5, v5, v12
	v_lshlrev_b32_e32 v18, 2, v18
	s_waitcnt lgkmcnt(4)
	v_add_f32_e32 v6, v6, v13
	s_waitcnt lgkmcnt(3)
	v_add_f32_e32 v9, v9, v14
	s_waitcnt lgkmcnt(2)
	v_add_f32_e32 v8, v8, v15
	s_waitcnt lgkmcnt(1)
	v_add_f32_e32 v10, v7, v16
	s_waitcnt lgkmcnt(0)
	v_add_f32_e32 v14, v2, v17
	;; [unrolled: 28-line block ×3, first 2 shown]
	ds_bpermute_b32 v15, v20, v12
	ds_bpermute_b32 v16, v20, v13
	;; [unrolled: 1-line block ×8, first 2 shown]
	v_cmpx_gt_u32_e32 8, v0
	s_cbranch_execz .LBB80_12
; %bb.11:
	s_waitcnt lgkmcnt(7)
	v_add_f32_e32 v12, v12, v15
	s_waitcnt lgkmcnt(6)
	v_add_f32_e32 v13, v13, v16
	v_cmp_eq_u32_e32 vcc_lo, 1, v0
	s_waitcnt lgkmcnt(5)
	v_add_f32_e32 v11, v11, v14
	s_waitcnt lgkmcnt(4)
	v_add_f32_e32 v7, v7, v10
	s_load_dwordx2 s[0:1], s[4:5], 0x38
	s_waitcnt lgkmcnt(0)
	v_add_f32_e32 v9, v6, v9
	v_cndmask_b32_e32 v12, v12, v13, vcc_lo
	v_cmp_eq_u32_e32 vcc_lo, 2, v0
	v_add_f32_e32 v8, v5, v8
	v_mad_u64_u32 v[5:6], null, s18, v0, s[6:7]
	v_add_f32_e32 v2, v2, v4
	v_cndmask_b32_e32 v10, v12, v11, vcc_lo
	v_cmp_eq_u32_e32 vcc_lo, 3, v0
	s_mul_hi_i32 s5, s2, s3
	s_mul_i32 s4, s2, s3
	s_mul_i32 s2, s22, s7
	s_lshl_b64 s[4:5], s[4:5], 2
	v_cndmask_b32_e32 v7, v10, v7, vcc_lo
	v_cmp_eq_u32_e32 vcc_lo, 4, v0
	s_ashr_i32 s3, s2, 31
	v_add_f32_e32 v3, v1, v3
	v_cndmask_b32_e32 v6, v7, v9, vcc_lo
	v_cmp_eq_u32_e32 vcc_lo, 5, v0
	s_add_u32 s4, s0, s4
	s_addc_u32 s5, s1, s5
	s_lshl_b64 s[0:1], s[2:3], 2
	v_cndmask_b32_e32 v4, v6, v8, vcc_lo
	v_ashrrev_i32_e32 v6, 31, v5
	v_cmp_eq_u32_e32 vcc_lo, 6, v0
	s_add_u32 s0, s4, s0
	s_addc_u32 s1, s5, s1
	v_cndmask_b32_e32 v4, v4, v2, vcc_lo
	v_lshlrev_b64 v[1:2], 2, v[5:6]
	v_cmp_eq_u32_e32 vcc_lo, 7, v0
	v_cndmask_b32_e32 v3, v4, v3, vcc_lo
	v_add_co_u32 v0, vcc_lo, s0, v1
	v_add_co_ci_u32_e64 v1, null, s1, v2, vcc_lo
	global_store_dword v[0:1], v3, off
.LBB80_12:
	s_endpgm
	.section	.rodata,"a",@progbits
	.p2align	6, 0x0
	.amdhsa_kernel _ZL13mul_mat_vec_fIffLi8ELi32ELb0ELb0EEvPKT_PKfPKi31ggml_cuda_mm_fusion_args_devicePfi15HIP_vector_typeIjLj3EEiiiSA_iiiSA_iiii
		.amdhsa_group_segment_fixed_size 0
		.amdhsa_private_segment_fixed_size 0
		.amdhsa_kernarg_size 144
		.amdhsa_user_sgpr_count 6
		.amdhsa_user_sgpr_private_segment_buffer 1
		.amdhsa_user_sgpr_dispatch_ptr 0
		.amdhsa_user_sgpr_queue_ptr 0
		.amdhsa_user_sgpr_kernarg_segment_ptr 1
		.amdhsa_user_sgpr_dispatch_id 0
		.amdhsa_user_sgpr_flat_scratch_init 0
		.amdhsa_user_sgpr_private_segment_size 0
		.amdhsa_wavefront_size32 1
		.amdhsa_uses_dynamic_stack 0
		.amdhsa_system_sgpr_private_segment_wavefront_offset 0
		.amdhsa_system_sgpr_workgroup_id_x 1
		.amdhsa_system_sgpr_workgroup_id_y 1
		.amdhsa_system_sgpr_workgroup_id_z 1
		.amdhsa_system_sgpr_workgroup_info 0
		.amdhsa_system_vgpr_workitem_id 0
		.amdhsa_next_free_vgpr 32
		.amdhsa_next_free_sgpr 36
		.amdhsa_reserve_vcc 1
		.amdhsa_reserve_flat_scratch 0
		.amdhsa_float_round_mode_32 0
		.amdhsa_float_round_mode_16_64 0
		.amdhsa_float_denorm_mode_32 3
		.amdhsa_float_denorm_mode_16_64 3
		.amdhsa_dx10_clamp 1
		.amdhsa_ieee_mode 1
		.amdhsa_fp16_overflow 0
		.amdhsa_workgroup_processor_mode 1
		.amdhsa_memory_ordered 1
		.amdhsa_forward_progress 1
		.amdhsa_shared_vgpr_count 0
		.amdhsa_exception_fp_ieee_invalid_op 0
		.amdhsa_exception_fp_denorm_src 0
		.amdhsa_exception_fp_ieee_div_zero 0
		.amdhsa_exception_fp_ieee_overflow 0
		.amdhsa_exception_fp_ieee_underflow 0
		.amdhsa_exception_fp_ieee_inexact 0
		.amdhsa_exception_int_div_zero 0
	.end_amdhsa_kernel
	.section	.text._ZL13mul_mat_vec_fIffLi8ELi32ELb0ELb0EEvPKT_PKfPKi31ggml_cuda_mm_fusion_args_devicePfi15HIP_vector_typeIjLj3EEiiiSA_iiiSA_iiii,"axG",@progbits,_ZL13mul_mat_vec_fIffLi8ELi32ELb0ELb0EEvPKT_PKfPKi31ggml_cuda_mm_fusion_args_devicePfi15HIP_vector_typeIjLj3EEiiiSA_iiiSA_iiii,comdat
.Lfunc_end80:
	.size	_ZL13mul_mat_vec_fIffLi8ELi32ELb0ELb0EEvPKT_PKfPKi31ggml_cuda_mm_fusion_args_devicePfi15HIP_vector_typeIjLj3EEiiiSA_iiiSA_iiii, .Lfunc_end80-_ZL13mul_mat_vec_fIffLi8ELi32ELb0ELb0EEvPKT_PKfPKi31ggml_cuda_mm_fusion_args_devicePfi15HIP_vector_typeIjLj3EEiiiSA_iiiSA_iiii
                                        ; -- End function
	.set _ZL13mul_mat_vec_fIffLi8ELi32ELb0ELb0EEvPKT_PKfPKi31ggml_cuda_mm_fusion_args_devicePfi15HIP_vector_typeIjLj3EEiiiSA_iiiSA_iiii.num_vgpr, 32
	.set _ZL13mul_mat_vec_fIffLi8ELi32ELb0ELb0EEvPKT_PKfPKi31ggml_cuda_mm_fusion_args_devicePfi15HIP_vector_typeIjLj3EEiiiSA_iiiSA_iiii.num_agpr, 0
	.set _ZL13mul_mat_vec_fIffLi8ELi32ELb0ELb0EEvPKT_PKfPKi31ggml_cuda_mm_fusion_args_devicePfi15HIP_vector_typeIjLj3EEiiiSA_iiiSA_iiii.numbered_sgpr, 36
	.set _ZL13mul_mat_vec_fIffLi8ELi32ELb0ELb0EEvPKT_PKfPKi31ggml_cuda_mm_fusion_args_devicePfi15HIP_vector_typeIjLj3EEiiiSA_iiiSA_iiii.num_named_barrier, 0
	.set _ZL13mul_mat_vec_fIffLi8ELi32ELb0ELb0EEvPKT_PKfPKi31ggml_cuda_mm_fusion_args_devicePfi15HIP_vector_typeIjLj3EEiiiSA_iiiSA_iiii.private_seg_size, 0
	.set _ZL13mul_mat_vec_fIffLi8ELi32ELb0ELb0EEvPKT_PKfPKi31ggml_cuda_mm_fusion_args_devicePfi15HIP_vector_typeIjLj3EEiiiSA_iiiSA_iiii.uses_vcc, 1
	.set _ZL13mul_mat_vec_fIffLi8ELi32ELb0ELb0EEvPKT_PKfPKi31ggml_cuda_mm_fusion_args_devicePfi15HIP_vector_typeIjLj3EEiiiSA_iiiSA_iiii.uses_flat_scratch, 0
	.set _ZL13mul_mat_vec_fIffLi8ELi32ELb0ELb0EEvPKT_PKfPKi31ggml_cuda_mm_fusion_args_devicePfi15HIP_vector_typeIjLj3EEiiiSA_iiiSA_iiii.has_dyn_sized_stack, 0
	.set _ZL13mul_mat_vec_fIffLi8ELi32ELb0ELb0EEvPKT_PKfPKi31ggml_cuda_mm_fusion_args_devicePfi15HIP_vector_typeIjLj3EEiiiSA_iiiSA_iiii.has_recursion, 0
	.set _ZL13mul_mat_vec_fIffLi8ELi32ELb0ELb0EEvPKT_PKfPKi31ggml_cuda_mm_fusion_args_devicePfi15HIP_vector_typeIjLj3EEiiiSA_iiiSA_iiii.has_indirect_call, 0
	.section	.AMDGPU.csdata,"",@progbits
; Kernel info:
; codeLenInByte = 1812
; TotalNumSgprs: 38
; NumVgprs: 32
; ScratchSize: 0
; MemoryBound: 0
; FloatMode: 240
; IeeeMode: 1
; LDSByteSize: 0 bytes/workgroup (compile time only)
; SGPRBlocks: 0
; VGPRBlocks: 3
; NumSGPRsForWavesPerEU: 38
; NumVGPRsForWavesPerEU: 32
; Occupancy: 16
; WaveLimiterHint : 0
; COMPUTE_PGM_RSRC2:SCRATCH_EN: 0
; COMPUTE_PGM_RSRC2:USER_SGPR: 6
; COMPUTE_PGM_RSRC2:TRAP_HANDLER: 0
; COMPUTE_PGM_RSRC2:TGID_X_EN: 1
; COMPUTE_PGM_RSRC2:TGID_Y_EN: 1
; COMPUTE_PGM_RSRC2:TGID_Z_EN: 1
; COMPUTE_PGM_RSRC2:TIDIG_COMP_CNT: 0
	.section	.text._ZL13mul_mat_vec_fIffLi8ELi64ELb0ELb0EEvPKT_PKfPKi31ggml_cuda_mm_fusion_args_devicePfi15HIP_vector_typeIjLj3EEiiiSA_iiiSA_iiii,"axG",@progbits,_ZL13mul_mat_vec_fIffLi8ELi64ELb0ELb0EEvPKT_PKfPKi31ggml_cuda_mm_fusion_args_devicePfi15HIP_vector_typeIjLj3EEiiiSA_iiiSA_iiii,comdat
	.globl	_ZL13mul_mat_vec_fIffLi8ELi64ELb0ELb0EEvPKT_PKfPKi31ggml_cuda_mm_fusion_args_devicePfi15HIP_vector_typeIjLj3EEiiiSA_iiiSA_iiii ; -- Begin function _ZL13mul_mat_vec_fIffLi8ELi64ELb0ELb0EEvPKT_PKfPKi31ggml_cuda_mm_fusion_args_devicePfi15HIP_vector_typeIjLj3EEiiiSA_iiiSA_iiii
	.p2align	8
	.type	_ZL13mul_mat_vec_fIffLi8ELi64ELb0ELb0EEvPKT_PKfPKi31ggml_cuda_mm_fusion_args_devicePfi15HIP_vector_typeIjLj3EEiiiSA_iiiSA_iiii,@function
_ZL13mul_mat_vec_fIffLi8ELi64ELb0ELb0EEvPKT_PKfPKi31ggml_cuda_mm_fusion_args_devicePfi15HIP_vector_typeIjLj3EEiiiSA_iiiSA_iiii: ; @_ZL13mul_mat_vec_fIffLi8ELi64ELb0ELb0EEvPKT_PKfPKi31ggml_cuda_mm_fusion_args_devicePfi15HIP_vector_typeIjLj3EEiiiSA_iiiSA_iiii
; %bb.0:
	s_clause 0x2
	s_load_dwordx2 s[0:1], s[4:5], 0x10
	s_load_dwordx8 s[12:19], s[4:5], 0x40
	s_load_dwordx4 s[20:23], s[4:5], 0x80
	s_waitcnt lgkmcnt(0)
	s_cmp_eq_u64 s[0:1], 0
	s_cselect_b32 s10, -1, 0
	s_cmp_lg_u64 s[0:1], 0
	s_cselect_b32 s11, -1, 0
	s_and_b32 vcc_lo, exec_lo, s10
	s_cbranch_vccnz .LBB81_2
; %bb.1:
	s_mul_i32 s2, s23, s8
	s_mov_b32 s3, 0
	s_add_i32 s2, s2, s7
	s_lshl_b64 s[24:25], s[2:3], 2
	s_add_u32 s0, s0, s24
	s_addc_u32 s1, s1, s25
	s_load_dword s9, s[0:1], 0x0
	s_cbranch_execz .LBB81_3
	s_branch .LBB81_4
.LBB81_2:
                                        ; implicit-def: $sgpr9
.LBB81_3:
	s_load_dwordx2 s[0:1], s[4:5], 0x5c
	s_waitcnt lgkmcnt(0)
	s_mul_hi_u32 s0, s0, s7
	s_add_i32 s0, s7, s0
	s_lshr_b32 s9, s0, s1
.LBB81_4:
	s_load_dwordx4 s[24:27], s[4:5], 0x68
	s_andn2_b32 vcc_lo, exec_lo, s11
	s_mov_b32 s19, s7
	s_cbranch_vccnz .LBB81_6
; %bb.5:
	s_mul_hi_u32 s0, s13, s7
	s_add_i32 s0, s7, s0
	s_lshr_b32 s0, s0, s14
	s_mul_i32 s0, s0, s15
	s_sub_i32 s19, s7, s0
.LBB81_6:
	s_load_dword s15, s[4:5], 0x78
	v_cmp_gt_u32_e32 vcc_lo, 32, v0
	v_lshl_add_u32 v5, v0, 2, 0
	s_and_saveexec_b32 s0, vcc_lo
; %bb.7:
	v_mov_b32_e32 v1, 0
	ds_write_b32 v5, v1
; %bb.8:
	s_or_b32 exec_lo, exec_lo, s0
	v_mov_b32_e32 v6, 0
	v_mov_b32_e32 v7, 0
	;; [unrolled: 1-line block ×8, first 2 shown]
	s_and_b32 s0, exec_lo, s10
	s_mov_b32 s11, 0
	s_cselect_b32 s10, s8, 0
	s_mov_b32 s13, exec_lo
	s_waitcnt lgkmcnt(0)
	s_barrier
	buffer_gl0_inv
	v_cmpx_gt_i32_e64 s12, v0
	s_cbranch_execz .LBB81_12
; %bb.9:
	s_load_dwordx4 s[0:3], s[4:5], 0x0
	s_mul_hi_u32 s23, s27, s10
	s_mul_hi_i32 s29, s21, s10
	s_mul_i32 s28, s21, s10
	s_mul_i32 s8, s9, s24
	s_mul_i32 s24, s16, s6
	s_mul_i32 s30, s19, s25
	s_add_i32 s16, s10, s23
	s_lshl_b64 s[28:29], s[28:29], 2
	s_ashr_i32 s9, s8, 31
	s_ashr_i32 s25, s24, 31
	;; [unrolled: 1-line block ×3, first 2 shown]
	s_lshr_b32 s15, s16, s15
	v_lshlrev_b32_e32 v1, 3, v0
	s_mul_hi_i32 s37, s15, s20
	s_mul_i32 s36, s15, s20
	s_mov_b32 s34, s17
	v_mov_b32_e32 v12, 0
	v_mov_b32_e32 v13, v0
	;; [unrolled: 1-line block ×3, first 2 shown]
	s_waitcnt lgkmcnt(0)
	s_add_u32 s16, s2, s28
	s_addc_u32 s19, s3, s29
	s_lshl_b64 s[30:31], s[30:31], 2
	v_mov_b32_e32 v11, 0
	s_add_u32 s15, s16, s30
	s_addc_u32 s16, s19, s31
	s_lshl_b64 s[8:9], s[8:9], 2
	s_ashr_i32 s35, s17, 31
	s_add_i32 s19, s17, s17
	s_lshl_b32 s20, s17, 2
	s_lshl_b64 s[36:37], s[36:37], 2
	s_lshl_b64 s[24:25], s[24:25], 2
	s_add_u32 s0, s0, s8
	s_addc_u32 s1, s1, s9
	s_add_u32 s0, s0, s24
	s_addc_u32 s1, s1, s25
	;; [unrolled: 2-line block ×3, first 2 shown]
	v_add_co_u32 v2, s0, s0, v1
	s_lshl_b64 s[8:9], s[34:35], 3
	v_add_co_ci_u32_e64 v3, null, s1, 0, s0
	s_add_u32 s0, s2, s30
	s_addc_u32 s1, s3, s31
	s_add_u32 s0, s0, s28
	s_addc_u32 s1, s1, s29
	v_add_co_u32 v4, s0, s0, v1
	v_add_co_ci_u32_e64 v6, null, s1, 0, s0
	v_add_co_u32 v1, s0, v2, 4
	v_add_co_ci_u32_e64 v2, null, 0, v3, s0
	;; [unrolled: 2-line block ×3, first 2 shown]
	v_mov_b32_e32 v10, 0
	v_mov_b32_e32 v9, 0
	v_mov_b32_e32 v8, 0
	v_mov_b32_e32 v7, 0
	v_mov_b32_e32 v6, 0
	s_mul_i32 s14, s17, 3
	s_mul_i32 s1, s17, 5
	s_mul_i32 s2, s17, 6
	s_mul_i32 s3, s17, 7
.LBB81_10:                              ; =>This Inner Loop Header: Depth=1
	v_add_nc_u32_e32 v21, s19, v13
	v_add_nc_u32_e32 v23, s14, v13
	;; [unrolled: 1-line block ×5, first 2 shown]
	v_ashrrev_i32_e32 v22, 31, v21
	v_ashrrev_i32_e32 v24, 31, v23
	;; [unrolled: 1-line block ×3, first 2 shown]
	v_add_nc_u32_e32 v31, s3, v13
	v_ashrrev_i32_e32 v28, 31, v27
	v_lshlrev_b64 v[21:22], 3, v[21:22]
	v_lshlrev_b64 v[23:24], 3, v[23:24]
	v_ashrrev_i32_e32 v30, 31, v29
	v_add_co_u32 v19, s0, v3, s8
	v_lshlrev_b64 v[25:26], 3, v[25:26]
	v_ashrrev_i32_e32 v32, 31, v31
	v_add_co_ci_u32_e64 v20, null, s9, v4, s0
	v_lshlrev_b64 v[27:28], 3, v[27:28]
	v_add_co_u32 v21, s0, s15, v21
	v_lshlrev_b64 v[29:30], 3, v[29:30]
	v_add_co_ci_u32_e64 v22, null, s16, v22, s0
	v_add_co_u32 v23, s0, s15, v23
	v_lshlrev_b64 v[31:32], 3, v[31:32]
	v_add_co_ci_u32_e64 v24, null, s16, v24, s0
	v_add_co_u32 v25, s0, s15, v25
	v_add_co_ci_u32_e64 v26, null, s16, v26, s0
	v_add_co_u32 v27, s0, s15, v27
	;; [unrolled: 2-line block ×4, first 2 shown]
	v_add_co_ci_u32_e64 v32, null, s16, v32, s0
	global_load_dwordx2 v[15:16], v[1:2], off offset:-4
	s_clause 0x1
	global_load_dwordx2 v[17:18], v[3:4], off offset:-4
	global_load_dwordx2 v[19:20], v[19:20], off offset:-4
	s_clause 0x5
	global_load_dwordx2 v[21:22], v[21:22], off
	global_load_dwordx2 v[23:24], v[23:24], off
	;; [unrolled: 1-line block ×6, first 2 shown]
	v_add_nc_u32_e32 v13, 64, v13
	v_add_co_u32 v1, s0, 0x200, v1
	v_add_co_ci_u32_e64 v2, null, 0, v2, s0
	v_add_co_u32 v3, s0, 0x200, v3
	v_add_co_ci_u32_e64 v4, null, 0, v4, s0
	v_cmp_le_i32_e64 s0, s12, v13
	s_or_b32 s11, s0, s11
	s_waitcnt vmcnt(5)
	v_fmac_f32_e32 v11, v15, v21
	v_fmac_f32_e32 v12, v15, v17
	;; [unrolled: 1-line block ×3, first 2 shown]
	s_waitcnt vmcnt(4)
	v_fmac_f32_e32 v10, v15, v23
	s_waitcnt vmcnt(3)
	v_fmac_f32_e32 v9, v15, v25
	;; [unrolled: 2-line block ×5, first 2 shown]
	v_fmac_f32_e32 v12, v16, v18
	v_fmac_f32_e32 v14, v16, v20
	;; [unrolled: 1-line block ×8, first 2 shown]
	s_andn2_b32 exec_lo, exec_lo, s11
	s_cbranch_execnz .LBB81_10
; %bb.11:
	s_or_b32 exec_lo, exec_lo, s11
.LBB81_12:
	s_or_b32 exec_lo, exec_lo, s13
	v_mbcnt_lo_u32_b32 v2, -1, 0
	v_xor_b32_e32 v1, 16, v2
	v_xor_b32_e32 v3, 8, v2
	v_cmp_gt_i32_e64 s0, 32, v1
	v_cndmask_b32_e64 v1, v2, v1, s0
	v_cmp_gt_i32_e64 s0, 32, v3
	v_lshlrev_b32_e32 v1, 2, v1
	v_cndmask_b32_e64 v3, v2, v3, s0
	ds_bpermute_b32 v4, v1, v12
	v_lshlrev_b32_e32 v3, 2, v3
	s_waitcnt lgkmcnt(0)
	v_add_f32_e32 v12, v12, v4
	v_xor_b32_e32 v4, 4, v2
	ds_bpermute_b32 v13, v3, v12
	v_cmp_gt_i32_e64 s0, 32, v4
	v_cndmask_b32_e64 v4, v2, v4, s0
	v_lshlrev_b32_e32 v4, 2, v4
	s_waitcnt lgkmcnt(0)
	v_add_f32_e32 v13, v12, v13
	v_xor_b32_e32 v12, 2, v2
	ds_bpermute_b32 v15, v4, v13
	v_cmp_gt_i32_e64 s0, 32, v12
	v_cndmask_b32_e64 v12, v2, v12, s0
	;; [unrolled: 7-line block ×3, first 2 shown]
	v_lshlrev_b32_e32 v13, 2, v2
	s_waitcnt lgkmcnt(0)
	v_add_f32_e32 v2, v15, v16
	v_lshrrev_b32_e32 v15, 3, v0
	ds_bpermute_b32 v16, v13, v2
	v_and_b32_e32 v15, 0x7c, v15
	v_add_nc_u32_e32 v15, 0, v15
	s_waitcnt lgkmcnt(0)
	v_add_f32_e32 v2, v2, v16
	ds_write_b32 v15, v2
	s_waitcnt lgkmcnt(0)
	s_barrier
	buffer_gl0_inv
	s_and_saveexec_b32 s0, vcc_lo
	s_cbranch_execz .LBB81_14
; %bb.13:
	ds_read_b32 v2, v5
	s_waitcnt lgkmcnt(0)
	ds_bpermute_b32 v16, v1, v2
	s_waitcnt lgkmcnt(0)
	v_add_f32_e32 v2, v2, v16
	ds_bpermute_b32 v16, v3, v2
	s_waitcnt lgkmcnt(0)
	v_add_f32_e32 v2, v2, v16
	ds_bpermute_b32 v16, v4, v2
	s_waitcnt lgkmcnt(0)
	v_add_f32_e32 v2, v2, v16
	ds_bpermute_b32 v16, v12, v2
	s_waitcnt lgkmcnt(0)
	v_add_f32_e32 v2, v2, v16
	ds_bpermute_b32 v16, v13, v2
	s_waitcnt lgkmcnt(0)
	v_add_f32_e32 v2, v2, v16
.LBB81_14:
	s_or_b32 exec_lo, exec_lo, s0
	ds_bpermute_b32 v16, v1, v14
	s_waitcnt lgkmcnt(0)
	s_barrier
	buffer_gl0_inv
	v_add_f32_e32 v14, v14, v16
	ds_bpermute_b32 v16, v3, v14
	s_waitcnt lgkmcnt(0)
	v_add_f32_e32 v14, v14, v16
	ds_bpermute_b32 v16, v4, v14
	s_waitcnt lgkmcnt(0)
	v_add_f32_e32 v14, v14, v16
	ds_bpermute_b32 v16, v12, v14
	s_waitcnt lgkmcnt(0)
	v_add_f32_e32 v14, v14, v16
	ds_bpermute_b32 v16, v13, v14
	s_waitcnt lgkmcnt(0)
	v_add_f32_e32 v14, v14, v16
	ds_write_b32 v15, v14
	s_waitcnt lgkmcnt(0)
	s_barrier
	buffer_gl0_inv
	s_and_saveexec_b32 s0, vcc_lo
	s_cbranch_execz .LBB81_16
; %bb.15:
	ds_read_b32 v14, v5
	s_waitcnt lgkmcnt(0)
	ds_bpermute_b32 v16, v1, v14
	s_waitcnt lgkmcnt(0)
	v_add_f32_e32 v14, v14, v16
	ds_bpermute_b32 v16, v3, v14
	s_waitcnt lgkmcnt(0)
	v_add_f32_e32 v14, v14, v16
	ds_bpermute_b32 v16, v4, v14
	s_waitcnt lgkmcnt(0)
	v_add_f32_e32 v14, v14, v16
	ds_bpermute_b32 v16, v12, v14
	s_waitcnt lgkmcnt(0)
	v_add_f32_e32 v14, v14, v16
	ds_bpermute_b32 v16, v13, v14
	s_waitcnt lgkmcnt(0)
	v_add_f32_e32 v14, v14, v16
.LBB81_16:
	s_or_b32 exec_lo, exec_lo, s0
	ds_bpermute_b32 v16, v1, v11
	s_waitcnt lgkmcnt(0)
	s_barrier
	buffer_gl0_inv
	v_add_f32_e32 v11, v11, v16
	ds_bpermute_b32 v16, v3, v11
	s_waitcnt lgkmcnt(0)
	v_add_f32_e32 v11, v11, v16
	ds_bpermute_b32 v16, v4, v11
	s_waitcnt lgkmcnt(0)
	v_add_f32_e32 v11, v11, v16
	ds_bpermute_b32 v16, v12, v11
	s_waitcnt lgkmcnt(0)
	v_add_f32_e32 v11, v11, v16
	ds_bpermute_b32 v16, v13, v11
	;; [unrolled: 43-line block ×7, first 2 shown]
	s_waitcnt lgkmcnt(0)
	v_add_f32_e32 v6, v6, v16
	ds_write_b32 v15, v6
	s_waitcnt lgkmcnt(0)
	s_barrier
	buffer_gl0_inv
	s_and_saveexec_b32 s0, vcc_lo
	s_cbranch_execz .LBB81_28
; %bb.27:
	ds_read_b32 v5, v5
	s_waitcnt lgkmcnt(0)
	ds_bpermute_b32 v1, v1, v5
	s_waitcnt lgkmcnt(0)
	v_add_f32_e32 v1, v5, v1
	ds_bpermute_b32 v3, v3, v1
	s_waitcnt lgkmcnt(0)
	v_add_f32_e32 v1, v1, v3
	;; [unrolled: 3-line block ×5, first 2 shown]
.LBB81_28:
	s_or_b32 exec_lo, exec_lo, s0
	s_barrier
	buffer_gl0_inv
	s_mov_b32 s0, exec_lo
	v_cmpx_gt_u32_e32 8, v0
	s_cbranch_execz .LBB81_30
; %bb.29:
	v_cmp_eq_u32_e32 vcc_lo, 1, v0
	s_load_dwordx2 s[0:1], s[4:5], 0x38
	s_mul_hi_i32 s3, s22, s10
	s_mul_i32 s2, s22, s10
	s_mul_i32 s4, s26, s7
	v_cndmask_b32_e32 v1, v2, v14, vcc_lo
	v_cmp_eq_u32_e32 vcc_lo, 2, v0
	s_lshl_b64 s[2:3], s[2:3], 2
	s_ashr_i32 s5, s4, 31
	v_cndmask_b32_e32 v3, v1, v11, vcc_lo
	v_cmp_eq_u32_e32 vcc_lo, 3, v0
	v_mad_u64_u32 v[1:2], null, s18, v0, s[6:7]
	v_cndmask_b32_e32 v2, v3, v10, vcc_lo
	v_cmp_eq_u32_e32 vcc_lo, 4, v0
	s_waitcnt lgkmcnt(0)
	s_add_u32 s2, s0, s2
	s_addc_u32 s3, s1, s3
	v_cndmask_b32_e32 v3, v2, v9, vcc_lo
	v_cmp_eq_u32_e32 vcc_lo, 5, v0
	v_ashrrev_i32_e32 v2, 31, v1
	s_lshl_b64 s[0:1], s[4:5], 2
	s_add_u32 s0, s2, s0
	v_cndmask_b32_e32 v3, v3, v8, vcc_lo
	v_cmp_eq_u32_e32 vcc_lo, 6, v0
	v_lshlrev_b64 v[1:2], 2, v[1:2]
	s_addc_u32 s1, s3, s1
	v_cndmask_b32_e32 v3, v3, v7, vcc_lo
	v_cmp_eq_u32_e32 vcc_lo, 7, v0
	v_cndmask_b32_e32 v3, v3, v6, vcc_lo
	v_add_co_u32 v0, vcc_lo, s0, v1
	v_add_co_ci_u32_e64 v1, null, s1, v2, vcc_lo
	global_store_dword v[0:1], v3, off
.LBB81_30:
	s_endpgm
	.section	.rodata,"a",@progbits
	.p2align	6, 0x0
	.amdhsa_kernel _ZL13mul_mat_vec_fIffLi8ELi64ELb0ELb0EEvPKT_PKfPKi31ggml_cuda_mm_fusion_args_devicePfi15HIP_vector_typeIjLj3EEiiiSA_iiiSA_iiii
		.amdhsa_group_segment_fixed_size 0
		.amdhsa_private_segment_fixed_size 0
		.amdhsa_kernarg_size 144
		.amdhsa_user_sgpr_count 6
		.amdhsa_user_sgpr_private_segment_buffer 1
		.amdhsa_user_sgpr_dispatch_ptr 0
		.amdhsa_user_sgpr_queue_ptr 0
		.amdhsa_user_sgpr_kernarg_segment_ptr 1
		.amdhsa_user_sgpr_dispatch_id 0
		.amdhsa_user_sgpr_flat_scratch_init 0
		.amdhsa_user_sgpr_private_segment_size 0
		.amdhsa_wavefront_size32 1
		.amdhsa_uses_dynamic_stack 0
		.amdhsa_system_sgpr_private_segment_wavefront_offset 0
		.amdhsa_system_sgpr_workgroup_id_x 1
		.amdhsa_system_sgpr_workgroup_id_y 1
		.amdhsa_system_sgpr_workgroup_id_z 1
		.amdhsa_system_sgpr_workgroup_info 0
		.amdhsa_system_vgpr_workitem_id 0
		.amdhsa_next_free_vgpr 33
		.amdhsa_next_free_sgpr 38
		.amdhsa_reserve_vcc 1
		.amdhsa_reserve_flat_scratch 0
		.amdhsa_float_round_mode_32 0
		.amdhsa_float_round_mode_16_64 0
		.amdhsa_float_denorm_mode_32 3
		.amdhsa_float_denorm_mode_16_64 3
		.amdhsa_dx10_clamp 1
		.amdhsa_ieee_mode 1
		.amdhsa_fp16_overflow 0
		.amdhsa_workgroup_processor_mode 1
		.amdhsa_memory_ordered 1
		.amdhsa_forward_progress 1
		.amdhsa_shared_vgpr_count 0
		.amdhsa_exception_fp_ieee_invalid_op 0
		.amdhsa_exception_fp_denorm_src 0
		.amdhsa_exception_fp_ieee_div_zero 0
		.amdhsa_exception_fp_ieee_overflow 0
		.amdhsa_exception_fp_ieee_underflow 0
		.amdhsa_exception_fp_ieee_inexact 0
		.amdhsa_exception_int_div_zero 0
	.end_amdhsa_kernel
	.section	.text._ZL13mul_mat_vec_fIffLi8ELi64ELb0ELb0EEvPKT_PKfPKi31ggml_cuda_mm_fusion_args_devicePfi15HIP_vector_typeIjLj3EEiiiSA_iiiSA_iiii,"axG",@progbits,_ZL13mul_mat_vec_fIffLi8ELi64ELb0ELb0EEvPKT_PKfPKi31ggml_cuda_mm_fusion_args_devicePfi15HIP_vector_typeIjLj3EEiiiSA_iiiSA_iiii,comdat
.Lfunc_end81:
	.size	_ZL13mul_mat_vec_fIffLi8ELi64ELb0ELb0EEvPKT_PKfPKi31ggml_cuda_mm_fusion_args_devicePfi15HIP_vector_typeIjLj3EEiiiSA_iiiSA_iiii, .Lfunc_end81-_ZL13mul_mat_vec_fIffLi8ELi64ELb0ELb0EEvPKT_PKfPKi31ggml_cuda_mm_fusion_args_devicePfi15HIP_vector_typeIjLj3EEiiiSA_iiiSA_iiii
                                        ; -- End function
	.set _ZL13mul_mat_vec_fIffLi8ELi64ELb0ELb0EEvPKT_PKfPKi31ggml_cuda_mm_fusion_args_devicePfi15HIP_vector_typeIjLj3EEiiiSA_iiiSA_iiii.num_vgpr, 33
	.set _ZL13mul_mat_vec_fIffLi8ELi64ELb0ELb0EEvPKT_PKfPKi31ggml_cuda_mm_fusion_args_devicePfi15HIP_vector_typeIjLj3EEiiiSA_iiiSA_iiii.num_agpr, 0
	.set _ZL13mul_mat_vec_fIffLi8ELi64ELb0ELb0EEvPKT_PKfPKi31ggml_cuda_mm_fusion_args_devicePfi15HIP_vector_typeIjLj3EEiiiSA_iiiSA_iiii.numbered_sgpr, 38
	.set _ZL13mul_mat_vec_fIffLi8ELi64ELb0ELb0EEvPKT_PKfPKi31ggml_cuda_mm_fusion_args_devicePfi15HIP_vector_typeIjLj3EEiiiSA_iiiSA_iiii.num_named_barrier, 0
	.set _ZL13mul_mat_vec_fIffLi8ELi64ELb0ELb0EEvPKT_PKfPKi31ggml_cuda_mm_fusion_args_devicePfi15HIP_vector_typeIjLj3EEiiiSA_iiiSA_iiii.private_seg_size, 0
	.set _ZL13mul_mat_vec_fIffLi8ELi64ELb0ELb0EEvPKT_PKfPKi31ggml_cuda_mm_fusion_args_devicePfi15HIP_vector_typeIjLj3EEiiiSA_iiiSA_iiii.uses_vcc, 1
	.set _ZL13mul_mat_vec_fIffLi8ELi64ELb0ELb0EEvPKT_PKfPKi31ggml_cuda_mm_fusion_args_devicePfi15HIP_vector_typeIjLj3EEiiiSA_iiiSA_iiii.uses_flat_scratch, 0
	.set _ZL13mul_mat_vec_fIffLi8ELi64ELb0ELb0EEvPKT_PKfPKi31ggml_cuda_mm_fusion_args_devicePfi15HIP_vector_typeIjLj3EEiiiSA_iiiSA_iiii.has_dyn_sized_stack, 0
	.set _ZL13mul_mat_vec_fIffLi8ELi64ELb0ELb0EEvPKT_PKfPKi31ggml_cuda_mm_fusion_args_devicePfi15HIP_vector_typeIjLj3EEiiiSA_iiiSA_iiii.has_recursion, 0
	.set _ZL13mul_mat_vec_fIffLi8ELi64ELb0ELb0EEvPKT_PKfPKi31ggml_cuda_mm_fusion_args_devicePfi15HIP_vector_typeIjLj3EEiiiSA_iiiSA_iiii.has_indirect_call, 0
	.section	.AMDGPU.csdata,"",@progbits
; Kernel info:
; codeLenInByte = 3076
; TotalNumSgprs: 40
; NumVgprs: 33
; ScratchSize: 0
; MemoryBound: 0
; FloatMode: 240
; IeeeMode: 1
; LDSByteSize: 0 bytes/workgroup (compile time only)
; SGPRBlocks: 0
; VGPRBlocks: 4
; NumSGPRsForWavesPerEU: 40
; NumVGPRsForWavesPerEU: 33
; Occupancy: 16
; WaveLimiterHint : 0
; COMPUTE_PGM_RSRC2:SCRATCH_EN: 0
; COMPUTE_PGM_RSRC2:USER_SGPR: 6
; COMPUTE_PGM_RSRC2:TRAP_HANDLER: 0
; COMPUTE_PGM_RSRC2:TGID_X_EN: 1
; COMPUTE_PGM_RSRC2:TGID_Y_EN: 1
; COMPUTE_PGM_RSRC2:TGID_Z_EN: 1
; COMPUTE_PGM_RSRC2:TIDIG_COMP_CNT: 0
	.section	.text._ZL13mul_mat_vec_fIffLi8ELi96ELb0ELb0EEvPKT_PKfPKi31ggml_cuda_mm_fusion_args_devicePfi15HIP_vector_typeIjLj3EEiiiSA_iiiSA_iiii,"axG",@progbits,_ZL13mul_mat_vec_fIffLi8ELi96ELb0ELb0EEvPKT_PKfPKi31ggml_cuda_mm_fusion_args_devicePfi15HIP_vector_typeIjLj3EEiiiSA_iiiSA_iiii,comdat
	.globl	_ZL13mul_mat_vec_fIffLi8ELi96ELb0ELb0EEvPKT_PKfPKi31ggml_cuda_mm_fusion_args_devicePfi15HIP_vector_typeIjLj3EEiiiSA_iiiSA_iiii ; -- Begin function _ZL13mul_mat_vec_fIffLi8ELi96ELb0ELb0EEvPKT_PKfPKi31ggml_cuda_mm_fusion_args_devicePfi15HIP_vector_typeIjLj3EEiiiSA_iiiSA_iiii
	.p2align	8
	.type	_ZL13mul_mat_vec_fIffLi8ELi96ELb0ELb0EEvPKT_PKfPKi31ggml_cuda_mm_fusion_args_devicePfi15HIP_vector_typeIjLj3EEiiiSA_iiiSA_iiii,@function
_ZL13mul_mat_vec_fIffLi8ELi96ELb0ELb0EEvPKT_PKfPKi31ggml_cuda_mm_fusion_args_devicePfi15HIP_vector_typeIjLj3EEiiiSA_iiiSA_iiii: ; @_ZL13mul_mat_vec_fIffLi8ELi96ELb0ELb0EEvPKT_PKfPKi31ggml_cuda_mm_fusion_args_devicePfi15HIP_vector_typeIjLj3EEiiiSA_iiiSA_iiii
; %bb.0:
	s_clause 0x2
	s_load_dwordx2 s[0:1], s[4:5], 0x10
	s_load_dwordx8 s[12:19], s[4:5], 0x40
	s_load_dwordx4 s[20:23], s[4:5], 0x80
	s_waitcnt lgkmcnt(0)
	s_cmp_eq_u64 s[0:1], 0
	s_cselect_b32 s10, -1, 0
	s_cmp_lg_u64 s[0:1], 0
	s_cselect_b32 s11, -1, 0
	s_and_b32 vcc_lo, exec_lo, s10
	s_cbranch_vccnz .LBB82_2
; %bb.1:
	s_mul_i32 s2, s23, s8
	s_mov_b32 s3, 0
	s_add_i32 s2, s2, s7
	s_lshl_b64 s[24:25], s[2:3], 2
	s_add_u32 s0, s0, s24
	s_addc_u32 s1, s1, s25
	s_load_dword s9, s[0:1], 0x0
	s_cbranch_execz .LBB82_3
	s_branch .LBB82_4
.LBB82_2:
                                        ; implicit-def: $sgpr9
.LBB82_3:
	s_load_dwordx2 s[0:1], s[4:5], 0x5c
	s_waitcnt lgkmcnt(0)
	s_mul_hi_u32 s0, s0, s7
	s_add_i32 s0, s7, s0
	s_lshr_b32 s9, s0, s1
.LBB82_4:
	s_load_dwordx4 s[24:27], s[4:5], 0x68
	s_andn2_b32 vcc_lo, exec_lo, s11
	s_mov_b32 s19, s7
	s_cbranch_vccnz .LBB82_6
; %bb.5:
	s_mul_hi_u32 s0, s13, s7
	s_add_i32 s0, s7, s0
	s_lshr_b32 s0, s0, s14
	s_mul_i32 s0, s0, s15
	s_sub_i32 s19, s7, s0
.LBB82_6:
	s_load_dword s15, s[4:5], 0x78
	v_cmp_gt_u32_e32 vcc_lo, 32, v0
	v_lshl_add_u32 v5, v0, 2, 0
	s_and_saveexec_b32 s0, vcc_lo
; %bb.7:
	v_mov_b32_e32 v1, 0
	ds_write_b32 v5, v1
; %bb.8:
	s_or_b32 exec_lo, exec_lo, s0
	v_mov_b32_e32 v6, 0
	v_mov_b32_e32 v7, 0
	;; [unrolled: 1-line block ×8, first 2 shown]
	s_and_b32 s0, exec_lo, s10
	s_mov_b32 s11, 0
	s_cselect_b32 s10, s8, 0
	s_mov_b32 s13, exec_lo
	s_waitcnt lgkmcnt(0)
	s_barrier
	buffer_gl0_inv
	v_cmpx_gt_i32_e64 s12, v0
	s_cbranch_execz .LBB82_12
; %bb.9:
	s_load_dwordx4 s[0:3], s[4:5], 0x0
	s_mul_hi_u32 s23, s27, s10
	s_mul_hi_i32 s29, s21, s10
	s_mul_i32 s28, s21, s10
	s_mul_i32 s8, s9, s24
	;; [unrolled: 1-line block ×4, first 2 shown]
	s_add_i32 s16, s10, s23
	s_lshl_b64 s[28:29], s[28:29], 2
	s_ashr_i32 s9, s8, 31
	s_ashr_i32 s25, s24, 31
	;; [unrolled: 1-line block ×3, first 2 shown]
	s_lshr_b32 s15, s16, s15
	v_lshlrev_b32_e32 v1, 3, v0
	s_mul_hi_i32 s37, s15, s20
	s_mul_i32 s36, s15, s20
	s_mov_b32 s34, s17
	v_mov_b32_e32 v12, 0
	v_mov_b32_e32 v13, v0
	;; [unrolled: 1-line block ×3, first 2 shown]
	s_waitcnt lgkmcnt(0)
	s_add_u32 s16, s2, s28
	s_addc_u32 s19, s3, s29
	s_lshl_b64 s[30:31], s[30:31], 2
	v_mov_b32_e32 v11, 0
	s_add_u32 s15, s16, s30
	s_addc_u32 s16, s19, s31
	s_lshl_b64 s[8:9], s[8:9], 2
	s_ashr_i32 s35, s17, 31
	s_add_i32 s19, s17, s17
	s_lshl_b32 s20, s17, 2
	s_lshl_b64 s[36:37], s[36:37], 2
	s_lshl_b64 s[24:25], s[24:25], 2
	s_add_u32 s0, s0, s8
	s_addc_u32 s1, s1, s9
	s_add_u32 s0, s0, s24
	s_addc_u32 s1, s1, s25
	;; [unrolled: 2-line block ×3, first 2 shown]
	v_add_co_u32 v2, s0, s0, v1
	s_lshl_b64 s[8:9], s[34:35], 3
	v_add_co_ci_u32_e64 v3, null, s1, 0, s0
	s_add_u32 s0, s2, s30
	s_addc_u32 s1, s3, s31
	s_add_u32 s0, s0, s28
	s_addc_u32 s1, s1, s29
	v_add_co_u32 v4, s0, s0, v1
	v_add_co_ci_u32_e64 v6, null, s1, 0, s0
	v_add_co_u32 v1, s0, v2, 4
	v_add_co_ci_u32_e64 v2, null, 0, v3, s0
	;; [unrolled: 2-line block ×3, first 2 shown]
	v_mov_b32_e32 v10, 0
	v_mov_b32_e32 v9, 0
	;; [unrolled: 1-line block ×5, first 2 shown]
	s_mul_i32 s14, s17, 3
	s_mul_i32 s1, s17, 5
	;; [unrolled: 1-line block ×4, first 2 shown]
.LBB82_10:                              ; =>This Inner Loop Header: Depth=1
	v_add_nc_u32_e32 v21, s19, v13
	v_add_nc_u32_e32 v23, s14, v13
	;; [unrolled: 1-line block ×5, first 2 shown]
	v_ashrrev_i32_e32 v22, 31, v21
	v_ashrrev_i32_e32 v24, 31, v23
	;; [unrolled: 1-line block ×3, first 2 shown]
	v_add_nc_u32_e32 v31, s3, v13
	v_ashrrev_i32_e32 v28, 31, v27
	v_lshlrev_b64 v[21:22], 3, v[21:22]
	v_lshlrev_b64 v[23:24], 3, v[23:24]
	v_ashrrev_i32_e32 v30, 31, v29
	v_add_co_u32 v19, s0, v3, s8
	v_lshlrev_b64 v[25:26], 3, v[25:26]
	v_ashrrev_i32_e32 v32, 31, v31
	v_add_co_ci_u32_e64 v20, null, s9, v4, s0
	v_lshlrev_b64 v[27:28], 3, v[27:28]
	v_add_co_u32 v21, s0, s15, v21
	v_lshlrev_b64 v[29:30], 3, v[29:30]
	v_add_co_ci_u32_e64 v22, null, s16, v22, s0
	v_add_co_u32 v23, s0, s15, v23
	v_lshlrev_b64 v[31:32], 3, v[31:32]
	v_add_co_ci_u32_e64 v24, null, s16, v24, s0
	v_add_co_u32 v25, s0, s15, v25
	v_add_co_ci_u32_e64 v26, null, s16, v26, s0
	v_add_co_u32 v27, s0, s15, v27
	;; [unrolled: 2-line block ×4, first 2 shown]
	v_add_co_ci_u32_e64 v32, null, s16, v32, s0
	global_load_dwordx2 v[15:16], v[1:2], off offset:-4
	s_clause 0x1
	global_load_dwordx2 v[17:18], v[3:4], off offset:-4
	global_load_dwordx2 v[19:20], v[19:20], off offset:-4
	s_clause 0x5
	global_load_dwordx2 v[21:22], v[21:22], off
	global_load_dwordx2 v[23:24], v[23:24], off
	;; [unrolled: 1-line block ×6, first 2 shown]
	v_add_nc_u32_e32 v13, 0x60, v13
	v_add_co_u32 v1, s0, 0x300, v1
	v_add_co_ci_u32_e64 v2, null, 0, v2, s0
	v_add_co_u32 v3, s0, 0x300, v3
	v_add_co_ci_u32_e64 v4, null, 0, v4, s0
	v_cmp_le_i32_e64 s0, s12, v13
	s_or_b32 s11, s0, s11
	s_waitcnt vmcnt(5)
	v_fmac_f32_e32 v11, v15, v21
	v_fmac_f32_e32 v12, v15, v17
	;; [unrolled: 1-line block ×3, first 2 shown]
	s_waitcnt vmcnt(4)
	v_fmac_f32_e32 v10, v15, v23
	s_waitcnt vmcnt(3)
	v_fmac_f32_e32 v9, v15, v25
	;; [unrolled: 2-line block ×5, first 2 shown]
	v_fmac_f32_e32 v12, v16, v18
	v_fmac_f32_e32 v14, v16, v20
	;; [unrolled: 1-line block ×8, first 2 shown]
	s_andn2_b32 exec_lo, exec_lo, s11
	s_cbranch_execnz .LBB82_10
; %bb.11:
	s_or_b32 exec_lo, exec_lo, s11
.LBB82_12:
	s_or_b32 exec_lo, exec_lo, s13
	v_mbcnt_lo_u32_b32 v2, -1, 0
	v_xor_b32_e32 v1, 16, v2
	v_xor_b32_e32 v3, 8, v2
	v_cmp_gt_i32_e64 s0, 32, v1
	v_cndmask_b32_e64 v1, v2, v1, s0
	v_cmp_gt_i32_e64 s0, 32, v3
	v_lshlrev_b32_e32 v1, 2, v1
	v_cndmask_b32_e64 v3, v2, v3, s0
	ds_bpermute_b32 v4, v1, v12
	v_lshlrev_b32_e32 v3, 2, v3
	s_waitcnt lgkmcnt(0)
	v_add_f32_e32 v12, v12, v4
	v_xor_b32_e32 v4, 4, v2
	ds_bpermute_b32 v13, v3, v12
	v_cmp_gt_i32_e64 s0, 32, v4
	v_cndmask_b32_e64 v4, v2, v4, s0
	v_lshlrev_b32_e32 v4, 2, v4
	s_waitcnt lgkmcnt(0)
	v_add_f32_e32 v13, v12, v13
	v_xor_b32_e32 v12, 2, v2
	ds_bpermute_b32 v15, v4, v13
	v_cmp_gt_i32_e64 s0, 32, v12
	v_cndmask_b32_e64 v12, v2, v12, s0
	v_lshlrev_b32_e32 v12, 2, v12
	s_waitcnt lgkmcnt(0)
	v_add_f32_e32 v15, v13, v15
	v_xor_b32_e32 v13, 1, v2
	ds_bpermute_b32 v16, v12, v15
	v_cmp_gt_i32_e64 s0, 32, v13
	v_cndmask_b32_e64 v2, v2, v13, s0
	v_lshlrev_b32_e32 v13, 2, v2
	s_waitcnt lgkmcnt(0)
	v_add_f32_e32 v2, v15, v16
	v_lshrrev_b32_e32 v15, 3, v0
	ds_bpermute_b32 v16, v13, v2
	v_and_b32_e32 v15, 0x7c, v15
	v_add_nc_u32_e32 v15, 0, v15
	s_waitcnt lgkmcnt(0)
	v_add_f32_e32 v2, v2, v16
	ds_write_b32 v15, v2
	s_waitcnt lgkmcnt(0)
	s_barrier
	buffer_gl0_inv
	s_and_saveexec_b32 s0, vcc_lo
	s_cbranch_execz .LBB82_14
; %bb.13:
	ds_read_b32 v2, v5
	s_waitcnt lgkmcnt(0)
	ds_bpermute_b32 v16, v1, v2
	s_waitcnt lgkmcnt(0)
	v_add_f32_e32 v2, v2, v16
	ds_bpermute_b32 v16, v3, v2
	s_waitcnt lgkmcnt(0)
	v_add_f32_e32 v2, v2, v16
	ds_bpermute_b32 v16, v4, v2
	s_waitcnt lgkmcnt(0)
	v_add_f32_e32 v2, v2, v16
	ds_bpermute_b32 v16, v12, v2
	s_waitcnt lgkmcnt(0)
	v_add_f32_e32 v2, v2, v16
	ds_bpermute_b32 v16, v13, v2
	s_waitcnt lgkmcnt(0)
	v_add_f32_e32 v2, v2, v16
.LBB82_14:
	s_or_b32 exec_lo, exec_lo, s0
	ds_bpermute_b32 v16, v1, v14
	s_waitcnt lgkmcnt(0)
	s_barrier
	buffer_gl0_inv
	v_add_f32_e32 v14, v14, v16
	ds_bpermute_b32 v16, v3, v14
	s_waitcnt lgkmcnt(0)
	v_add_f32_e32 v14, v14, v16
	ds_bpermute_b32 v16, v4, v14
	s_waitcnt lgkmcnt(0)
	v_add_f32_e32 v14, v14, v16
	ds_bpermute_b32 v16, v12, v14
	s_waitcnt lgkmcnt(0)
	v_add_f32_e32 v14, v14, v16
	ds_bpermute_b32 v16, v13, v14
	s_waitcnt lgkmcnt(0)
	v_add_f32_e32 v14, v14, v16
	ds_write_b32 v15, v14
	s_waitcnt lgkmcnt(0)
	s_barrier
	buffer_gl0_inv
	s_and_saveexec_b32 s0, vcc_lo
	s_cbranch_execz .LBB82_16
; %bb.15:
	ds_read_b32 v14, v5
	s_waitcnt lgkmcnt(0)
	ds_bpermute_b32 v16, v1, v14
	s_waitcnt lgkmcnt(0)
	v_add_f32_e32 v14, v14, v16
	ds_bpermute_b32 v16, v3, v14
	s_waitcnt lgkmcnt(0)
	v_add_f32_e32 v14, v14, v16
	ds_bpermute_b32 v16, v4, v14
	s_waitcnt lgkmcnt(0)
	v_add_f32_e32 v14, v14, v16
	ds_bpermute_b32 v16, v12, v14
	s_waitcnt lgkmcnt(0)
	v_add_f32_e32 v14, v14, v16
	ds_bpermute_b32 v16, v13, v14
	s_waitcnt lgkmcnt(0)
	v_add_f32_e32 v14, v14, v16
.LBB82_16:
	s_or_b32 exec_lo, exec_lo, s0
	ds_bpermute_b32 v16, v1, v11
	s_waitcnt lgkmcnt(0)
	s_barrier
	buffer_gl0_inv
	v_add_f32_e32 v11, v11, v16
	ds_bpermute_b32 v16, v3, v11
	s_waitcnt lgkmcnt(0)
	v_add_f32_e32 v11, v11, v16
	ds_bpermute_b32 v16, v4, v11
	s_waitcnt lgkmcnt(0)
	v_add_f32_e32 v11, v11, v16
	ds_bpermute_b32 v16, v12, v11
	s_waitcnt lgkmcnt(0)
	v_add_f32_e32 v11, v11, v16
	ds_bpermute_b32 v16, v13, v11
	;; [unrolled: 43-line block ×7, first 2 shown]
	s_waitcnt lgkmcnt(0)
	v_add_f32_e32 v6, v6, v16
	ds_write_b32 v15, v6
	s_waitcnt lgkmcnt(0)
	s_barrier
	buffer_gl0_inv
	s_and_saveexec_b32 s0, vcc_lo
	s_cbranch_execz .LBB82_28
; %bb.27:
	ds_read_b32 v5, v5
	s_waitcnt lgkmcnt(0)
	ds_bpermute_b32 v1, v1, v5
	s_waitcnt lgkmcnt(0)
	v_add_f32_e32 v1, v5, v1
	ds_bpermute_b32 v3, v3, v1
	s_waitcnt lgkmcnt(0)
	v_add_f32_e32 v1, v1, v3
	;; [unrolled: 3-line block ×5, first 2 shown]
.LBB82_28:
	s_or_b32 exec_lo, exec_lo, s0
	s_barrier
	buffer_gl0_inv
	s_mov_b32 s0, exec_lo
	v_cmpx_gt_u32_e32 8, v0
	s_cbranch_execz .LBB82_30
; %bb.29:
	v_cmp_eq_u32_e32 vcc_lo, 1, v0
	s_load_dwordx2 s[0:1], s[4:5], 0x38
	s_mul_hi_i32 s3, s22, s10
	s_mul_i32 s2, s22, s10
	s_mul_i32 s4, s26, s7
	v_cndmask_b32_e32 v1, v2, v14, vcc_lo
	v_cmp_eq_u32_e32 vcc_lo, 2, v0
	s_lshl_b64 s[2:3], s[2:3], 2
	s_ashr_i32 s5, s4, 31
	v_cndmask_b32_e32 v3, v1, v11, vcc_lo
	v_cmp_eq_u32_e32 vcc_lo, 3, v0
	v_mad_u64_u32 v[1:2], null, s18, v0, s[6:7]
	v_cndmask_b32_e32 v2, v3, v10, vcc_lo
	v_cmp_eq_u32_e32 vcc_lo, 4, v0
	s_waitcnt lgkmcnt(0)
	s_add_u32 s2, s0, s2
	s_addc_u32 s3, s1, s3
	v_cndmask_b32_e32 v3, v2, v9, vcc_lo
	v_cmp_eq_u32_e32 vcc_lo, 5, v0
	v_ashrrev_i32_e32 v2, 31, v1
	s_lshl_b64 s[0:1], s[4:5], 2
	s_add_u32 s0, s2, s0
	v_cndmask_b32_e32 v3, v3, v8, vcc_lo
	v_cmp_eq_u32_e32 vcc_lo, 6, v0
	v_lshlrev_b64 v[1:2], 2, v[1:2]
	s_addc_u32 s1, s3, s1
	v_cndmask_b32_e32 v3, v3, v7, vcc_lo
	v_cmp_eq_u32_e32 vcc_lo, 7, v0
	v_cndmask_b32_e32 v3, v3, v6, vcc_lo
	v_add_co_u32 v0, vcc_lo, s0, v1
	v_add_co_ci_u32_e64 v1, null, s1, v2, vcc_lo
	global_store_dword v[0:1], v3, off
.LBB82_30:
	s_endpgm
	.section	.rodata,"a",@progbits
	.p2align	6, 0x0
	.amdhsa_kernel _ZL13mul_mat_vec_fIffLi8ELi96ELb0ELb0EEvPKT_PKfPKi31ggml_cuda_mm_fusion_args_devicePfi15HIP_vector_typeIjLj3EEiiiSA_iiiSA_iiii
		.amdhsa_group_segment_fixed_size 0
		.amdhsa_private_segment_fixed_size 0
		.amdhsa_kernarg_size 144
		.amdhsa_user_sgpr_count 6
		.amdhsa_user_sgpr_private_segment_buffer 1
		.amdhsa_user_sgpr_dispatch_ptr 0
		.amdhsa_user_sgpr_queue_ptr 0
		.amdhsa_user_sgpr_kernarg_segment_ptr 1
		.amdhsa_user_sgpr_dispatch_id 0
		.amdhsa_user_sgpr_flat_scratch_init 0
		.amdhsa_user_sgpr_private_segment_size 0
		.amdhsa_wavefront_size32 1
		.amdhsa_uses_dynamic_stack 0
		.amdhsa_system_sgpr_private_segment_wavefront_offset 0
		.amdhsa_system_sgpr_workgroup_id_x 1
		.amdhsa_system_sgpr_workgroup_id_y 1
		.amdhsa_system_sgpr_workgroup_id_z 1
		.amdhsa_system_sgpr_workgroup_info 0
		.amdhsa_system_vgpr_workitem_id 0
		.amdhsa_next_free_vgpr 33
		.amdhsa_next_free_sgpr 38
		.amdhsa_reserve_vcc 1
		.amdhsa_reserve_flat_scratch 0
		.amdhsa_float_round_mode_32 0
		.amdhsa_float_round_mode_16_64 0
		.amdhsa_float_denorm_mode_32 3
		.amdhsa_float_denorm_mode_16_64 3
		.amdhsa_dx10_clamp 1
		.amdhsa_ieee_mode 1
		.amdhsa_fp16_overflow 0
		.amdhsa_workgroup_processor_mode 1
		.amdhsa_memory_ordered 1
		.amdhsa_forward_progress 1
		.amdhsa_shared_vgpr_count 0
		.amdhsa_exception_fp_ieee_invalid_op 0
		.amdhsa_exception_fp_denorm_src 0
		.amdhsa_exception_fp_ieee_div_zero 0
		.amdhsa_exception_fp_ieee_overflow 0
		.amdhsa_exception_fp_ieee_underflow 0
		.amdhsa_exception_fp_ieee_inexact 0
		.amdhsa_exception_int_div_zero 0
	.end_amdhsa_kernel
	.section	.text._ZL13mul_mat_vec_fIffLi8ELi96ELb0ELb0EEvPKT_PKfPKi31ggml_cuda_mm_fusion_args_devicePfi15HIP_vector_typeIjLj3EEiiiSA_iiiSA_iiii,"axG",@progbits,_ZL13mul_mat_vec_fIffLi8ELi96ELb0ELb0EEvPKT_PKfPKi31ggml_cuda_mm_fusion_args_devicePfi15HIP_vector_typeIjLj3EEiiiSA_iiiSA_iiii,comdat
.Lfunc_end82:
	.size	_ZL13mul_mat_vec_fIffLi8ELi96ELb0ELb0EEvPKT_PKfPKi31ggml_cuda_mm_fusion_args_devicePfi15HIP_vector_typeIjLj3EEiiiSA_iiiSA_iiii, .Lfunc_end82-_ZL13mul_mat_vec_fIffLi8ELi96ELb0ELb0EEvPKT_PKfPKi31ggml_cuda_mm_fusion_args_devicePfi15HIP_vector_typeIjLj3EEiiiSA_iiiSA_iiii
                                        ; -- End function
	.set _ZL13mul_mat_vec_fIffLi8ELi96ELb0ELb0EEvPKT_PKfPKi31ggml_cuda_mm_fusion_args_devicePfi15HIP_vector_typeIjLj3EEiiiSA_iiiSA_iiii.num_vgpr, 33
	.set _ZL13mul_mat_vec_fIffLi8ELi96ELb0ELb0EEvPKT_PKfPKi31ggml_cuda_mm_fusion_args_devicePfi15HIP_vector_typeIjLj3EEiiiSA_iiiSA_iiii.num_agpr, 0
	.set _ZL13mul_mat_vec_fIffLi8ELi96ELb0ELb0EEvPKT_PKfPKi31ggml_cuda_mm_fusion_args_devicePfi15HIP_vector_typeIjLj3EEiiiSA_iiiSA_iiii.numbered_sgpr, 38
	.set _ZL13mul_mat_vec_fIffLi8ELi96ELb0ELb0EEvPKT_PKfPKi31ggml_cuda_mm_fusion_args_devicePfi15HIP_vector_typeIjLj3EEiiiSA_iiiSA_iiii.num_named_barrier, 0
	.set _ZL13mul_mat_vec_fIffLi8ELi96ELb0ELb0EEvPKT_PKfPKi31ggml_cuda_mm_fusion_args_devicePfi15HIP_vector_typeIjLj3EEiiiSA_iiiSA_iiii.private_seg_size, 0
	.set _ZL13mul_mat_vec_fIffLi8ELi96ELb0ELb0EEvPKT_PKfPKi31ggml_cuda_mm_fusion_args_devicePfi15HIP_vector_typeIjLj3EEiiiSA_iiiSA_iiii.uses_vcc, 1
	.set _ZL13mul_mat_vec_fIffLi8ELi96ELb0ELb0EEvPKT_PKfPKi31ggml_cuda_mm_fusion_args_devicePfi15HIP_vector_typeIjLj3EEiiiSA_iiiSA_iiii.uses_flat_scratch, 0
	.set _ZL13mul_mat_vec_fIffLi8ELi96ELb0ELb0EEvPKT_PKfPKi31ggml_cuda_mm_fusion_args_devicePfi15HIP_vector_typeIjLj3EEiiiSA_iiiSA_iiii.has_dyn_sized_stack, 0
	.set _ZL13mul_mat_vec_fIffLi8ELi96ELb0ELb0EEvPKT_PKfPKi31ggml_cuda_mm_fusion_args_devicePfi15HIP_vector_typeIjLj3EEiiiSA_iiiSA_iiii.has_recursion, 0
	.set _ZL13mul_mat_vec_fIffLi8ELi96ELb0ELb0EEvPKT_PKfPKi31ggml_cuda_mm_fusion_args_devicePfi15HIP_vector_typeIjLj3EEiiiSA_iiiSA_iiii.has_indirect_call, 0
	.section	.AMDGPU.csdata,"",@progbits
; Kernel info:
; codeLenInByte = 3080
; TotalNumSgprs: 40
; NumVgprs: 33
; ScratchSize: 0
; MemoryBound: 0
; FloatMode: 240
; IeeeMode: 1
; LDSByteSize: 0 bytes/workgroup (compile time only)
; SGPRBlocks: 0
; VGPRBlocks: 4
; NumSGPRsForWavesPerEU: 40
; NumVGPRsForWavesPerEU: 33
; Occupancy: 16
; WaveLimiterHint : 0
; COMPUTE_PGM_RSRC2:SCRATCH_EN: 0
; COMPUTE_PGM_RSRC2:USER_SGPR: 6
; COMPUTE_PGM_RSRC2:TRAP_HANDLER: 0
; COMPUTE_PGM_RSRC2:TGID_X_EN: 1
; COMPUTE_PGM_RSRC2:TGID_Y_EN: 1
; COMPUTE_PGM_RSRC2:TGID_Z_EN: 1
; COMPUTE_PGM_RSRC2:TIDIG_COMP_CNT: 0
	.section	.text._ZL13mul_mat_vec_fIffLi8ELi128ELb0ELb0EEvPKT_PKfPKi31ggml_cuda_mm_fusion_args_devicePfi15HIP_vector_typeIjLj3EEiiiSA_iiiSA_iiii,"axG",@progbits,_ZL13mul_mat_vec_fIffLi8ELi128ELb0ELb0EEvPKT_PKfPKi31ggml_cuda_mm_fusion_args_devicePfi15HIP_vector_typeIjLj3EEiiiSA_iiiSA_iiii,comdat
	.globl	_ZL13mul_mat_vec_fIffLi8ELi128ELb0ELb0EEvPKT_PKfPKi31ggml_cuda_mm_fusion_args_devicePfi15HIP_vector_typeIjLj3EEiiiSA_iiiSA_iiii ; -- Begin function _ZL13mul_mat_vec_fIffLi8ELi128ELb0ELb0EEvPKT_PKfPKi31ggml_cuda_mm_fusion_args_devicePfi15HIP_vector_typeIjLj3EEiiiSA_iiiSA_iiii
	.p2align	8
	.type	_ZL13mul_mat_vec_fIffLi8ELi128ELb0ELb0EEvPKT_PKfPKi31ggml_cuda_mm_fusion_args_devicePfi15HIP_vector_typeIjLj3EEiiiSA_iiiSA_iiii,@function
_ZL13mul_mat_vec_fIffLi8ELi128ELb0ELb0EEvPKT_PKfPKi31ggml_cuda_mm_fusion_args_devicePfi15HIP_vector_typeIjLj3EEiiiSA_iiiSA_iiii: ; @_ZL13mul_mat_vec_fIffLi8ELi128ELb0ELb0EEvPKT_PKfPKi31ggml_cuda_mm_fusion_args_devicePfi15HIP_vector_typeIjLj3EEiiiSA_iiiSA_iiii
; %bb.0:
	s_clause 0x2
	s_load_dwordx2 s[0:1], s[4:5], 0x10
	s_load_dwordx8 s[12:19], s[4:5], 0x40
	s_load_dwordx4 s[20:23], s[4:5], 0x80
	s_waitcnt lgkmcnt(0)
	s_cmp_eq_u64 s[0:1], 0
	s_cselect_b32 s10, -1, 0
	s_cmp_lg_u64 s[0:1], 0
	s_cselect_b32 s11, -1, 0
	s_and_b32 vcc_lo, exec_lo, s10
	s_cbranch_vccnz .LBB83_2
; %bb.1:
	s_mul_i32 s2, s23, s8
	s_mov_b32 s3, 0
	s_add_i32 s2, s2, s7
	s_lshl_b64 s[24:25], s[2:3], 2
	s_add_u32 s0, s0, s24
	s_addc_u32 s1, s1, s25
	s_load_dword s9, s[0:1], 0x0
	s_cbranch_execz .LBB83_3
	s_branch .LBB83_4
.LBB83_2:
                                        ; implicit-def: $sgpr9
.LBB83_3:
	s_load_dwordx2 s[0:1], s[4:5], 0x5c
	s_waitcnt lgkmcnt(0)
	s_mul_hi_u32 s0, s0, s7
	s_add_i32 s0, s7, s0
	s_lshr_b32 s9, s0, s1
.LBB83_4:
	s_load_dwordx4 s[24:27], s[4:5], 0x68
	s_andn2_b32 vcc_lo, exec_lo, s11
	s_mov_b32 s19, s7
	s_cbranch_vccnz .LBB83_6
; %bb.5:
	s_mul_hi_u32 s0, s13, s7
	s_add_i32 s0, s7, s0
	s_lshr_b32 s0, s0, s14
	s_mul_i32 s0, s0, s15
	s_sub_i32 s19, s7, s0
.LBB83_6:
	s_load_dword s15, s[4:5], 0x78
	v_cmp_gt_u32_e32 vcc_lo, 32, v0
	v_lshl_add_u32 v5, v0, 2, 0
	s_and_saveexec_b32 s0, vcc_lo
; %bb.7:
	v_mov_b32_e32 v1, 0
	ds_write_b32 v5, v1
; %bb.8:
	s_or_b32 exec_lo, exec_lo, s0
	v_mov_b32_e32 v6, 0
	v_mov_b32_e32 v7, 0
	;; [unrolled: 1-line block ×8, first 2 shown]
	s_and_b32 s0, exec_lo, s10
	s_mov_b32 s11, 0
	s_cselect_b32 s10, s8, 0
	s_mov_b32 s13, exec_lo
	s_waitcnt lgkmcnt(0)
	s_barrier
	buffer_gl0_inv
	v_cmpx_gt_i32_e64 s12, v0
	s_cbranch_execz .LBB83_12
; %bb.9:
	s_load_dwordx4 s[0:3], s[4:5], 0x0
	s_mul_hi_u32 s23, s27, s10
	s_mul_hi_i32 s29, s21, s10
	s_mul_i32 s28, s21, s10
	s_mul_i32 s8, s9, s24
	;; [unrolled: 1-line block ×4, first 2 shown]
	s_add_i32 s16, s10, s23
	s_lshl_b64 s[28:29], s[28:29], 2
	s_ashr_i32 s9, s8, 31
	s_ashr_i32 s25, s24, 31
	;; [unrolled: 1-line block ×3, first 2 shown]
	s_lshr_b32 s15, s16, s15
	v_lshlrev_b32_e32 v1, 3, v0
	s_mul_hi_i32 s37, s15, s20
	s_mul_i32 s36, s15, s20
	s_mov_b32 s34, s17
	v_mov_b32_e32 v12, 0
	v_mov_b32_e32 v13, v0
	;; [unrolled: 1-line block ×3, first 2 shown]
	s_waitcnt lgkmcnt(0)
	s_add_u32 s16, s2, s28
	s_addc_u32 s19, s3, s29
	s_lshl_b64 s[30:31], s[30:31], 2
	v_mov_b32_e32 v11, 0
	s_add_u32 s15, s16, s30
	s_addc_u32 s16, s19, s31
	s_lshl_b64 s[8:9], s[8:9], 2
	s_ashr_i32 s35, s17, 31
	s_add_i32 s19, s17, s17
	s_lshl_b32 s20, s17, 2
	s_lshl_b64 s[36:37], s[36:37], 2
	s_lshl_b64 s[24:25], s[24:25], 2
	s_add_u32 s0, s0, s8
	s_addc_u32 s1, s1, s9
	s_add_u32 s0, s0, s24
	s_addc_u32 s1, s1, s25
	;; [unrolled: 2-line block ×3, first 2 shown]
	v_add_co_u32 v2, s0, s0, v1
	s_lshl_b64 s[8:9], s[34:35], 3
	v_add_co_ci_u32_e64 v3, null, s1, 0, s0
	s_add_u32 s0, s2, s30
	s_addc_u32 s1, s3, s31
	s_add_u32 s0, s0, s28
	s_addc_u32 s1, s1, s29
	v_add_co_u32 v4, s0, s0, v1
	v_add_co_ci_u32_e64 v6, null, s1, 0, s0
	v_add_co_u32 v1, s0, v2, 4
	v_add_co_ci_u32_e64 v2, null, 0, v3, s0
	v_add_co_u32 v3, s0, v4, 4
	v_add_co_ci_u32_e64 v4, null, 0, v6, s0
	v_mov_b32_e32 v10, 0
	v_mov_b32_e32 v9, 0
	;; [unrolled: 1-line block ×5, first 2 shown]
	s_mul_i32 s14, s17, 3
	s_mul_i32 s1, s17, 5
	;; [unrolled: 1-line block ×4, first 2 shown]
.LBB83_10:                              ; =>This Inner Loop Header: Depth=1
	v_add_nc_u32_e32 v21, s19, v13
	v_add_nc_u32_e32 v23, s14, v13
	;; [unrolled: 1-line block ×5, first 2 shown]
	v_ashrrev_i32_e32 v22, 31, v21
	v_ashrrev_i32_e32 v24, 31, v23
	;; [unrolled: 1-line block ×3, first 2 shown]
	v_add_nc_u32_e32 v31, s3, v13
	v_ashrrev_i32_e32 v28, 31, v27
	v_lshlrev_b64 v[21:22], 3, v[21:22]
	v_lshlrev_b64 v[23:24], 3, v[23:24]
	v_ashrrev_i32_e32 v30, 31, v29
	v_add_co_u32 v19, s0, v3, s8
	v_lshlrev_b64 v[25:26], 3, v[25:26]
	v_ashrrev_i32_e32 v32, 31, v31
	v_add_co_ci_u32_e64 v20, null, s9, v4, s0
	v_lshlrev_b64 v[27:28], 3, v[27:28]
	v_add_co_u32 v21, s0, s15, v21
	v_lshlrev_b64 v[29:30], 3, v[29:30]
	v_add_co_ci_u32_e64 v22, null, s16, v22, s0
	v_add_co_u32 v23, s0, s15, v23
	v_lshlrev_b64 v[31:32], 3, v[31:32]
	v_add_co_ci_u32_e64 v24, null, s16, v24, s0
	v_add_co_u32 v25, s0, s15, v25
	v_add_co_ci_u32_e64 v26, null, s16, v26, s0
	v_add_co_u32 v27, s0, s15, v27
	v_add_co_ci_u32_e64 v28, null, s16, v28, s0
	v_add_co_u32 v29, s0, s15, v29
	v_add_co_ci_u32_e64 v30, null, s16, v30, s0
	v_add_co_u32 v31, s0, s15, v31
	v_add_co_ci_u32_e64 v32, null, s16, v32, s0
	global_load_dwordx2 v[15:16], v[1:2], off offset:-4
	s_clause 0x1
	global_load_dwordx2 v[17:18], v[3:4], off offset:-4
	global_load_dwordx2 v[19:20], v[19:20], off offset:-4
	s_clause 0x5
	global_load_dwordx2 v[21:22], v[21:22], off
	global_load_dwordx2 v[23:24], v[23:24], off
	;; [unrolled: 1-line block ×6, first 2 shown]
	v_add_nc_u32_e32 v13, 0x80, v13
	v_add_co_u32 v1, s0, 0x400, v1
	v_add_co_ci_u32_e64 v2, null, 0, v2, s0
	v_add_co_u32 v3, s0, 0x400, v3
	v_add_co_ci_u32_e64 v4, null, 0, v4, s0
	v_cmp_le_i32_e64 s0, s12, v13
	s_or_b32 s11, s0, s11
	s_waitcnt vmcnt(5)
	v_fmac_f32_e32 v11, v15, v21
	v_fmac_f32_e32 v12, v15, v17
	;; [unrolled: 1-line block ×3, first 2 shown]
	s_waitcnt vmcnt(4)
	v_fmac_f32_e32 v10, v15, v23
	s_waitcnt vmcnt(3)
	v_fmac_f32_e32 v9, v15, v25
	;; [unrolled: 2-line block ×5, first 2 shown]
	v_fmac_f32_e32 v12, v16, v18
	v_fmac_f32_e32 v14, v16, v20
	;; [unrolled: 1-line block ×8, first 2 shown]
	s_andn2_b32 exec_lo, exec_lo, s11
	s_cbranch_execnz .LBB83_10
; %bb.11:
	s_or_b32 exec_lo, exec_lo, s11
.LBB83_12:
	s_or_b32 exec_lo, exec_lo, s13
	v_mbcnt_lo_u32_b32 v2, -1, 0
	v_xor_b32_e32 v1, 16, v2
	v_xor_b32_e32 v3, 8, v2
	v_cmp_gt_i32_e64 s0, 32, v1
	v_cndmask_b32_e64 v1, v2, v1, s0
	v_cmp_gt_i32_e64 s0, 32, v3
	v_lshlrev_b32_e32 v1, 2, v1
	v_cndmask_b32_e64 v3, v2, v3, s0
	ds_bpermute_b32 v4, v1, v12
	v_lshlrev_b32_e32 v3, 2, v3
	s_waitcnt lgkmcnt(0)
	v_add_f32_e32 v12, v12, v4
	v_xor_b32_e32 v4, 4, v2
	ds_bpermute_b32 v13, v3, v12
	v_cmp_gt_i32_e64 s0, 32, v4
	v_cndmask_b32_e64 v4, v2, v4, s0
	v_lshlrev_b32_e32 v4, 2, v4
	s_waitcnt lgkmcnt(0)
	v_add_f32_e32 v13, v12, v13
	v_xor_b32_e32 v12, 2, v2
	ds_bpermute_b32 v15, v4, v13
	v_cmp_gt_i32_e64 s0, 32, v12
	v_cndmask_b32_e64 v12, v2, v12, s0
	;; [unrolled: 7-line block ×3, first 2 shown]
	v_lshlrev_b32_e32 v13, 2, v2
	s_waitcnt lgkmcnt(0)
	v_add_f32_e32 v2, v15, v16
	v_lshrrev_b32_e32 v15, 3, v0
	ds_bpermute_b32 v16, v13, v2
	v_and_b32_e32 v15, 0x7c, v15
	v_add_nc_u32_e32 v15, 0, v15
	s_waitcnt lgkmcnt(0)
	v_add_f32_e32 v2, v2, v16
	ds_write_b32 v15, v2
	s_waitcnt lgkmcnt(0)
	s_barrier
	buffer_gl0_inv
	s_and_saveexec_b32 s0, vcc_lo
	s_cbranch_execz .LBB83_14
; %bb.13:
	ds_read_b32 v2, v5
	s_waitcnt lgkmcnt(0)
	ds_bpermute_b32 v16, v1, v2
	s_waitcnt lgkmcnt(0)
	v_add_f32_e32 v2, v2, v16
	ds_bpermute_b32 v16, v3, v2
	s_waitcnt lgkmcnt(0)
	v_add_f32_e32 v2, v2, v16
	ds_bpermute_b32 v16, v4, v2
	s_waitcnt lgkmcnt(0)
	v_add_f32_e32 v2, v2, v16
	ds_bpermute_b32 v16, v12, v2
	s_waitcnt lgkmcnt(0)
	v_add_f32_e32 v2, v2, v16
	ds_bpermute_b32 v16, v13, v2
	s_waitcnt lgkmcnt(0)
	v_add_f32_e32 v2, v2, v16
.LBB83_14:
	s_or_b32 exec_lo, exec_lo, s0
	ds_bpermute_b32 v16, v1, v14
	s_waitcnt lgkmcnt(0)
	s_barrier
	buffer_gl0_inv
	v_add_f32_e32 v14, v14, v16
	ds_bpermute_b32 v16, v3, v14
	s_waitcnt lgkmcnt(0)
	v_add_f32_e32 v14, v14, v16
	ds_bpermute_b32 v16, v4, v14
	s_waitcnt lgkmcnt(0)
	v_add_f32_e32 v14, v14, v16
	ds_bpermute_b32 v16, v12, v14
	s_waitcnt lgkmcnt(0)
	v_add_f32_e32 v14, v14, v16
	ds_bpermute_b32 v16, v13, v14
	s_waitcnt lgkmcnt(0)
	v_add_f32_e32 v14, v14, v16
	ds_write_b32 v15, v14
	s_waitcnt lgkmcnt(0)
	s_barrier
	buffer_gl0_inv
	s_and_saveexec_b32 s0, vcc_lo
	s_cbranch_execz .LBB83_16
; %bb.15:
	ds_read_b32 v14, v5
	s_waitcnt lgkmcnt(0)
	ds_bpermute_b32 v16, v1, v14
	s_waitcnt lgkmcnt(0)
	v_add_f32_e32 v14, v14, v16
	ds_bpermute_b32 v16, v3, v14
	s_waitcnt lgkmcnt(0)
	v_add_f32_e32 v14, v14, v16
	ds_bpermute_b32 v16, v4, v14
	s_waitcnt lgkmcnt(0)
	v_add_f32_e32 v14, v14, v16
	ds_bpermute_b32 v16, v12, v14
	s_waitcnt lgkmcnt(0)
	v_add_f32_e32 v14, v14, v16
	ds_bpermute_b32 v16, v13, v14
	s_waitcnt lgkmcnt(0)
	v_add_f32_e32 v14, v14, v16
.LBB83_16:
	s_or_b32 exec_lo, exec_lo, s0
	ds_bpermute_b32 v16, v1, v11
	s_waitcnt lgkmcnt(0)
	s_barrier
	buffer_gl0_inv
	v_add_f32_e32 v11, v11, v16
	ds_bpermute_b32 v16, v3, v11
	s_waitcnt lgkmcnt(0)
	v_add_f32_e32 v11, v11, v16
	ds_bpermute_b32 v16, v4, v11
	s_waitcnt lgkmcnt(0)
	v_add_f32_e32 v11, v11, v16
	ds_bpermute_b32 v16, v12, v11
	s_waitcnt lgkmcnt(0)
	v_add_f32_e32 v11, v11, v16
	ds_bpermute_b32 v16, v13, v11
	;; [unrolled: 43-line block ×7, first 2 shown]
	s_waitcnt lgkmcnt(0)
	v_add_f32_e32 v6, v6, v16
	ds_write_b32 v15, v6
	s_waitcnt lgkmcnt(0)
	s_barrier
	buffer_gl0_inv
	s_and_saveexec_b32 s0, vcc_lo
	s_cbranch_execz .LBB83_28
; %bb.27:
	ds_read_b32 v5, v5
	s_waitcnt lgkmcnt(0)
	ds_bpermute_b32 v1, v1, v5
	s_waitcnt lgkmcnt(0)
	v_add_f32_e32 v1, v5, v1
	ds_bpermute_b32 v3, v3, v1
	s_waitcnt lgkmcnt(0)
	v_add_f32_e32 v1, v1, v3
	;; [unrolled: 3-line block ×5, first 2 shown]
.LBB83_28:
	s_or_b32 exec_lo, exec_lo, s0
	s_barrier
	buffer_gl0_inv
	s_mov_b32 s0, exec_lo
	v_cmpx_gt_u32_e32 8, v0
	s_cbranch_execz .LBB83_30
; %bb.29:
	v_cmp_eq_u32_e32 vcc_lo, 1, v0
	s_load_dwordx2 s[0:1], s[4:5], 0x38
	s_mul_hi_i32 s3, s22, s10
	s_mul_i32 s2, s22, s10
	s_mul_i32 s4, s26, s7
	v_cndmask_b32_e32 v1, v2, v14, vcc_lo
	v_cmp_eq_u32_e32 vcc_lo, 2, v0
	s_lshl_b64 s[2:3], s[2:3], 2
	s_ashr_i32 s5, s4, 31
	v_cndmask_b32_e32 v3, v1, v11, vcc_lo
	v_cmp_eq_u32_e32 vcc_lo, 3, v0
	v_mad_u64_u32 v[1:2], null, s18, v0, s[6:7]
	v_cndmask_b32_e32 v2, v3, v10, vcc_lo
	v_cmp_eq_u32_e32 vcc_lo, 4, v0
	s_waitcnt lgkmcnt(0)
	s_add_u32 s2, s0, s2
	s_addc_u32 s3, s1, s3
	v_cndmask_b32_e32 v3, v2, v9, vcc_lo
	v_cmp_eq_u32_e32 vcc_lo, 5, v0
	v_ashrrev_i32_e32 v2, 31, v1
	s_lshl_b64 s[0:1], s[4:5], 2
	s_add_u32 s0, s2, s0
	v_cndmask_b32_e32 v3, v3, v8, vcc_lo
	v_cmp_eq_u32_e32 vcc_lo, 6, v0
	v_lshlrev_b64 v[1:2], 2, v[1:2]
	s_addc_u32 s1, s3, s1
	v_cndmask_b32_e32 v3, v3, v7, vcc_lo
	v_cmp_eq_u32_e32 vcc_lo, 7, v0
	v_cndmask_b32_e32 v3, v3, v6, vcc_lo
	v_add_co_u32 v0, vcc_lo, s0, v1
	v_add_co_ci_u32_e64 v1, null, s1, v2, vcc_lo
	global_store_dword v[0:1], v3, off
.LBB83_30:
	s_endpgm
	.section	.rodata,"a",@progbits
	.p2align	6, 0x0
	.amdhsa_kernel _ZL13mul_mat_vec_fIffLi8ELi128ELb0ELb0EEvPKT_PKfPKi31ggml_cuda_mm_fusion_args_devicePfi15HIP_vector_typeIjLj3EEiiiSA_iiiSA_iiii
		.amdhsa_group_segment_fixed_size 0
		.amdhsa_private_segment_fixed_size 0
		.amdhsa_kernarg_size 144
		.amdhsa_user_sgpr_count 6
		.amdhsa_user_sgpr_private_segment_buffer 1
		.amdhsa_user_sgpr_dispatch_ptr 0
		.amdhsa_user_sgpr_queue_ptr 0
		.amdhsa_user_sgpr_kernarg_segment_ptr 1
		.amdhsa_user_sgpr_dispatch_id 0
		.amdhsa_user_sgpr_flat_scratch_init 0
		.amdhsa_user_sgpr_private_segment_size 0
		.amdhsa_wavefront_size32 1
		.amdhsa_uses_dynamic_stack 0
		.amdhsa_system_sgpr_private_segment_wavefront_offset 0
		.amdhsa_system_sgpr_workgroup_id_x 1
		.amdhsa_system_sgpr_workgroup_id_y 1
		.amdhsa_system_sgpr_workgroup_id_z 1
		.amdhsa_system_sgpr_workgroup_info 0
		.amdhsa_system_vgpr_workitem_id 0
		.amdhsa_next_free_vgpr 33
		.amdhsa_next_free_sgpr 38
		.amdhsa_reserve_vcc 1
		.amdhsa_reserve_flat_scratch 0
		.amdhsa_float_round_mode_32 0
		.amdhsa_float_round_mode_16_64 0
		.amdhsa_float_denorm_mode_32 3
		.amdhsa_float_denorm_mode_16_64 3
		.amdhsa_dx10_clamp 1
		.amdhsa_ieee_mode 1
		.amdhsa_fp16_overflow 0
		.amdhsa_workgroup_processor_mode 1
		.amdhsa_memory_ordered 1
		.amdhsa_forward_progress 1
		.amdhsa_shared_vgpr_count 0
		.amdhsa_exception_fp_ieee_invalid_op 0
		.amdhsa_exception_fp_denorm_src 0
		.amdhsa_exception_fp_ieee_div_zero 0
		.amdhsa_exception_fp_ieee_overflow 0
		.amdhsa_exception_fp_ieee_underflow 0
		.amdhsa_exception_fp_ieee_inexact 0
		.amdhsa_exception_int_div_zero 0
	.end_amdhsa_kernel
	.section	.text._ZL13mul_mat_vec_fIffLi8ELi128ELb0ELb0EEvPKT_PKfPKi31ggml_cuda_mm_fusion_args_devicePfi15HIP_vector_typeIjLj3EEiiiSA_iiiSA_iiii,"axG",@progbits,_ZL13mul_mat_vec_fIffLi8ELi128ELb0ELb0EEvPKT_PKfPKi31ggml_cuda_mm_fusion_args_devicePfi15HIP_vector_typeIjLj3EEiiiSA_iiiSA_iiii,comdat
.Lfunc_end83:
	.size	_ZL13mul_mat_vec_fIffLi8ELi128ELb0ELb0EEvPKT_PKfPKi31ggml_cuda_mm_fusion_args_devicePfi15HIP_vector_typeIjLj3EEiiiSA_iiiSA_iiii, .Lfunc_end83-_ZL13mul_mat_vec_fIffLi8ELi128ELb0ELb0EEvPKT_PKfPKi31ggml_cuda_mm_fusion_args_devicePfi15HIP_vector_typeIjLj3EEiiiSA_iiiSA_iiii
                                        ; -- End function
	.set _ZL13mul_mat_vec_fIffLi8ELi128ELb0ELb0EEvPKT_PKfPKi31ggml_cuda_mm_fusion_args_devicePfi15HIP_vector_typeIjLj3EEiiiSA_iiiSA_iiii.num_vgpr, 33
	.set _ZL13mul_mat_vec_fIffLi8ELi128ELb0ELb0EEvPKT_PKfPKi31ggml_cuda_mm_fusion_args_devicePfi15HIP_vector_typeIjLj3EEiiiSA_iiiSA_iiii.num_agpr, 0
	.set _ZL13mul_mat_vec_fIffLi8ELi128ELb0ELb0EEvPKT_PKfPKi31ggml_cuda_mm_fusion_args_devicePfi15HIP_vector_typeIjLj3EEiiiSA_iiiSA_iiii.numbered_sgpr, 38
	.set _ZL13mul_mat_vec_fIffLi8ELi128ELb0ELb0EEvPKT_PKfPKi31ggml_cuda_mm_fusion_args_devicePfi15HIP_vector_typeIjLj3EEiiiSA_iiiSA_iiii.num_named_barrier, 0
	.set _ZL13mul_mat_vec_fIffLi8ELi128ELb0ELb0EEvPKT_PKfPKi31ggml_cuda_mm_fusion_args_devicePfi15HIP_vector_typeIjLj3EEiiiSA_iiiSA_iiii.private_seg_size, 0
	.set _ZL13mul_mat_vec_fIffLi8ELi128ELb0ELb0EEvPKT_PKfPKi31ggml_cuda_mm_fusion_args_devicePfi15HIP_vector_typeIjLj3EEiiiSA_iiiSA_iiii.uses_vcc, 1
	.set _ZL13mul_mat_vec_fIffLi8ELi128ELb0ELb0EEvPKT_PKfPKi31ggml_cuda_mm_fusion_args_devicePfi15HIP_vector_typeIjLj3EEiiiSA_iiiSA_iiii.uses_flat_scratch, 0
	.set _ZL13mul_mat_vec_fIffLi8ELi128ELb0ELb0EEvPKT_PKfPKi31ggml_cuda_mm_fusion_args_devicePfi15HIP_vector_typeIjLj3EEiiiSA_iiiSA_iiii.has_dyn_sized_stack, 0
	.set _ZL13mul_mat_vec_fIffLi8ELi128ELb0ELb0EEvPKT_PKfPKi31ggml_cuda_mm_fusion_args_devicePfi15HIP_vector_typeIjLj3EEiiiSA_iiiSA_iiii.has_recursion, 0
	.set _ZL13mul_mat_vec_fIffLi8ELi128ELb0ELb0EEvPKT_PKfPKi31ggml_cuda_mm_fusion_args_devicePfi15HIP_vector_typeIjLj3EEiiiSA_iiiSA_iiii.has_indirect_call, 0
	.section	.AMDGPU.csdata,"",@progbits
; Kernel info:
; codeLenInByte = 3080
; TotalNumSgprs: 40
; NumVgprs: 33
; ScratchSize: 0
; MemoryBound: 0
; FloatMode: 240
; IeeeMode: 1
; LDSByteSize: 0 bytes/workgroup (compile time only)
; SGPRBlocks: 0
; VGPRBlocks: 4
; NumSGPRsForWavesPerEU: 40
; NumVGPRsForWavesPerEU: 33
; Occupancy: 16
; WaveLimiterHint : 0
; COMPUTE_PGM_RSRC2:SCRATCH_EN: 0
; COMPUTE_PGM_RSRC2:USER_SGPR: 6
; COMPUTE_PGM_RSRC2:TRAP_HANDLER: 0
; COMPUTE_PGM_RSRC2:TGID_X_EN: 1
; COMPUTE_PGM_RSRC2:TGID_Y_EN: 1
; COMPUTE_PGM_RSRC2:TGID_Z_EN: 1
; COMPUTE_PGM_RSRC2:TIDIG_COMP_CNT: 0
	.section	.text._ZL13mul_mat_vec_fIffLi8ELi160ELb0ELb0EEvPKT_PKfPKi31ggml_cuda_mm_fusion_args_devicePfi15HIP_vector_typeIjLj3EEiiiSA_iiiSA_iiii,"axG",@progbits,_ZL13mul_mat_vec_fIffLi8ELi160ELb0ELb0EEvPKT_PKfPKi31ggml_cuda_mm_fusion_args_devicePfi15HIP_vector_typeIjLj3EEiiiSA_iiiSA_iiii,comdat
	.globl	_ZL13mul_mat_vec_fIffLi8ELi160ELb0ELb0EEvPKT_PKfPKi31ggml_cuda_mm_fusion_args_devicePfi15HIP_vector_typeIjLj3EEiiiSA_iiiSA_iiii ; -- Begin function _ZL13mul_mat_vec_fIffLi8ELi160ELb0ELb0EEvPKT_PKfPKi31ggml_cuda_mm_fusion_args_devicePfi15HIP_vector_typeIjLj3EEiiiSA_iiiSA_iiii
	.p2align	8
	.type	_ZL13mul_mat_vec_fIffLi8ELi160ELb0ELb0EEvPKT_PKfPKi31ggml_cuda_mm_fusion_args_devicePfi15HIP_vector_typeIjLj3EEiiiSA_iiiSA_iiii,@function
_ZL13mul_mat_vec_fIffLi8ELi160ELb0ELb0EEvPKT_PKfPKi31ggml_cuda_mm_fusion_args_devicePfi15HIP_vector_typeIjLj3EEiiiSA_iiiSA_iiii: ; @_ZL13mul_mat_vec_fIffLi8ELi160ELb0ELb0EEvPKT_PKfPKi31ggml_cuda_mm_fusion_args_devicePfi15HIP_vector_typeIjLj3EEiiiSA_iiiSA_iiii
; %bb.0:
	s_clause 0x2
	s_load_dwordx2 s[0:1], s[4:5], 0x10
	s_load_dwordx8 s[12:19], s[4:5], 0x40
	s_load_dwordx4 s[20:23], s[4:5], 0x80
	s_waitcnt lgkmcnt(0)
	s_cmp_eq_u64 s[0:1], 0
	s_cselect_b32 s10, -1, 0
	s_cmp_lg_u64 s[0:1], 0
	s_cselect_b32 s11, -1, 0
	s_and_b32 vcc_lo, exec_lo, s10
	s_cbranch_vccnz .LBB84_2
; %bb.1:
	s_mul_i32 s2, s23, s8
	s_mov_b32 s3, 0
	s_add_i32 s2, s2, s7
	s_lshl_b64 s[24:25], s[2:3], 2
	s_add_u32 s0, s0, s24
	s_addc_u32 s1, s1, s25
	s_load_dword s9, s[0:1], 0x0
	s_cbranch_execz .LBB84_3
	s_branch .LBB84_4
.LBB84_2:
                                        ; implicit-def: $sgpr9
.LBB84_3:
	s_load_dwordx2 s[0:1], s[4:5], 0x5c
	s_waitcnt lgkmcnt(0)
	s_mul_hi_u32 s0, s0, s7
	s_add_i32 s0, s7, s0
	s_lshr_b32 s9, s0, s1
.LBB84_4:
	s_load_dwordx4 s[24:27], s[4:5], 0x68
	s_andn2_b32 vcc_lo, exec_lo, s11
	s_mov_b32 s19, s7
	s_cbranch_vccnz .LBB84_6
; %bb.5:
	s_mul_hi_u32 s0, s13, s7
	s_add_i32 s0, s7, s0
	s_lshr_b32 s0, s0, s14
	s_mul_i32 s0, s0, s15
	s_sub_i32 s19, s7, s0
.LBB84_6:
	s_load_dword s15, s[4:5], 0x78
	v_cmp_gt_u32_e32 vcc_lo, 32, v0
	v_lshl_add_u32 v5, v0, 2, 0
	s_and_saveexec_b32 s0, vcc_lo
; %bb.7:
	v_mov_b32_e32 v1, 0
	ds_write_b32 v5, v1
; %bb.8:
	s_or_b32 exec_lo, exec_lo, s0
	v_mov_b32_e32 v6, 0
	v_mov_b32_e32 v7, 0
	;; [unrolled: 1-line block ×8, first 2 shown]
	s_and_b32 s0, exec_lo, s10
	s_mov_b32 s11, 0
	s_cselect_b32 s10, s8, 0
	s_mov_b32 s13, exec_lo
	s_waitcnt lgkmcnt(0)
	s_barrier
	buffer_gl0_inv
	v_cmpx_gt_i32_e64 s12, v0
	s_cbranch_execz .LBB84_12
; %bb.9:
	s_load_dwordx4 s[0:3], s[4:5], 0x0
	s_mul_hi_u32 s23, s27, s10
	s_mul_hi_i32 s29, s21, s10
	s_mul_i32 s28, s21, s10
	s_mul_i32 s8, s9, s24
	;; [unrolled: 1-line block ×4, first 2 shown]
	s_add_i32 s16, s10, s23
	s_lshl_b64 s[28:29], s[28:29], 2
	s_ashr_i32 s9, s8, 31
	s_ashr_i32 s25, s24, 31
	;; [unrolled: 1-line block ×3, first 2 shown]
	s_lshr_b32 s15, s16, s15
	v_lshlrev_b32_e32 v1, 3, v0
	s_mul_hi_i32 s37, s15, s20
	s_mul_i32 s36, s15, s20
	s_mov_b32 s34, s17
	v_mov_b32_e32 v12, 0
	v_mov_b32_e32 v13, v0
	;; [unrolled: 1-line block ×3, first 2 shown]
	s_waitcnt lgkmcnt(0)
	s_add_u32 s16, s2, s28
	s_addc_u32 s19, s3, s29
	s_lshl_b64 s[30:31], s[30:31], 2
	v_mov_b32_e32 v11, 0
	s_add_u32 s15, s16, s30
	s_addc_u32 s16, s19, s31
	s_lshl_b64 s[8:9], s[8:9], 2
	s_ashr_i32 s35, s17, 31
	s_add_i32 s19, s17, s17
	s_lshl_b32 s20, s17, 2
	s_lshl_b64 s[36:37], s[36:37], 2
	s_lshl_b64 s[24:25], s[24:25], 2
	s_add_u32 s0, s0, s8
	s_addc_u32 s1, s1, s9
	s_add_u32 s0, s0, s24
	s_addc_u32 s1, s1, s25
	;; [unrolled: 2-line block ×3, first 2 shown]
	v_add_co_u32 v2, s0, s0, v1
	s_lshl_b64 s[8:9], s[34:35], 3
	v_add_co_ci_u32_e64 v3, null, s1, 0, s0
	s_add_u32 s0, s2, s30
	s_addc_u32 s1, s3, s31
	s_add_u32 s0, s0, s28
	s_addc_u32 s1, s1, s29
	v_add_co_u32 v4, s0, s0, v1
	v_add_co_ci_u32_e64 v6, null, s1, 0, s0
	v_add_co_u32 v1, s0, v2, 4
	v_add_co_ci_u32_e64 v2, null, 0, v3, s0
	;; [unrolled: 2-line block ×3, first 2 shown]
	v_mov_b32_e32 v10, 0
	v_mov_b32_e32 v9, 0
	;; [unrolled: 1-line block ×5, first 2 shown]
	s_mul_i32 s14, s17, 3
	s_mul_i32 s1, s17, 5
	;; [unrolled: 1-line block ×4, first 2 shown]
.LBB84_10:                              ; =>This Inner Loop Header: Depth=1
	v_add_nc_u32_e32 v21, s19, v13
	v_add_nc_u32_e32 v23, s14, v13
	;; [unrolled: 1-line block ×5, first 2 shown]
	v_ashrrev_i32_e32 v22, 31, v21
	v_ashrrev_i32_e32 v24, 31, v23
	;; [unrolled: 1-line block ×3, first 2 shown]
	v_add_nc_u32_e32 v31, s3, v13
	v_ashrrev_i32_e32 v28, 31, v27
	v_lshlrev_b64 v[21:22], 3, v[21:22]
	v_lshlrev_b64 v[23:24], 3, v[23:24]
	v_ashrrev_i32_e32 v30, 31, v29
	v_add_co_u32 v19, s0, v3, s8
	v_lshlrev_b64 v[25:26], 3, v[25:26]
	v_ashrrev_i32_e32 v32, 31, v31
	v_add_co_ci_u32_e64 v20, null, s9, v4, s0
	v_lshlrev_b64 v[27:28], 3, v[27:28]
	v_add_co_u32 v21, s0, s15, v21
	v_lshlrev_b64 v[29:30], 3, v[29:30]
	v_add_co_ci_u32_e64 v22, null, s16, v22, s0
	v_add_co_u32 v23, s0, s15, v23
	v_lshlrev_b64 v[31:32], 3, v[31:32]
	v_add_co_ci_u32_e64 v24, null, s16, v24, s0
	v_add_co_u32 v25, s0, s15, v25
	v_add_co_ci_u32_e64 v26, null, s16, v26, s0
	v_add_co_u32 v27, s0, s15, v27
	;; [unrolled: 2-line block ×4, first 2 shown]
	v_add_co_ci_u32_e64 v32, null, s16, v32, s0
	global_load_dwordx2 v[15:16], v[1:2], off offset:-4
	s_clause 0x1
	global_load_dwordx2 v[17:18], v[3:4], off offset:-4
	global_load_dwordx2 v[19:20], v[19:20], off offset:-4
	s_clause 0x5
	global_load_dwordx2 v[21:22], v[21:22], off
	global_load_dwordx2 v[23:24], v[23:24], off
	;; [unrolled: 1-line block ×6, first 2 shown]
	v_add_nc_u32_e32 v13, 0xa0, v13
	v_add_co_u32 v1, s0, 0x500, v1
	v_add_co_ci_u32_e64 v2, null, 0, v2, s0
	v_add_co_u32 v3, s0, 0x500, v3
	v_add_co_ci_u32_e64 v4, null, 0, v4, s0
	v_cmp_le_i32_e64 s0, s12, v13
	s_or_b32 s11, s0, s11
	s_waitcnt vmcnt(5)
	v_fmac_f32_e32 v11, v15, v21
	v_fmac_f32_e32 v12, v15, v17
	;; [unrolled: 1-line block ×3, first 2 shown]
	s_waitcnt vmcnt(4)
	v_fmac_f32_e32 v10, v15, v23
	s_waitcnt vmcnt(3)
	v_fmac_f32_e32 v9, v15, v25
	;; [unrolled: 2-line block ×5, first 2 shown]
	v_fmac_f32_e32 v12, v16, v18
	v_fmac_f32_e32 v14, v16, v20
	;; [unrolled: 1-line block ×8, first 2 shown]
	s_andn2_b32 exec_lo, exec_lo, s11
	s_cbranch_execnz .LBB84_10
; %bb.11:
	s_or_b32 exec_lo, exec_lo, s11
.LBB84_12:
	s_or_b32 exec_lo, exec_lo, s13
	v_mbcnt_lo_u32_b32 v2, -1, 0
	v_xor_b32_e32 v1, 16, v2
	v_xor_b32_e32 v3, 8, v2
	v_cmp_gt_i32_e64 s0, 32, v1
	v_cndmask_b32_e64 v1, v2, v1, s0
	v_cmp_gt_i32_e64 s0, 32, v3
	v_lshlrev_b32_e32 v1, 2, v1
	v_cndmask_b32_e64 v3, v2, v3, s0
	ds_bpermute_b32 v4, v1, v12
	v_lshlrev_b32_e32 v3, 2, v3
	s_waitcnt lgkmcnt(0)
	v_add_f32_e32 v12, v12, v4
	v_xor_b32_e32 v4, 4, v2
	ds_bpermute_b32 v13, v3, v12
	v_cmp_gt_i32_e64 s0, 32, v4
	v_cndmask_b32_e64 v4, v2, v4, s0
	v_lshlrev_b32_e32 v4, 2, v4
	s_waitcnt lgkmcnt(0)
	v_add_f32_e32 v13, v12, v13
	v_xor_b32_e32 v12, 2, v2
	ds_bpermute_b32 v15, v4, v13
	v_cmp_gt_i32_e64 s0, 32, v12
	v_cndmask_b32_e64 v12, v2, v12, s0
	;; [unrolled: 7-line block ×3, first 2 shown]
	v_lshlrev_b32_e32 v13, 2, v2
	s_waitcnt lgkmcnt(0)
	v_add_f32_e32 v2, v15, v16
	v_lshrrev_b32_e32 v15, 3, v0
	ds_bpermute_b32 v16, v13, v2
	v_and_b32_e32 v15, 0x7c, v15
	v_add_nc_u32_e32 v15, 0, v15
	s_waitcnt lgkmcnt(0)
	v_add_f32_e32 v2, v2, v16
	ds_write_b32 v15, v2
	s_waitcnt lgkmcnt(0)
	s_barrier
	buffer_gl0_inv
	s_and_saveexec_b32 s0, vcc_lo
	s_cbranch_execz .LBB84_14
; %bb.13:
	ds_read_b32 v2, v5
	s_waitcnt lgkmcnt(0)
	ds_bpermute_b32 v16, v1, v2
	s_waitcnt lgkmcnt(0)
	v_add_f32_e32 v2, v2, v16
	ds_bpermute_b32 v16, v3, v2
	s_waitcnt lgkmcnt(0)
	v_add_f32_e32 v2, v2, v16
	ds_bpermute_b32 v16, v4, v2
	s_waitcnt lgkmcnt(0)
	v_add_f32_e32 v2, v2, v16
	ds_bpermute_b32 v16, v12, v2
	s_waitcnt lgkmcnt(0)
	v_add_f32_e32 v2, v2, v16
	ds_bpermute_b32 v16, v13, v2
	s_waitcnt lgkmcnt(0)
	v_add_f32_e32 v2, v2, v16
.LBB84_14:
	s_or_b32 exec_lo, exec_lo, s0
	ds_bpermute_b32 v16, v1, v14
	s_waitcnt lgkmcnt(0)
	s_barrier
	buffer_gl0_inv
	v_add_f32_e32 v14, v14, v16
	ds_bpermute_b32 v16, v3, v14
	s_waitcnt lgkmcnt(0)
	v_add_f32_e32 v14, v14, v16
	ds_bpermute_b32 v16, v4, v14
	s_waitcnt lgkmcnt(0)
	v_add_f32_e32 v14, v14, v16
	ds_bpermute_b32 v16, v12, v14
	s_waitcnt lgkmcnt(0)
	v_add_f32_e32 v14, v14, v16
	ds_bpermute_b32 v16, v13, v14
	s_waitcnt lgkmcnt(0)
	v_add_f32_e32 v14, v14, v16
	ds_write_b32 v15, v14
	s_waitcnt lgkmcnt(0)
	s_barrier
	buffer_gl0_inv
	s_and_saveexec_b32 s0, vcc_lo
	s_cbranch_execz .LBB84_16
; %bb.15:
	ds_read_b32 v14, v5
	s_waitcnt lgkmcnt(0)
	ds_bpermute_b32 v16, v1, v14
	s_waitcnt lgkmcnt(0)
	v_add_f32_e32 v14, v14, v16
	ds_bpermute_b32 v16, v3, v14
	s_waitcnt lgkmcnt(0)
	v_add_f32_e32 v14, v14, v16
	ds_bpermute_b32 v16, v4, v14
	s_waitcnt lgkmcnt(0)
	v_add_f32_e32 v14, v14, v16
	ds_bpermute_b32 v16, v12, v14
	s_waitcnt lgkmcnt(0)
	v_add_f32_e32 v14, v14, v16
	ds_bpermute_b32 v16, v13, v14
	s_waitcnt lgkmcnt(0)
	v_add_f32_e32 v14, v14, v16
.LBB84_16:
	s_or_b32 exec_lo, exec_lo, s0
	ds_bpermute_b32 v16, v1, v11
	s_waitcnt lgkmcnt(0)
	s_barrier
	buffer_gl0_inv
	v_add_f32_e32 v11, v11, v16
	ds_bpermute_b32 v16, v3, v11
	s_waitcnt lgkmcnt(0)
	v_add_f32_e32 v11, v11, v16
	ds_bpermute_b32 v16, v4, v11
	s_waitcnt lgkmcnt(0)
	v_add_f32_e32 v11, v11, v16
	ds_bpermute_b32 v16, v12, v11
	s_waitcnt lgkmcnt(0)
	v_add_f32_e32 v11, v11, v16
	ds_bpermute_b32 v16, v13, v11
	;; [unrolled: 43-line block ×7, first 2 shown]
	s_waitcnt lgkmcnt(0)
	v_add_f32_e32 v6, v6, v16
	ds_write_b32 v15, v6
	s_waitcnt lgkmcnt(0)
	s_barrier
	buffer_gl0_inv
	s_and_saveexec_b32 s0, vcc_lo
	s_cbranch_execz .LBB84_28
; %bb.27:
	ds_read_b32 v5, v5
	s_waitcnt lgkmcnt(0)
	ds_bpermute_b32 v1, v1, v5
	s_waitcnt lgkmcnt(0)
	v_add_f32_e32 v1, v5, v1
	ds_bpermute_b32 v3, v3, v1
	s_waitcnt lgkmcnt(0)
	v_add_f32_e32 v1, v1, v3
	;; [unrolled: 3-line block ×5, first 2 shown]
.LBB84_28:
	s_or_b32 exec_lo, exec_lo, s0
	s_barrier
	buffer_gl0_inv
	s_mov_b32 s0, exec_lo
	v_cmpx_gt_u32_e32 8, v0
	s_cbranch_execz .LBB84_30
; %bb.29:
	v_cmp_eq_u32_e32 vcc_lo, 1, v0
	s_load_dwordx2 s[0:1], s[4:5], 0x38
	s_mul_hi_i32 s3, s22, s10
	s_mul_i32 s2, s22, s10
	s_mul_i32 s4, s26, s7
	v_cndmask_b32_e32 v1, v2, v14, vcc_lo
	v_cmp_eq_u32_e32 vcc_lo, 2, v0
	s_lshl_b64 s[2:3], s[2:3], 2
	s_ashr_i32 s5, s4, 31
	v_cndmask_b32_e32 v3, v1, v11, vcc_lo
	v_cmp_eq_u32_e32 vcc_lo, 3, v0
	v_mad_u64_u32 v[1:2], null, s18, v0, s[6:7]
	v_cndmask_b32_e32 v2, v3, v10, vcc_lo
	v_cmp_eq_u32_e32 vcc_lo, 4, v0
	s_waitcnt lgkmcnt(0)
	s_add_u32 s2, s0, s2
	s_addc_u32 s3, s1, s3
	v_cndmask_b32_e32 v3, v2, v9, vcc_lo
	v_cmp_eq_u32_e32 vcc_lo, 5, v0
	v_ashrrev_i32_e32 v2, 31, v1
	s_lshl_b64 s[0:1], s[4:5], 2
	s_add_u32 s0, s2, s0
	v_cndmask_b32_e32 v3, v3, v8, vcc_lo
	v_cmp_eq_u32_e32 vcc_lo, 6, v0
	v_lshlrev_b64 v[1:2], 2, v[1:2]
	s_addc_u32 s1, s3, s1
	v_cndmask_b32_e32 v3, v3, v7, vcc_lo
	v_cmp_eq_u32_e32 vcc_lo, 7, v0
	v_cndmask_b32_e32 v3, v3, v6, vcc_lo
	v_add_co_u32 v0, vcc_lo, s0, v1
	v_add_co_ci_u32_e64 v1, null, s1, v2, vcc_lo
	global_store_dword v[0:1], v3, off
.LBB84_30:
	s_endpgm
	.section	.rodata,"a",@progbits
	.p2align	6, 0x0
	.amdhsa_kernel _ZL13mul_mat_vec_fIffLi8ELi160ELb0ELb0EEvPKT_PKfPKi31ggml_cuda_mm_fusion_args_devicePfi15HIP_vector_typeIjLj3EEiiiSA_iiiSA_iiii
		.amdhsa_group_segment_fixed_size 0
		.amdhsa_private_segment_fixed_size 0
		.amdhsa_kernarg_size 144
		.amdhsa_user_sgpr_count 6
		.amdhsa_user_sgpr_private_segment_buffer 1
		.amdhsa_user_sgpr_dispatch_ptr 0
		.amdhsa_user_sgpr_queue_ptr 0
		.amdhsa_user_sgpr_kernarg_segment_ptr 1
		.amdhsa_user_sgpr_dispatch_id 0
		.amdhsa_user_sgpr_flat_scratch_init 0
		.amdhsa_user_sgpr_private_segment_size 0
		.amdhsa_wavefront_size32 1
		.amdhsa_uses_dynamic_stack 0
		.amdhsa_system_sgpr_private_segment_wavefront_offset 0
		.amdhsa_system_sgpr_workgroup_id_x 1
		.amdhsa_system_sgpr_workgroup_id_y 1
		.amdhsa_system_sgpr_workgroup_id_z 1
		.amdhsa_system_sgpr_workgroup_info 0
		.amdhsa_system_vgpr_workitem_id 0
		.amdhsa_next_free_vgpr 33
		.amdhsa_next_free_sgpr 38
		.amdhsa_reserve_vcc 1
		.amdhsa_reserve_flat_scratch 0
		.amdhsa_float_round_mode_32 0
		.amdhsa_float_round_mode_16_64 0
		.amdhsa_float_denorm_mode_32 3
		.amdhsa_float_denorm_mode_16_64 3
		.amdhsa_dx10_clamp 1
		.amdhsa_ieee_mode 1
		.amdhsa_fp16_overflow 0
		.amdhsa_workgroup_processor_mode 1
		.amdhsa_memory_ordered 1
		.amdhsa_forward_progress 1
		.amdhsa_shared_vgpr_count 0
		.amdhsa_exception_fp_ieee_invalid_op 0
		.amdhsa_exception_fp_denorm_src 0
		.amdhsa_exception_fp_ieee_div_zero 0
		.amdhsa_exception_fp_ieee_overflow 0
		.amdhsa_exception_fp_ieee_underflow 0
		.amdhsa_exception_fp_ieee_inexact 0
		.amdhsa_exception_int_div_zero 0
	.end_amdhsa_kernel
	.section	.text._ZL13mul_mat_vec_fIffLi8ELi160ELb0ELb0EEvPKT_PKfPKi31ggml_cuda_mm_fusion_args_devicePfi15HIP_vector_typeIjLj3EEiiiSA_iiiSA_iiii,"axG",@progbits,_ZL13mul_mat_vec_fIffLi8ELi160ELb0ELb0EEvPKT_PKfPKi31ggml_cuda_mm_fusion_args_devicePfi15HIP_vector_typeIjLj3EEiiiSA_iiiSA_iiii,comdat
.Lfunc_end84:
	.size	_ZL13mul_mat_vec_fIffLi8ELi160ELb0ELb0EEvPKT_PKfPKi31ggml_cuda_mm_fusion_args_devicePfi15HIP_vector_typeIjLj3EEiiiSA_iiiSA_iiii, .Lfunc_end84-_ZL13mul_mat_vec_fIffLi8ELi160ELb0ELb0EEvPKT_PKfPKi31ggml_cuda_mm_fusion_args_devicePfi15HIP_vector_typeIjLj3EEiiiSA_iiiSA_iiii
                                        ; -- End function
	.set _ZL13mul_mat_vec_fIffLi8ELi160ELb0ELb0EEvPKT_PKfPKi31ggml_cuda_mm_fusion_args_devicePfi15HIP_vector_typeIjLj3EEiiiSA_iiiSA_iiii.num_vgpr, 33
	.set _ZL13mul_mat_vec_fIffLi8ELi160ELb0ELb0EEvPKT_PKfPKi31ggml_cuda_mm_fusion_args_devicePfi15HIP_vector_typeIjLj3EEiiiSA_iiiSA_iiii.num_agpr, 0
	.set _ZL13mul_mat_vec_fIffLi8ELi160ELb0ELb0EEvPKT_PKfPKi31ggml_cuda_mm_fusion_args_devicePfi15HIP_vector_typeIjLj3EEiiiSA_iiiSA_iiii.numbered_sgpr, 38
	.set _ZL13mul_mat_vec_fIffLi8ELi160ELb0ELb0EEvPKT_PKfPKi31ggml_cuda_mm_fusion_args_devicePfi15HIP_vector_typeIjLj3EEiiiSA_iiiSA_iiii.num_named_barrier, 0
	.set _ZL13mul_mat_vec_fIffLi8ELi160ELb0ELb0EEvPKT_PKfPKi31ggml_cuda_mm_fusion_args_devicePfi15HIP_vector_typeIjLj3EEiiiSA_iiiSA_iiii.private_seg_size, 0
	.set _ZL13mul_mat_vec_fIffLi8ELi160ELb0ELb0EEvPKT_PKfPKi31ggml_cuda_mm_fusion_args_devicePfi15HIP_vector_typeIjLj3EEiiiSA_iiiSA_iiii.uses_vcc, 1
	.set _ZL13mul_mat_vec_fIffLi8ELi160ELb0ELb0EEvPKT_PKfPKi31ggml_cuda_mm_fusion_args_devicePfi15HIP_vector_typeIjLj3EEiiiSA_iiiSA_iiii.uses_flat_scratch, 0
	.set _ZL13mul_mat_vec_fIffLi8ELi160ELb0ELb0EEvPKT_PKfPKi31ggml_cuda_mm_fusion_args_devicePfi15HIP_vector_typeIjLj3EEiiiSA_iiiSA_iiii.has_dyn_sized_stack, 0
	.set _ZL13mul_mat_vec_fIffLi8ELi160ELb0ELb0EEvPKT_PKfPKi31ggml_cuda_mm_fusion_args_devicePfi15HIP_vector_typeIjLj3EEiiiSA_iiiSA_iiii.has_recursion, 0
	.set _ZL13mul_mat_vec_fIffLi8ELi160ELb0ELb0EEvPKT_PKfPKi31ggml_cuda_mm_fusion_args_devicePfi15HIP_vector_typeIjLj3EEiiiSA_iiiSA_iiii.has_indirect_call, 0
	.section	.AMDGPU.csdata,"",@progbits
; Kernel info:
; codeLenInByte = 3080
; TotalNumSgprs: 40
; NumVgprs: 33
; ScratchSize: 0
; MemoryBound: 0
; FloatMode: 240
; IeeeMode: 1
; LDSByteSize: 0 bytes/workgroup (compile time only)
; SGPRBlocks: 0
; VGPRBlocks: 4
; NumSGPRsForWavesPerEU: 40
; NumVGPRsForWavesPerEU: 33
; Occupancy: 16
; WaveLimiterHint : 0
; COMPUTE_PGM_RSRC2:SCRATCH_EN: 0
; COMPUTE_PGM_RSRC2:USER_SGPR: 6
; COMPUTE_PGM_RSRC2:TRAP_HANDLER: 0
; COMPUTE_PGM_RSRC2:TGID_X_EN: 1
; COMPUTE_PGM_RSRC2:TGID_Y_EN: 1
; COMPUTE_PGM_RSRC2:TGID_Z_EN: 1
; COMPUTE_PGM_RSRC2:TIDIG_COMP_CNT: 0
	.section	.text._ZL13mul_mat_vec_fIffLi8ELi192ELb0ELb0EEvPKT_PKfPKi31ggml_cuda_mm_fusion_args_devicePfi15HIP_vector_typeIjLj3EEiiiSA_iiiSA_iiii,"axG",@progbits,_ZL13mul_mat_vec_fIffLi8ELi192ELb0ELb0EEvPKT_PKfPKi31ggml_cuda_mm_fusion_args_devicePfi15HIP_vector_typeIjLj3EEiiiSA_iiiSA_iiii,comdat
	.globl	_ZL13mul_mat_vec_fIffLi8ELi192ELb0ELb0EEvPKT_PKfPKi31ggml_cuda_mm_fusion_args_devicePfi15HIP_vector_typeIjLj3EEiiiSA_iiiSA_iiii ; -- Begin function _ZL13mul_mat_vec_fIffLi8ELi192ELb0ELb0EEvPKT_PKfPKi31ggml_cuda_mm_fusion_args_devicePfi15HIP_vector_typeIjLj3EEiiiSA_iiiSA_iiii
	.p2align	8
	.type	_ZL13mul_mat_vec_fIffLi8ELi192ELb0ELb0EEvPKT_PKfPKi31ggml_cuda_mm_fusion_args_devicePfi15HIP_vector_typeIjLj3EEiiiSA_iiiSA_iiii,@function
_ZL13mul_mat_vec_fIffLi8ELi192ELb0ELb0EEvPKT_PKfPKi31ggml_cuda_mm_fusion_args_devicePfi15HIP_vector_typeIjLj3EEiiiSA_iiiSA_iiii: ; @_ZL13mul_mat_vec_fIffLi8ELi192ELb0ELb0EEvPKT_PKfPKi31ggml_cuda_mm_fusion_args_devicePfi15HIP_vector_typeIjLj3EEiiiSA_iiiSA_iiii
; %bb.0:
	s_clause 0x2
	s_load_dwordx2 s[0:1], s[4:5], 0x10
	s_load_dwordx8 s[12:19], s[4:5], 0x40
	s_load_dwordx4 s[20:23], s[4:5], 0x80
	s_waitcnt lgkmcnt(0)
	s_cmp_eq_u64 s[0:1], 0
	s_cselect_b32 s10, -1, 0
	s_cmp_lg_u64 s[0:1], 0
	s_cselect_b32 s11, -1, 0
	s_and_b32 vcc_lo, exec_lo, s10
	s_cbranch_vccnz .LBB85_2
; %bb.1:
	s_mul_i32 s2, s23, s8
	s_mov_b32 s3, 0
	s_add_i32 s2, s2, s7
	s_lshl_b64 s[24:25], s[2:3], 2
	s_add_u32 s0, s0, s24
	s_addc_u32 s1, s1, s25
	s_load_dword s9, s[0:1], 0x0
	s_cbranch_execz .LBB85_3
	s_branch .LBB85_4
.LBB85_2:
                                        ; implicit-def: $sgpr9
.LBB85_3:
	s_load_dwordx2 s[0:1], s[4:5], 0x5c
	s_waitcnt lgkmcnt(0)
	s_mul_hi_u32 s0, s0, s7
	s_add_i32 s0, s7, s0
	s_lshr_b32 s9, s0, s1
.LBB85_4:
	s_load_dwordx4 s[24:27], s[4:5], 0x68
	s_andn2_b32 vcc_lo, exec_lo, s11
	s_mov_b32 s19, s7
	s_cbranch_vccnz .LBB85_6
; %bb.5:
	s_mul_hi_u32 s0, s13, s7
	s_add_i32 s0, s7, s0
	s_lshr_b32 s0, s0, s14
	s_mul_i32 s0, s0, s15
	s_sub_i32 s19, s7, s0
.LBB85_6:
	s_load_dword s15, s[4:5], 0x78
	v_cmp_gt_u32_e32 vcc_lo, 32, v0
	v_lshl_add_u32 v5, v0, 2, 0
	s_and_saveexec_b32 s0, vcc_lo
; %bb.7:
	v_mov_b32_e32 v1, 0
	ds_write_b32 v5, v1
; %bb.8:
	s_or_b32 exec_lo, exec_lo, s0
	v_mov_b32_e32 v6, 0
	v_mov_b32_e32 v7, 0
	;; [unrolled: 1-line block ×8, first 2 shown]
	s_and_b32 s0, exec_lo, s10
	s_mov_b32 s11, 0
	s_cselect_b32 s10, s8, 0
	s_mov_b32 s13, exec_lo
	s_waitcnt lgkmcnt(0)
	s_barrier
	buffer_gl0_inv
	v_cmpx_gt_i32_e64 s12, v0
	s_cbranch_execz .LBB85_12
; %bb.9:
	s_load_dwordx4 s[0:3], s[4:5], 0x0
	s_mul_hi_u32 s23, s27, s10
	s_mul_hi_i32 s29, s21, s10
	s_mul_i32 s28, s21, s10
	s_mul_i32 s8, s9, s24
	;; [unrolled: 1-line block ×4, first 2 shown]
	s_add_i32 s16, s10, s23
	s_lshl_b64 s[28:29], s[28:29], 2
	s_ashr_i32 s9, s8, 31
	s_ashr_i32 s25, s24, 31
	;; [unrolled: 1-line block ×3, first 2 shown]
	s_lshr_b32 s15, s16, s15
	v_lshlrev_b32_e32 v1, 3, v0
	s_mul_hi_i32 s37, s15, s20
	s_mul_i32 s36, s15, s20
	s_mov_b32 s34, s17
	v_mov_b32_e32 v12, 0
	v_mov_b32_e32 v13, v0
	;; [unrolled: 1-line block ×3, first 2 shown]
	s_waitcnt lgkmcnt(0)
	s_add_u32 s16, s2, s28
	s_addc_u32 s19, s3, s29
	s_lshl_b64 s[30:31], s[30:31], 2
	v_mov_b32_e32 v11, 0
	s_add_u32 s15, s16, s30
	s_addc_u32 s16, s19, s31
	s_lshl_b64 s[8:9], s[8:9], 2
	s_ashr_i32 s35, s17, 31
	s_add_i32 s19, s17, s17
	s_lshl_b32 s20, s17, 2
	s_lshl_b64 s[36:37], s[36:37], 2
	s_lshl_b64 s[24:25], s[24:25], 2
	s_add_u32 s0, s0, s8
	s_addc_u32 s1, s1, s9
	s_add_u32 s0, s0, s24
	s_addc_u32 s1, s1, s25
	;; [unrolled: 2-line block ×3, first 2 shown]
	v_add_co_u32 v2, s0, s0, v1
	s_lshl_b64 s[8:9], s[34:35], 3
	v_add_co_ci_u32_e64 v3, null, s1, 0, s0
	s_add_u32 s0, s2, s30
	s_addc_u32 s1, s3, s31
	s_add_u32 s0, s0, s28
	s_addc_u32 s1, s1, s29
	v_add_co_u32 v4, s0, s0, v1
	v_add_co_ci_u32_e64 v6, null, s1, 0, s0
	v_add_co_u32 v1, s0, v2, 4
	v_add_co_ci_u32_e64 v2, null, 0, v3, s0
	;; [unrolled: 2-line block ×3, first 2 shown]
	v_mov_b32_e32 v10, 0
	v_mov_b32_e32 v9, 0
	;; [unrolled: 1-line block ×5, first 2 shown]
	s_mul_i32 s14, s17, 3
	s_mul_i32 s1, s17, 5
	;; [unrolled: 1-line block ×4, first 2 shown]
.LBB85_10:                              ; =>This Inner Loop Header: Depth=1
	v_add_nc_u32_e32 v21, s19, v13
	v_add_nc_u32_e32 v23, s14, v13
	;; [unrolled: 1-line block ×5, first 2 shown]
	v_ashrrev_i32_e32 v22, 31, v21
	v_ashrrev_i32_e32 v24, 31, v23
	;; [unrolled: 1-line block ×3, first 2 shown]
	v_add_nc_u32_e32 v31, s3, v13
	v_ashrrev_i32_e32 v28, 31, v27
	v_lshlrev_b64 v[21:22], 3, v[21:22]
	v_lshlrev_b64 v[23:24], 3, v[23:24]
	v_ashrrev_i32_e32 v30, 31, v29
	v_add_co_u32 v19, s0, v3, s8
	v_lshlrev_b64 v[25:26], 3, v[25:26]
	v_ashrrev_i32_e32 v32, 31, v31
	v_add_co_ci_u32_e64 v20, null, s9, v4, s0
	v_lshlrev_b64 v[27:28], 3, v[27:28]
	v_add_co_u32 v21, s0, s15, v21
	v_lshlrev_b64 v[29:30], 3, v[29:30]
	v_add_co_ci_u32_e64 v22, null, s16, v22, s0
	v_add_co_u32 v23, s0, s15, v23
	v_lshlrev_b64 v[31:32], 3, v[31:32]
	v_add_co_ci_u32_e64 v24, null, s16, v24, s0
	v_add_co_u32 v25, s0, s15, v25
	v_add_co_ci_u32_e64 v26, null, s16, v26, s0
	v_add_co_u32 v27, s0, s15, v27
	;; [unrolled: 2-line block ×4, first 2 shown]
	v_add_co_ci_u32_e64 v32, null, s16, v32, s0
	global_load_dwordx2 v[15:16], v[1:2], off offset:-4
	s_clause 0x1
	global_load_dwordx2 v[17:18], v[3:4], off offset:-4
	global_load_dwordx2 v[19:20], v[19:20], off offset:-4
	s_clause 0x5
	global_load_dwordx2 v[21:22], v[21:22], off
	global_load_dwordx2 v[23:24], v[23:24], off
	;; [unrolled: 1-line block ×6, first 2 shown]
	v_add_nc_u32_e32 v13, 0xc0, v13
	v_add_co_u32 v1, s0, 0x600, v1
	v_add_co_ci_u32_e64 v2, null, 0, v2, s0
	v_add_co_u32 v3, s0, 0x600, v3
	v_add_co_ci_u32_e64 v4, null, 0, v4, s0
	v_cmp_le_i32_e64 s0, s12, v13
	s_or_b32 s11, s0, s11
	s_waitcnt vmcnt(5)
	v_fmac_f32_e32 v11, v15, v21
	v_fmac_f32_e32 v12, v15, v17
	;; [unrolled: 1-line block ×3, first 2 shown]
	s_waitcnt vmcnt(4)
	v_fmac_f32_e32 v10, v15, v23
	s_waitcnt vmcnt(3)
	v_fmac_f32_e32 v9, v15, v25
	;; [unrolled: 2-line block ×5, first 2 shown]
	v_fmac_f32_e32 v12, v16, v18
	v_fmac_f32_e32 v14, v16, v20
	;; [unrolled: 1-line block ×8, first 2 shown]
	s_andn2_b32 exec_lo, exec_lo, s11
	s_cbranch_execnz .LBB85_10
; %bb.11:
	s_or_b32 exec_lo, exec_lo, s11
.LBB85_12:
	s_or_b32 exec_lo, exec_lo, s13
	v_mbcnt_lo_u32_b32 v2, -1, 0
	v_xor_b32_e32 v1, 16, v2
	v_xor_b32_e32 v3, 8, v2
	v_cmp_gt_i32_e64 s0, 32, v1
	v_cndmask_b32_e64 v1, v2, v1, s0
	v_cmp_gt_i32_e64 s0, 32, v3
	v_lshlrev_b32_e32 v1, 2, v1
	v_cndmask_b32_e64 v3, v2, v3, s0
	ds_bpermute_b32 v4, v1, v12
	v_lshlrev_b32_e32 v3, 2, v3
	s_waitcnt lgkmcnt(0)
	v_add_f32_e32 v12, v12, v4
	v_xor_b32_e32 v4, 4, v2
	ds_bpermute_b32 v13, v3, v12
	v_cmp_gt_i32_e64 s0, 32, v4
	v_cndmask_b32_e64 v4, v2, v4, s0
	v_lshlrev_b32_e32 v4, 2, v4
	s_waitcnt lgkmcnt(0)
	v_add_f32_e32 v13, v12, v13
	v_xor_b32_e32 v12, 2, v2
	ds_bpermute_b32 v15, v4, v13
	v_cmp_gt_i32_e64 s0, 32, v12
	v_cndmask_b32_e64 v12, v2, v12, s0
	;; [unrolled: 7-line block ×3, first 2 shown]
	v_lshlrev_b32_e32 v13, 2, v2
	s_waitcnt lgkmcnt(0)
	v_add_f32_e32 v2, v15, v16
	v_lshrrev_b32_e32 v15, 3, v0
	ds_bpermute_b32 v16, v13, v2
	v_and_b32_e32 v15, 0x7c, v15
	v_add_nc_u32_e32 v15, 0, v15
	s_waitcnt lgkmcnt(0)
	v_add_f32_e32 v2, v2, v16
	ds_write_b32 v15, v2
	s_waitcnt lgkmcnt(0)
	s_barrier
	buffer_gl0_inv
	s_and_saveexec_b32 s0, vcc_lo
	s_cbranch_execz .LBB85_14
; %bb.13:
	ds_read_b32 v2, v5
	s_waitcnt lgkmcnt(0)
	ds_bpermute_b32 v16, v1, v2
	s_waitcnt lgkmcnt(0)
	v_add_f32_e32 v2, v2, v16
	ds_bpermute_b32 v16, v3, v2
	s_waitcnt lgkmcnt(0)
	v_add_f32_e32 v2, v2, v16
	ds_bpermute_b32 v16, v4, v2
	s_waitcnt lgkmcnt(0)
	v_add_f32_e32 v2, v2, v16
	ds_bpermute_b32 v16, v12, v2
	s_waitcnt lgkmcnt(0)
	v_add_f32_e32 v2, v2, v16
	ds_bpermute_b32 v16, v13, v2
	s_waitcnt lgkmcnt(0)
	v_add_f32_e32 v2, v2, v16
.LBB85_14:
	s_or_b32 exec_lo, exec_lo, s0
	ds_bpermute_b32 v16, v1, v14
	s_waitcnt lgkmcnt(0)
	s_barrier
	buffer_gl0_inv
	v_add_f32_e32 v14, v14, v16
	ds_bpermute_b32 v16, v3, v14
	s_waitcnt lgkmcnt(0)
	v_add_f32_e32 v14, v14, v16
	ds_bpermute_b32 v16, v4, v14
	s_waitcnt lgkmcnt(0)
	v_add_f32_e32 v14, v14, v16
	ds_bpermute_b32 v16, v12, v14
	s_waitcnt lgkmcnt(0)
	v_add_f32_e32 v14, v14, v16
	ds_bpermute_b32 v16, v13, v14
	s_waitcnt lgkmcnt(0)
	v_add_f32_e32 v14, v14, v16
	ds_write_b32 v15, v14
	s_waitcnt lgkmcnt(0)
	s_barrier
	buffer_gl0_inv
	s_and_saveexec_b32 s0, vcc_lo
	s_cbranch_execz .LBB85_16
; %bb.15:
	ds_read_b32 v14, v5
	s_waitcnt lgkmcnt(0)
	ds_bpermute_b32 v16, v1, v14
	s_waitcnt lgkmcnt(0)
	v_add_f32_e32 v14, v14, v16
	ds_bpermute_b32 v16, v3, v14
	s_waitcnt lgkmcnt(0)
	v_add_f32_e32 v14, v14, v16
	ds_bpermute_b32 v16, v4, v14
	s_waitcnt lgkmcnt(0)
	v_add_f32_e32 v14, v14, v16
	ds_bpermute_b32 v16, v12, v14
	s_waitcnt lgkmcnt(0)
	v_add_f32_e32 v14, v14, v16
	ds_bpermute_b32 v16, v13, v14
	s_waitcnt lgkmcnt(0)
	v_add_f32_e32 v14, v14, v16
.LBB85_16:
	s_or_b32 exec_lo, exec_lo, s0
	ds_bpermute_b32 v16, v1, v11
	s_waitcnt lgkmcnt(0)
	s_barrier
	buffer_gl0_inv
	v_add_f32_e32 v11, v11, v16
	ds_bpermute_b32 v16, v3, v11
	s_waitcnt lgkmcnt(0)
	v_add_f32_e32 v11, v11, v16
	ds_bpermute_b32 v16, v4, v11
	s_waitcnt lgkmcnt(0)
	v_add_f32_e32 v11, v11, v16
	ds_bpermute_b32 v16, v12, v11
	s_waitcnt lgkmcnt(0)
	v_add_f32_e32 v11, v11, v16
	ds_bpermute_b32 v16, v13, v11
	;; [unrolled: 43-line block ×7, first 2 shown]
	s_waitcnt lgkmcnt(0)
	v_add_f32_e32 v6, v6, v16
	ds_write_b32 v15, v6
	s_waitcnt lgkmcnt(0)
	s_barrier
	buffer_gl0_inv
	s_and_saveexec_b32 s0, vcc_lo
	s_cbranch_execz .LBB85_28
; %bb.27:
	ds_read_b32 v5, v5
	s_waitcnt lgkmcnt(0)
	ds_bpermute_b32 v1, v1, v5
	s_waitcnt lgkmcnt(0)
	v_add_f32_e32 v1, v5, v1
	ds_bpermute_b32 v3, v3, v1
	s_waitcnt lgkmcnt(0)
	v_add_f32_e32 v1, v1, v3
	;; [unrolled: 3-line block ×5, first 2 shown]
.LBB85_28:
	s_or_b32 exec_lo, exec_lo, s0
	s_barrier
	buffer_gl0_inv
	s_mov_b32 s0, exec_lo
	v_cmpx_gt_u32_e32 8, v0
	s_cbranch_execz .LBB85_30
; %bb.29:
	v_cmp_eq_u32_e32 vcc_lo, 1, v0
	s_load_dwordx2 s[0:1], s[4:5], 0x38
	s_mul_hi_i32 s3, s22, s10
	s_mul_i32 s2, s22, s10
	s_mul_i32 s4, s26, s7
	v_cndmask_b32_e32 v1, v2, v14, vcc_lo
	v_cmp_eq_u32_e32 vcc_lo, 2, v0
	s_lshl_b64 s[2:3], s[2:3], 2
	s_ashr_i32 s5, s4, 31
	v_cndmask_b32_e32 v3, v1, v11, vcc_lo
	v_cmp_eq_u32_e32 vcc_lo, 3, v0
	v_mad_u64_u32 v[1:2], null, s18, v0, s[6:7]
	v_cndmask_b32_e32 v2, v3, v10, vcc_lo
	v_cmp_eq_u32_e32 vcc_lo, 4, v0
	s_waitcnt lgkmcnt(0)
	s_add_u32 s2, s0, s2
	s_addc_u32 s3, s1, s3
	v_cndmask_b32_e32 v3, v2, v9, vcc_lo
	v_cmp_eq_u32_e32 vcc_lo, 5, v0
	v_ashrrev_i32_e32 v2, 31, v1
	s_lshl_b64 s[0:1], s[4:5], 2
	s_add_u32 s0, s2, s0
	v_cndmask_b32_e32 v3, v3, v8, vcc_lo
	v_cmp_eq_u32_e32 vcc_lo, 6, v0
	v_lshlrev_b64 v[1:2], 2, v[1:2]
	s_addc_u32 s1, s3, s1
	v_cndmask_b32_e32 v3, v3, v7, vcc_lo
	v_cmp_eq_u32_e32 vcc_lo, 7, v0
	v_cndmask_b32_e32 v3, v3, v6, vcc_lo
	v_add_co_u32 v0, vcc_lo, s0, v1
	v_add_co_ci_u32_e64 v1, null, s1, v2, vcc_lo
	global_store_dword v[0:1], v3, off
.LBB85_30:
	s_endpgm
	.section	.rodata,"a",@progbits
	.p2align	6, 0x0
	.amdhsa_kernel _ZL13mul_mat_vec_fIffLi8ELi192ELb0ELb0EEvPKT_PKfPKi31ggml_cuda_mm_fusion_args_devicePfi15HIP_vector_typeIjLj3EEiiiSA_iiiSA_iiii
		.amdhsa_group_segment_fixed_size 0
		.amdhsa_private_segment_fixed_size 0
		.amdhsa_kernarg_size 144
		.amdhsa_user_sgpr_count 6
		.amdhsa_user_sgpr_private_segment_buffer 1
		.amdhsa_user_sgpr_dispatch_ptr 0
		.amdhsa_user_sgpr_queue_ptr 0
		.amdhsa_user_sgpr_kernarg_segment_ptr 1
		.amdhsa_user_sgpr_dispatch_id 0
		.amdhsa_user_sgpr_flat_scratch_init 0
		.amdhsa_user_sgpr_private_segment_size 0
		.amdhsa_wavefront_size32 1
		.amdhsa_uses_dynamic_stack 0
		.amdhsa_system_sgpr_private_segment_wavefront_offset 0
		.amdhsa_system_sgpr_workgroup_id_x 1
		.amdhsa_system_sgpr_workgroup_id_y 1
		.amdhsa_system_sgpr_workgroup_id_z 1
		.amdhsa_system_sgpr_workgroup_info 0
		.amdhsa_system_vgpr_workitem_id 0
		.amdhsa_next_free_vgpr 33
		.amdhsa_next_free_sgpr 38
		.amdhsa_reserve_vcc 1
		.amdhsa_reserve_flat_scratch 0
		.amdhsa_float_round_mode_32 0
		.amdhsa_float_round_mode_16_64 0
		.amdhsa_float_denorm_mode_32 3
		.amdhsa_float_denorm_mode_16_64 3
		.amdhsa_dx10_clamp 1
		.amdhsa_ieee_mode 1
		.amdhsa_fp16_overflow 0
		.amdhsa_workgroup_processor_mode 1
		.amdhsa_memory_ordered 1
		.amdhsa_forward_progress 1
		.amdhsa_shared_vgpr_count 0
		.amdhsa_exception_fp_ieee_invalid_op 0
		.amdhsa_exception_fp_denorm_src 0
		.amdhsa_exception_fp_ieee_div_zero 0
		.amdhsa_exception_fp_ieee_overflow 0
		.amdhsa_exception_fp_ieee_underflow 0
		.amdhsa_exception_fp_ieee_inexact 0
		.amdhsa_exception_int_div_zero 0
	.end_amdhsa_kernel
	.section	.text._ZL13mul_mat_vec_fIffLi8ELi192ELb0ELb0EEvPKT_PKfPKi31ggml_cuda_mm_fusion_args_devicePfi15HIP_vector_typeIjLj3EEiiiSA_iiiSA_iiii,"axG",@progbits,_ZL13mul_mat_vec_fIffLi8ELi192ELb0ELb0EEvPKT_PKfPKi31ggml_cuda_mm_fusion_args_devicePfi15HIP_vector_typeIjLj3EEiiiSA_iiiSA_iiii,comdat
.Lfunc_end85:
	.size	_ZL13mul_mat_vec_fIffLi8ELi192ELb0ELb0EEvPKT_PKfPKi31ggml_cuda_mm_fusion_args_devicePfi15HIP_vector_typeIjLj3EEiiiSA_iiiSA_iiii, .Lfunc_end85-_ZL13mul_mat_vec_fIffLi8ELi192ELb0ELb0EEvPKT_PKfPKi31ggml_cuda_mm_fusion_args_devicePfi15HIP_vector_typeIjLj3EEiiiSA_iiiSA_iiii
                                        ; -- End function
	.set _ZL13mul_mat_vec_fIffLi8ELi192ELb0ELb0EEvPKT_PKfPKi31ggml_cuda_mm_fusion_args_devicePfi15HIP_vector_typeIjLj3EEiiiSA_iiiSA_iiii.num_vgpr, 33
	.set _ZL13mul_mat_vec_fIffLi8ELi192ELb0ELb0EEvPKT_PKfPKi31ggml_cuda_mm_fusion_args_devicePfi15HIP_vector_typeIjLj3EEiiiSA_iiiSA_iiii.num_agpr, 0
	.set _ZL13mul_mat_vec_fIffLi8ELi192ELb0ELb0EEvPKT_PKfPKi31ggml_cuda_mm_fusion_args_devicePfi15HIP_vector_typeIjLj3EEiiiSA_iiiSA_iiii.numbered_sgpr, 38
	.set _ZL13mul_mat_vec_fIffLi8ELi192ELb0ELb0EEvPKT_PKfPKi31ggml_cuda_mm_fusion_args_devicePfi15HIP_vector_typeIjLj3EEiiiSA_iiiSA_iiii.num_named_barrier, 0
	.set _ZL13mul_mat_vec_fIffLi8ELi192ELb0ELb0EEvPKT_PKfPKi31ggml_cuda_mm_fusion_args_devicePfi15HIP_vector_typeIjLj3EEiiiSA_iiiSA_iiii.private_seg_size, 0
	.set _ZL13mul_mat_vec_fIffLi8ELi192ELb0ELb0EEvPKT_PKfPKi31ggml_cuda_mm_fusion_args_devicePfi15HIP_vector_typeIjLj3EEiiiSA_iiiSA_iiii.uses_vcc, 1
	.set _ZL13mul_mat_vec_fIffLi8ELi192ELb0ELb0EEvPKT_PKfPKi31ggml_cuda_mm_fusion_args_devicePfi15HIP_vector_typeIjLj3EEiiiSA_iiiSA_iiii.uses_flat_scratch, 0
	.set _ZL13mul_mat_vec_fIffLi8ELi192ELb0ELb0EEvPKT_PKfPKi31ggml_cuda_mm_fusion_args_devicePfi15HIP_vector_typeIjLj3EEiiiSA_iiiSA_iiii.has_dyn_sized_stack, 0
	.set _ZL13mul_mat_vec_fIffLi8ELi192ELb0ELb0EEvPKT_PKfPKi31ggml_cuda_mm_fusion_args_devicePfi15HIP_vector_typeIjLj3EEiiiSA_iiiSA_iiii.has_recursion, 0
	.set _ZL13mul_mat_vec_fIffLi8ELi192ELb0ELb0EEvPKT_PKfPKi31ggml_cuda_mm_fusion_args_devicePfi15HIP_vector_typeIjLj3EEiiiSA_iiiSA_iiii.has_indirect_call, 0
	.section	.AMDGPU.csdata,"",@progbits
; Kernel info:
; codeLenInByte = 3080
; TotalNumSgprs: 40
; NumVgprs: 33
; ScratchSize: 0
; MemoryBound: 0
; FloatMode: 240
; IeeeMode: 1
; LDSByteSize: 0 bytes/workgroup (compile time only)
; SGPRBlocks: 0
; VGPRBlocks: 4
; NumSGPRsForWavesPerEU: 40
; NumVGPRsForWavesPerEU: 33
; Occupancy: 16
; WaveLimiterHint : 0
; COMPUTE_PGM_RSRC2:SCRATCH_EN: 0
; COMPUTE_PGM_RSRC2:USER_SGPR: 6
; COMPUTE_PGM_RSRC2:TRAP_HANDLER: 0
; COMPUTE_PGM_RSRC2:TGID_X_EN: 1
; COMPUTE_PGM_RSRC2:TGID_Y_EN: 1
; COMPUTE_PGM_RSRC2:TGID_Z_EN: 1
; COMPUTE_PGM_RSRC2:TIDIG_COMP_CNT: 0
	.section	.text._ZL13mul_mat_vec_fIffLi8ELi224ELb0ELb0EEvPKT_PKfPKi31ggml_cuda_mm_fusion_args_devicePfi15HIP_vector_typeIjLj3EEiiiSA_iiiSA_iiii,"axG",@progbits,_ZL13mul_mat_vec_fIffLi8ELi224ELb0ELb0EEvPKT_PKfPKi31ggml_cuda_mm_fusion_args_devicePfi15HIP_vector_typeIjLj3EEiiiSA_iiiSA_iiii,comdat
	.globl	_ZL13mul_mat_vec_fIffLi8ELi224ELb0ELb0EEvPKT_PKfPKi31ggml_cuda_mm_fusion_args_devicePfi15HIP_vector_typeIjLj3EEiiiSA_iiiSA_iiii ; -- Begin function _ZL13mul_mat_vec_fIffLi8ELi224ELb0ELb0EEvPKT_PKfPKi31ggml_cuda_mm_fusion_args_devicePfi15HIP_vector_typeIjLj3EEiiiSA_iiiSA_iiii
	.p2align	8
	.type	_ZL13mul_mat_vec_fIffLi8ELi224ELb0ELb0EEvPKT_PKfPKi31ggml_cuda_mm_fusion_args_devicePfi15HIP_vector_typeIjLj3EEiiiSA_iiiSA_iiii,@function
_ZL13mul_mat_vec_fIffLi8ELi224ELb0ELb0EEvPKT_PKfPKi31ggml_cuda_mm_fusion_args_devicePfi15HIP_vector_typeIjLj3EEiiiSA_iiiSA_iiii: ; @_ZL13mul_mat_vec_fIffLi8ELi224ELb0ELb0EEvPKT_PKfPKi31ggml_cuda_mm_fusion_args_devicePfi15HIP_vector_typeIjLj3EEiiiSA_iiiSA_iiii
; %bb.0:
	s_clause 0x2
	s_load_dwordx2 s[0:1], s[4:5], 0x10
	s_load_dwordx8 s[12:19], s[4:5], 0x40
	s_load_dwordx4 s[20:23], s[4:5], 0x80
	s_waitcnt lgkmcnt(0)
	s_cmp_eq_u64 s[0:1], 0
	s_cselect_b32 s10, -1, 0
	s_cmp_lg_u64 s[0:1], 0
	s_cselect_b32 s11, -1, 0
	s_and_b32 vcc_lo, exec_lo, s10
	s_cbranch_vccnz .LBB86_2
; %bb.1:
	s_mul_i32 s2, s23, s8
	s_mov_b32 s3, 0
	s_add_i32 s2, s2, s7
	s_lshl_b64 s[24:25], s[2:3], 2
	s_add_u32 s0, s0, s24
	s_addc_u32 s1, s1, s25
	s_load_dword s9, s[0:1], 0x0
	s_cbranch_execz .LBB86_3
	s_branch .LBB86_4
.LBB86_2:
                                        ; implicit-def: $sgpr9
.LBB86_3:
	s_load_dwordx2 s[0:1], s[4:5], 0x5c
	s_waitcnt lgkmcnt(0)
	s_mul_hi_u32 s0, s0, s7
	s_add_i32 s0, s7, s0
	s_lshr_b32 s9, s0, s1
.LBB86_4:
	s_load_dwordx4 s[24:27], s[4:5], 0x68
	s_andn2_b32 vcc_lo, exec_lo, s11
	s_mov_b32 s19, s7
	s_cbranch_vccnz .LBB86_6
; %bb.5:
	s_mul_hi_u32 s0, s13, s7
	s_add_i32 s0, s7, s0
	s_lshr_b32 s0, s0, s14
	s_mul_i32 s0, s0, s15
	s_sub_i32 s19, s7, s0
.LBB86_6:
	s_load_dword s15, s[4:5], 0x78
	v_cmp_gt_u32_e32 vcc_lo, 32, v0
	v_lshl_add_u32 v5, v0, 2, 0
	s_and_saveexec_b32 s0, vcc_lo
; %bb.7:
	v_mov_b32_e32 v1, 0
	ds_write_b32 v5, v1
; %bb.8:
	s_or_b32 exec_lo, exec_lo, s0
	v_mov_b32_e32 v6, 0
	v_mov_b32_e32 v7, 0
	;; [unrolled: 1-line block ×8, first 2 shown]
	s_and_b32 s0, exec_lo, s10
	s_mov_b32 s11, 0
	s_cselect_b32 s10, s8, 0
	s_mov_b32 s13, exec_lo
	s_waitcnt lgkmcnt(0)
	s_barrier
	buffer_gl0_inv
	v_cmpx_gt_i32_e64 s12, v0
	s_cbranch_execz .LBB86_12
; %bb.9:
	s_load_dwordx4 s[0:3], s[4:5], 0x0
	s_mul_hi_u32 s23, s27, s10
	s_mul_hi_i32 s29, s21, s10
	s_mul_i32 s28, s21, s10
	s_mul_i32 s8, s9, s24
	;; [unrolled: 1-line block ×4, first 2 shown]
	s_add_i32 s16, s10, s23
	s_lshl_b64 s[28:29], s[28:29], 2
	s_ashr_i32 s9, s8, 31
	s_ashr_i32 s25, s24, 31
	;; [unrolled: 1-line block ×3, first 2 shown]
	s_lshr_b32 s15, s16, s15
	v_lshlrev_b32_e32 v1, 3, v0
	s_mul_hi_i32 s37, s15, s20
	s_mul_i32 s36, s15, s20
	s_mov_b32 s34, s17
	v_mov_b32_e32 v12, 0
	v_mov_b32_e32 v13, v0
	;; [unrolled: 1-line block ×3, first 2 shown]
	s_waitcnt lgkmcnt(0)
	s_add_u32 s16, s2, s28
	s_addc_u32 s19, s3, s29
	s_lshl_b64 s[30:31], s[30:31], 2
	v_mov_b32_e32 v11, 0
	s_add_u32 s15, s16, s30
	s_addc_u32 s16, s19, s31
	s_lshl_b64 s[8:9], s[8:9], 2
	s_ashr_i32 s35, s17, 31
	s_add_i32 s19, s17, s17
	s_lshl_b32 s20, s17, 2
	s_lshl_b64 s[36:37], s[36:37], 2
	s_lshl_b64 s[24:25], s[24:25], 2
	s_add_u32 s0, s0, s8
	s_addc_u32 s1, s1, s9
	s_add_u32 s0, s0, s24
	s_addc_u32 s1, s1, s25
	;; [unrolled: 2-line block ×3, first 2 shown]
	v_add_co_u32 v2, s0, s0, v1
	s_lshl_b64 s[8:9], s[34:35], 3
	v_add_co_ci_u32_e64 v3, null, s1, 0, s0
	s_add_u32 s0, s2, s30
	s_addc_u32 s1, s3, s31
	s_add_u32 s0, s0, s28
	s_addc_u32 s1, s1, s29
	v_add_co_u32 v4, s0, s0, v1
	v_add_co_ci_u32_e64 v6, null, s1, 0, s0
	v_add_co_u32 v1, s0, v2, 4
	v_add_co_ci_u32_e64 v2, null, 0, v3, s0
	;; [unrolled: 2-line block ×3, first 2 shown]
	v_mov_b32_e32 v10, 0
	v_mov_b32_e32 v9, 0
	;; [unrolled: 1-line block ×5, first 2 shown]
	s_mul_i32 s14, s17, 3
	s_mul_i32 s1, s17, 5
	;; [unrolled: 1-line block ×4, first 2 shown]
.LBB86_10:                              ; =>This Inner Loop Header: Depth=1
	v_add_nc_u32_e32 v21, s19, v13
	v_add_nc_u32_e32 v23, s14, v13
	;; [unrolled: 1-line block ×5, first 2 shown]
	v_ashrrev_i32_e32 v22, 31, v21
	v_ashrrev_i32_e32 v24, 31, v23
	;; [unrolled: 1-line block ×3, first 2 shown]
	v_add_nc_u32_e32 v31, s3, v13
	v_ashrrev_i32_e32 v28, 31, v27
	v_lshlrev_b64 v[21:22], 3, v[21:22]
	v_lshlrev_b64 v[23:24], 3, v[23:24]
	v_ashrrev_i32_e32 v30, 31, v29
	v_add_co_u32 v19, s0, v3, s8
	v_lshlrev_b64 v[25:26], 3, v[25:26]
	v_ashrrev_i32_e32 v32, 31, v31
	v_add_co_ci_u32_e64 v20, null, s9, v4, s0
	v_lshlrev_b64 v[27:28], 3, v[27:28]
	v_add_co_u32 v21, s0, s15, v21
	v_lshlrev_b64 v[29:30], 3, v[29:30]
	v_add_co_ci_u32_e64 v22, null, s16, v22, s0
	v_add_co_u32 v23, s0, s15, v23
	v_lshlrev_b64 v[31:32], 3, v[31:32]
	v_add_co_ci_u32_e64 v24, null, s16, v24, s0
	v_add_co_u32 v25, s0, s15, v25
	v_add_co_ci_u32_e64 v26, null, s16, v26, s0
	v_add_co_u32 v27, s0, s15, v27
	;; [unrolled: 2-line block ×4, first 2 shown]
	v_add_co_ci_u32_e64 v32, null, s16, v32, s0
	global_load_dwordx2 v[15:16], v[1:2], off offset:-4
	s_clause 0x1
	global_load_dwordx2 v[17:18], v[3:4], off offset:-4
	global_load_dwordx2 v[19:20], v[19:20], off offset:-4
	s_clause 0x5
	global_load_dwordx2 v[21:22], v[21:22], off
	global_load_dwordx2 v[23:24], v[23:24], off
	;; [unrolled: 1-line block ×6, first 2 shown]
	v_add_nc_u32_e32 v13, 0xe0, v13
	v_add_co_u32 v1, s0, 0x700, v1
	v_add_co_ci_u32_e64 v2, null, 0, v2, s0
	v_add_co_u32 v3, s0, 0x700, v3
	v_add_co_ci_u32_e64 v4, null, 0, v4, s0
	v_cmp_le_i32_e64 s0, s12, v13
	s_or_b32 s11, s0, s11
	s_waitcnt vmcnt(5)
	v_fmac_f32_e32 v11, v15, v21
	v_fmac_f32_e32 v12, v15, v17
	;; [unrolled: 1-line block ×3, first 2 shown]
	s_waitcnt vmcnt(4)
	v_fmac_f32_e32 v10, v15, v23
	s_waitcnt vmcnt(3)
	v_fmac_f32_e32 v9, v15, v25
	;; [unrolled: 2-line block ×5, first 2 shown]
	v_fmac_f32_e32 v12, v16, v18
	v_fmac_f32_e32 v14, v16, v20
	;; [unrolled: 1-line block ×8, first 2 shown]
	s_andn2_b32 exec_lo, exec_lo, s11
	s_cbranch_execnz .LBB86_10
; %bb.11:
	s_or_b32 exec_lo, exec_lo, s11
.LBB86_12:
	s_or_b32 exec_lo, exec_lo, s13
	v_mbcnt_lo_u32_b32 v2, -1, 0
	v_xor_b32_e32 v1, 16, v2
	v_xor_b32_e32 v3, 8, v2
	v_cmp_gt_i32_e64 s0, 32, v1
	v_cndmask_b32_e64 v1, v2, v1, s0
	v_cmp_gt_i32_e64 s0, 32, v3
	v_lshlrev_b32_e32 v1, 2, v1
	v_cndmask_b32_e64 v3, v2, v3, s0
	ds_bpermute_b32 v4, v1, v12
	v_lshlrev_b32_e32 v3, 2, v3
	s_waitcnt lgkmcnt(0)
	v_add_f32_e32 v12, v12, v4
	v_xor_b32_e32 v4, 4, v2
	ds_bpermute_b32 v13, v3, v12
	v_cmp_gt_i32_e64 s0, 32, v4
	v_cndmask_b32_e64 v4, v2, v4, s0
	v_lshlrev_b32_e32 v4, 2, v4
	s_waitcnt lgkmcnt(0)
	v_add_f32_e32 v13, v12, v13
	v_xor_b32_e32 v12, 2, v2
	ds_bpermute_b32 v15, v4, v13
	v_cmp_gt_i32_e64 s0, 32, v12
	v_cndmask_b32_e64 v12, v2, v12, s0
	;; [unrolled: 7-line block ×3, first 2 shown]
	v_lshlrev_b32_e32 v13, 2, v2
	s_waitcnt lgkmcnt(0)
	v_add_f32_e32 v2, v15, v16
	v_lshrrev_b32_e32 v15, 3, v0
	ds_bpermute_b32 v16, v13, v2
	v_and_b32_e32 v15, 0x7c, v15
	v_add_nc_u32_e32 v15, 0, v15
	s_waitcnt lgkmcnt(0)
	v_add_f32_e32 v2, v2, v16
	ds_write_b32 v15, v2
	s_waitcnt lgkmcnt(0)
	s_barrier
	buffer_gl0_inv
	s_and_saveexec_b32 s0, vcc_lo
	s_cbranch_execz .LBB86_14
; %bb.13:
	ds_read_b32 v2, v5
	s_waitcnt lgkmcnt(0)
	ds_bpermute_b32 v16, v1, v2
	s_waitcnt lgkmcnt(0)
	v_add_f32_e32 v2, v2, v16
	ds_bpermute_b32 v16, v3, v2
	s_waitcnt lgkmcnt(0)
	v_add_f32_e32 v2, v2, v16
	ds_bpermute_b32 v16, v4, v2
	s_waitcnt lgkmcnt(0)
	v_add_f32_e32 v2, v2, v16
	ds_bpermute_b32 v16, v12, v2
	s_waitcnt lgkmcnt(0)
	v_add_f32_e32 v2, v2, v16
	ds_bpermute_b32 v16, v13, v2
	s_waitcnt lgkmcnt(0)
	v_add_f32_e32 v2, v2, v16
.LBB86_14:
	s_or_b32 exec_lo, exec_lo, s0
	ds_bpermute_b32 v16, v1, v14
	s_waitcnt lgkmcnt(0)
	s_barrier
	buffer_gl0_inv
	v_add_f32_e32 v14, v14, v16
	ds_bpermute_b32 v16, v3, v14
	s_waitcnt lgkmcnt(0)
	v_add_f32_e32 v14, v14, v16
	ds_bpermute_b32 v16, v4, v14
	s_waitcnt lgkmcnt(0)
	v_add_f32_e32 v14, v14, v16
	ds_bpermute_b32 v16, v12, v14
	s_waitcnt lgkmcnt(0)
	v_add_f32_e32 v14, v14, v16
	ds_bpermute_b32 v16, v13, v14
	s_waitcnt lgkmcnt(0)
	v_add_f32_e32 v14, v14, v16
	ds_write_b32 v15, v14
	s_waitcnt lgkmcnt(0)
	s_barrier
	buffer_gl0_inv
	s_and_saveexec_b32 s0, vcc_lo
	s_cbranch_execz .LBB86_16
; %bb.15:
	ds_read_b32 v14, v5
	s_waitcnt lgkmcnt(0)
	ds_bpermute_b32 v16, v1, v14
	s_waitcnt lgkmcnt(0)
	v_add_f32_e32 v14, v14, v16
	ds_bpermute_b32 v16, v3, v14
	s_waitcnt lgkmcnt(0)
	v_add_f32_e32 v14, v14, v16
	ds_bpermute_b32 v16, v4, v14
	s_waitcnt lgkmcnt(0)
	v_add_f32_e32 v14, v14, v16
	ds_bpermute_b32 v16, v12, v14
	s_waitcnt lgkmcnt(0)
	v_add_f32_e32 v14, v14, v16
	ds_bpermute_b32 v16, v13, v14
	s_waitcnt lgkmcnt(0)
	v_add_f32_e32 v14, v14, v16
.LBB86_16:
	s_or_b32 exec_lo, exec_lo, s0
	ds_bpermute_b32 v16, v1, v11
	s_waitcnt lgkmcnt(0)
	s_barrier
	buffer_gl0_inv
	v_add_f32_e32 v11, v11, v16
	ds_bpermute_b32 v16, v3, v11
	s_waitcnt lgkmcnt(0)
	v_add_f32_e32 v11, v11, v16
	ds_bpermute_b32 v16, v4, v11
	s_waitcnt lgkmcnt(0)
	v_add_f32_e32 v11, v11, v16
	ds_bpermute_b32 v16, v12, v11
	s_waitcnt lgkmcnt(0)
	v_add_f32_e32 v11, v11, v16
	ds_bpermute_b32 v16, v13, v11
	;; [unrolled: 43-line block ×7, first 2 shown]
	s_waitcnt lgkmcnt(0)
	v_add_f32_e32 v6, v6, v16
	ds_write_b32 v15, v6
	s_waitcnt lgkmcnt(0)
	s_barrier
	buffer_gl0_inv
	s_and_saveexec_b32 s0, vcc_lo
	s_cbranch_execz .LBB86_28
; %bb.27:
	ds_read_b32 v5, v5
	s_waitcnt lgkmcnt(0)
	ds_bpermute_b32 v1, v1, v5
	s_waitcnt lgkmcnt(0)
	v_add_f32_e32 v1, v5, v1
	ds_bpermute_b32 v3, v3, v1
	s_waitcnt lgkmcnt(0)
	v_add_f32_e32 v1, v1, v3
	;; [unrolled: 3-line block ×5, first 2 shown]
.LBB86_28:
	s_or_b32 exec_lo, exec_lo, s0
	s_barrier
	buffer_gl0_inv
	s_mov_b32 s0, exec_lo
	v_cmpx_gt_u32_e32 8, v0
	s_cbranch_execz .LBB86_30
; %bb.29:
	v_cmp_eq_u32_e32 vcc_lo, 1, v0
	s_load_dwordx2 s[0:1], s[4:5], 0x38
	s_mul_hi_i32 s3, s22, s10
	s_mul_i32 s2, s22, s10
	s_mul_i32 s4, s26, s7
	v_cndmask_b32_e32 v1, v2, v14, vcc_lo
	v_cmp_eq_u32_e32 vcc_lo, 2, v0
	s_lshl_b64 s[2:3], s[2:3], 2
	s_ashr_i32 s5, s4, 31
	v_cndmask_b32_e32 v3, v1, v11, vcc_lo
	v_cmp_eq_u32_e32 vcc_lo, 3, v0
	v_mad_u64_u32 v[1:2], null, s18, v0, s[6:7]
	v_cndmask_b32_e32 v2, v3, v10, vcc_lo
	v_cmp_eq_u32_e32 vcc_lo, 4, v0
	s_waitcnt lgkmcnt(0)
	s_add_u32 s2, s0, s2
	s_addc_u32 s3, s1, s3
	v_cndmask_b32_e32 v3, v2, v9, vcc_lo
	v_cmp_eq_u32_e32 vcc_lo, 5, v0
	v_ashrrev_i32_e32 v2, 31, v1
	s_lshl_b64 s[0:1], s[4:5], 2
	s_add_u32 s0, s2, s0
	v_cndmask_b32_e32 v3, v3, v8, vcc_lo
	v_cmp_eq_u32_e32 vcc_lo, 6, v0
	v_lshlrev_b64 v[1:2], 2, v[1:2]
	s_addc_u32 s1, s3, s1
	v_cndmask_b32_e32 v3, v3, v7, vcc_lo
	v_cmp_eq_u32_e32 vcc_lo, 7, v0
	v_cndmask_b32_e32 v3, v3, v6, vcc_lo
	v_add_co_u32 v0, vcc_lo, s0, v1
	v_add_co_ci_u32_e64 v1, null, s1, v2, vcc_lo
	global_store_dword v[0:1], v3, off
.LBB86_30:
	s_endpgm
	.section	.rodata,"a",@progbits
	.p2align	6, 0x0
	.amdhsa_kernel _ZL13mul_mat_vec_fIffLi8ELi224ELb0ELb0EEvPKT_PKfPKi31ggml_cuda_mm_fusion_args_devicePfi15HIP_vector_typeIjLj3EEiiiSA_iiiSA_iiii
		.amdhsa_group_segment_fixed_size 0
		.amdhsa_private_segment_fixed_size 0
		.amdhsa_kernarg_size 144
		.amdhsa_user_sgpr_count 6
		.amdhsa_user_sgpr_private_segment_buffer 1
		.amdhsa_user_sgpr_dispatch_ptr 0
		.amdhsa_user_sgpr_queue_ptr 0
		.amdhsa_user_sgpr_kernarg_segment_ptr 1
		.amdhsa_user_sgpr_dispatch_id 0
		.amdhsa_user_sgpr_flat_scratch_init 0
		.amdhsa_user_sgpr_private_segment_size 0
		.amdhsa_wavefront_size32 1
		.amdhsa_uses_dynamic_stack 0
		.amdhsa_system_sgpr_private_segment_wavefront_offset 0
		.amdhsa_system_sgpr_workgroup_id_x 1
		.amdhsa_system_sgpr_workgroup_id_y 1
		.amdhsa_system_sgpr_workgroup_id_z 1
		.amdhsa_system_sgpr_workgroup_info 0
		.amdhsa_system_vgpr_workitem_id 0
		.amdhsa_next_free_vgpr 33
		.amdhsa_next_free_sgpr 38
		.amdhsa_reserve_vcc 1
		.amdhsa_reserve_flat_scratch 0
		.amdhsa_float_round_mode_32 0
		.amdhsa_float_round_mode_16_64 0
		.amdhsa_float_denorm_mode_32 3
		.amdhsa_float_denorm_mode_16_64 3
		.amdhsa_dx10_clamp 1
		.amdhsa_ieee_mode 1
		.amdhsa_fp16_overflow 0
		.amdhsa_workgroup_processor_mode 1
		.amdhsa_memory_ordered 1
		.amdhsa_forward_progress 1
		.amdhsa_shared_vgpr_count 0
		.amdhsa_exception_fp_ieee_invalid_op 0
		.amdhsa_exception_fp_denorm_src 0
		.amdhsa_exception_fp_ieee_div_zero 0
		.amdhsa_exception_fp_ieee_overflow 0
		.amdhsa_exception_fp_ieee_underflow 0
		.amdhsa_exception_fp_ieee_inexact 0
		.amdhsa_exception_int_div_zero 0
	.end_amdhsa_kernel
	.section	.text._ZL13mul_mat_vec_fIffLi8ELi224ELb0ELb0EEvPKT_PKfPKi31ggml_cuda_mm_fusion_args_devicePfi15HIP_vector_typeIjLj3EEiiiSA_iiiSA_iiii,"axG",@progbits,_ZL13mul_mat_vec_fIffLi8ELi224ELb0ELb0EEvPKT_PKfPKi31ggml_cuda_mm_fusion_args_devicePfi15HIP_vector_typeIjLj3EEiiiSA_iiiSA_iiii,comdat
.Lfunc_end86:
	.size	_ZL13mul_mat_vec_fIffLi8ELi224ELb0ELb0EEvPKT_PKfPKi31ggml_cuda_mm_fusion_args_devicePfi15HIP_vector_typeIjLj3EEiiiSA_iiiSA_iiii, .Lfunc_end86-_ZL13mul_mat_vec_fIffLi8ELi224ELb0ELb0EEvPKT_PKfPKi31ggml_cuda_mm_fusion_args_devicePfi15HIP_vector_typeIjLj3EEiiiSA_iiiSA_iiii
                                        ; -- End function
	.set _ZL13mul_mat_vec_fIffLi8ELi224ELb0ELb0EEvPKT_PKfPKi31ggml_cuda_mm_fusion_args_devicePfi15HIP_vector_typeIjLj3EEiiiSA_iiiSA_iiii.num_vgpr, 33
	.set _ZL13mul_mat_vec_fIffLi8ELi224ELb0ELb0EEvPKT_PKfPKi31ggml_cuda_mm_fusion_args_devicePfi15HIP_vector_typeIjLj3EEiiiSA_iiiSA_iiii.num_agpr, 0
	.set _ZL13mul_mat_vec_fIffLi8ELi224ELb0ELb0EEvPKT_PKfPKi31ggml_cuda_mm_fusion_args_devicePfi15HIP_vector_typeIjLj3EEiiiSA_iiiSA_iiii.numbered_sgpr, 38
	.set _ZL13mul_mat_vec_fIffLi8ELi224ELb0ELb0EEvPKT_PKfPKi31ggml_cuda_mm_fusion_args_devicePfi15HIP_vector_typeIjLj3EEiiiSA_iiiSA_iiii.num_named_barrier, 0
	.set _ZL13mul_mat_vec_fIffLi8ELi224ELb0ELb0EEvPKT_PKfPKi31ggml_cuda_mm_fusion_args_devicePfi15HIP_vector_typeIjLj3EEiiiSA_iiiSA_iiii.private_seg_size, 0
	.set _ZL13mul_mat_vec_fIffLi8ELi224ELb0ELb0EEvPKT_PKfPKi31ggml_cuda_mm_fusion_args_devicePfi15HIP_vector_typeIjLj3EEiiiSA_iiiSA_iiii.uses_vcc, 1
	.set _ZL13mul_mat_vec_fIffLi8ELi224ELb0ELb0EEvPKT_PKfPKi31ggml_cuda_mm_fusion_args_devicePfi15HIP_vector_typeIjLj3EEiiiSA_iiiSA_iiii.uses_flat_scratch, 0
	.set _ZL13mul_mat_vec_fIffLi8ELi224ELb0ELb0EEvPKT_PKfPKi31ggml_cuda_mm_fusion_args_devicePfi15HIP_vector_typeIjLj3EEiiiSA_iiiSA_iiii.has_dyn_sized_stack, 0
	.set _ZL13mul_mat_vec_fIffLi8ELi224ELb0ELb0EEvPKT_PKfPKi31ggml_cuda_mm_fusion_args_devicePfi15HIP_vector_typeIjLj3EEiiiSA_iiiSA_iiii.has_recursion, 0
	.set _ZL13mul_mat_vec_fIffLi8ELi224ELb0ELb0EEvPKT_PKfPKi31ggml_cuda_mm_fusion_args_devicePfi15HIP_vector_typeIjLj3EEiiiSA_iiiSA_iiii.has_indirect_call, 0
	.section	.AMDGPU.csdata,"",@progbits
; Kernel info:
; codeLenInByte = 3080
; TotalNumSgprs: 40
; NumVgprs: 33
; ScratchSize: 0
; MemoryBound: 0
; FloatMode: 240
; IeeeMode: 1
; LDSByteSize: 0 bytes/workgroup (compile time only)
; SGPRBlocks: 0
; VGPRBlocks: 4
; NumSGPRsForWavesPerEU: 40
; NumVGPRsForWavesPerEU: 33
; Occupancy: 16
; WaveLimiterHint : 0
; COMPUTE_PGM_RSRC2:SCRATCH_EN: 0
; COMPUTE_PGM_RSRC2:USER_SGPR: 6
; COMPUTE_PGM_RSRC2:TRAP_HANDLER: 0
; COMPUTE_PGM_RSRC2:TGID_X_EN: 1
; COMPUTE_PGM_RSRC2:TGID_Y_EN: 1
; COMPUTE_PGM_RSRC2:TGID_Z_EN: 1
; COMPUTE_PGM_RSRC2:TIDIG_COMP_CNT: 0
	.section	.text._ZL13mul_mat_vec_fIffLi8ELi256ELb0ELb0EEvPKT_PKfPKi31ggml_cuda_mm_fusion_args_devicePfi15HIP_vector_typeIjLj3EEiiiSA_iiiSA_iiii,"axG",@progbits,_ZL13mul_mat_vec_fIffLi8ELi256ELb0ELb0EEvPKT_PKfPKi31ggml_cuda_mm_fusion_args_devicePfi15HIP_vector_typeIjLj3EEiiiSA_iiiSA_iiii,comdat
	.globl	_ZL13mul_mat_vec_fIffLi8ELi256ELb0ELb0EEvPKT_PKfPKi31ggml_cuda_mm_fusion_args_devicePfi15HIP_vector_typeIjLj3EEiiiSA_iiiSA_iiii ; -- Begin function _ZL13mul_mat_vec_fIffLi8ELi256ELb0ELb0EEvPKT_PKfPKi31ggml_cuda_mm_fusion_args_devicePfi15HIP_vector_typeIjLj3EEiiiSA_iiiSA_iiii
	.p2align	8
	.type	_ZL13mul_mat_vec_fIffLi8ELi256ELb0ELb0EEvPKT_PKfPKi31ggml_cuda_mm_fusion_args_devicePfi15HIP_vector_typeIjLj3EEiiiSA_iiiSA_iiii,@function
_ZL13mul_mat_vec_fIffLi8ELi256ELb0ELb0EEvPKT_PKfPKi31ggml_cuda_mm_fusion_args_devicePfi15HIP_vector_typeIjLj3EEiiiSA_iiiSA_iiii: ; @_ZL13mul_mat_vec_fIffLi8ELi256ELb0ELb0EEvPKT_PKfPKi31ggml_cuda_mm_fusion_args_devicePfi15HIP_vector_typeIjLj3EEiiiSA_iiiSA_iiii
; %bb.0:
	s_clause 0x2
	s_load_dwordx2 s[0:1], s[4:5], 0x10
	s_load_dwordx8 s[12:19], s[4:5], 0x40
	s_load_dwordx4 s[20:23], s[4:5], 0x80
	s_waitcnt lgkmcnt(0)
	s_cmp_eq_u64 s[0:1], 0
	s_cselect_b32 s10, -1, 0
	s_cmp_lg_u64 s[0:1], 0
	s_cselect_b32 s11, -1, 0
	s_and_b32 vcc_lo, exec_lo, s10
	s_cbranch_vccnz .LBB87_2
; %bb.1:
	s_mul_i32 s2, s23, s8
	s_mov_b32 s3, 0
	s_add_i32 s2, s2, s7
	s_lshl_b64 s[24:25], s[2:3], 2
	s_add_u32 s0, s0, s24
	s_addc_u32 s1, s1, s25
	s_load_dword s9, s[0:1], 0x0
	s_cbranch_execz .LBB87_3
	s_branch .LBB87_4
.LBB87_2:
                                        ; implicit-def: $sgpr9
.LBB87_3:
	s_load_dwordx2 s[0:1], s[4:5], 0x5c
	s_waitcnt lgkmcnt(0)
	s_mul_hi_u32 s0, s0, s7
	s_add_i32 s0, s7, s0
	s_lshr_b32 s9, s0, s1
.LBB87_4:
	s_load_dwordx4 s[24:27], s[4:5], 0x68
	s_andn2_b32 vcc_lo, exec_lo, s11
	s_mov_b32 s19, s7
	s_cbranch_vccnz .LBB87_6
; %bb.5:
	s_mul_hi_u32 s0, s13, s7
	s_add_i32 s0, s7, s0
	s_lshr_b32 s0, s0, s14
	s_mul_i32 s0, s0, s15
	s_sub_i32 s19, s7, s0
.LBB87_6:
	s_load_dword s15, s[4:5], 0x78
	v_cmp_gt_u32_e32 vcc_lo, 32, v0
	v_lshl_add_u32 v5, v0, 2, 0
	s_and_saveexec_b32 s0, vcc_lo
; %bb.7:
	v_mov_b32_e32 v1, 0
	ds_write_b32 v5, v1
; %bb.8:
	s_or_b32 exec_lo, exec_lo, s0
	v_mov_b32_e32 v6, 0
	v_mov_b32_e32 v7, 0
	;; [unrolled: 1-line block ×8, first 2 shown]
	s_and_b32 s0, exec_lo, s10
	s_mov_b32 s11, 0
	s_cselect_b32 s10, s8, 0
	s_mov_b32 s13, exec_lo
	s_waitcnt lgkmcnt(0)
	s_barrier
	buffer_gl0_inv
	v_cmpx_gt_i32_e64 s12, v0
	s_cbranch_execz .LBB87_12
; %bb.9:
	s_load_dwordx4 s[0:3], s[4:5], 0x0
	s_mul_hi_u32 s23, s27, s10
	s_mul_hi_i32 s29, s21, s10
	s_mul_i32 s28, s21, s10
	s_mul_i32 s8, s9, s24
	;; [unrolled: 1-line block ×4, first 2 shown]
	s_add_i32 s16, s10, s23
	s_lshl_b64 s[28:29], s[28:29], 2
	s_ashr_i32 s9, s8, 31
	s_ashr_i32 s25, s24, 31
	;; [unrolled: 1-line block ×3, first 2 shown]
	s_lshr_b32 s15, s16, s15
	v_lshlrev_b32_e32 v1, 3, v0
	s_mul_hi_i32 s37, s15, s20
	s_mul_i32 s36, s15, s20
	s_mov_b32 s34, s17
	v_mov_b32_e32 v12, 0
	v_mov_b32_e32 v13, v0
	;; [unrolled: 1-line block ×3, first 2 shown]
	s_waitcnt lgkmcnt(0)
	s_add_u32 s16, s2, s28
	s_addc_u32 s19, s3, s29
	s_lshl_b64 s[30:31], s[30:31], 2
	v_mov_b32_e32 v11, 0
	s_add_u32 s15, s16, s30
	s_addc_u32 s16, s19, s31
	s_lshl_b64 s[8:9], s[8:9], 2
	s_ashr_i32 s35, s17, 31
	s_add_i32 s19, s17, s17
	s_lshl_b32 s20, s17, 2
	s_lshl_b64 s[36:37], s[36:37], 2
	s_lshl_b64 s[24:25], s[24:25], 2
	s_add_u32 s0, s0, s8
	s_addc_u32 s1, s1, s9
	s_add_u32 s0, s0, s24
	s_addc_u32 s1, s1, s25
	;; [unrolled: 2-line block ×3, first 2 shown]
	v_add_co_u32 v2, s0, s0, v1
	s_lshl_b64 s[8:9], s[34:35], 3
	v_add_co_ci_u32_e64 v3, null, s1, 0, s0
	s_add_u32 s0, s2, s30
	s_addc_u32 s1, s3, s31
	s_add_u32 s0, s0, s28
	s_addc_u32 s1, s1, s29
	v_add_co_u32 v4, s0, s0, v1
	v_add_co_ci_u32_e64 v6, null, s1, 0, s0
	v_add_co_u32 v1, s0, v2, 4
	v_add_co_ci_u32_e64 v2, null, 0, v3, s0
	;; [unrolled: 2-line block ×3, first 2 shown]
	v_mov_b32_e32 v10, 0
	v_mov_b32_e32 v9, 0
	;; [unrolled: 1-line block ×5, first 2 shown]
	s_mul_i32 s14, s17, 3
	s_mul_i32 s1, s17, 5
	;; [unrolled: 1-line block ×4, first 2 shown]
.LBB87_10:                              ; =>This Inner Loop Header: Depth=1
	v_add_nc_u32_e32 v21, s19, v13
	v_add_nc_u32_e32 v23, s14, v13
	;; [unrolled: 1-line block ×5, first 2 shown]
	v_ashrrev_i32_e32 v22, 31, v21
	v_ashrrev_i32_e32 v24, 31, v23
	;; [unrolled: 1-line block ×3, first 2 shown]
	v_add_nc_u32_e32 v31, s3, v13
	v_ashrrev_i32_e32 v28, 31, v27
	v_lshlrev_b64 v[21:22], 3, v[21:22]
	v_lshlrev_b64 v[23:24], 3, v[23:24]
	v_ashrrev_i32_e32 v30, 31, v29
	v_add_co_u32 v19, s0, v3, s8
	v_lshlrev_b64 v[25:26], 3, v[25:26]
	v_ashrrev_i32_e32 v32, 31, v31
	v_add_co_ci_u32_e64 v20, null, s9, v4, s0
	v_lshlrev_b64 v[27:28], 3, v[27:28]
	v_add_co_u32 v21, s0, s15, v21
	v_lshlrev_b64 v[29:30], 3, v[29:30]
	v_add_co_ci_u32_e64 v22, null, s16, v22, s0
	v_add_co_u32 v23, s0, s15, v23
	v_lshlrev_b64 v[31:32], 3, v[31:32]
	v_add_co_ci_u32_e64 v24, null, s16, v24, s0
	v_add_co_u32 v25, s0, s15, v25
	v_add_co_ci_u32_e64 v26, null, s16, v26, s0
	v_add_co_u32 v27, s0, s15, v27
	;; [unrolled: 2-line block ×4, first 2 shown]
	v_add_co_ci_u32_e64 v32, null, s16, v32, s0
	global_load_dwordx2 v[15:16], v[1:2], off offset:-4
	s_clause 0x1
	global_load_dwordx2 v[17:18], v[3:4], off offset:-4
	global_load_dwordx2 v[19:20], v[19:20], off offset:-4
	s_clause 0x5
	global_load_dwordx2 v[21:22], v[21:22], off
	global_load_dwordx2 v[23:24], v[23:24], off
	global_load_dwordx2 v[25:26], v[25:26], off
	global_load_dwordx2 v[27:28], v[27:28], off
	global_load_dwordx2 v[29:30], v[29:30], off
	global_load_dwordx2 v[31:32], v[31:32], off
	v_add_nc_u32_e32 v13, 0x100, v13
	v_add_co_u32 v1, s0, 0x800, v1
	v_add_co_ci_u32_e64 v2, null, 0, v2, s0
	v_add_co_u32 v3, s0, 0x800, v3
	v_add_co_ci_u32_e64 v4, null, 0, v4, s0
	v_cmp_le_i32_e64 s0, s12, v13
	s_or_b32 s11, s0, s11
	s_waitcnt vmcnt(5)
	v_fmac_f32_e32 v11, v15, v21
	v_fmac_f32_e32 v12, v15, v17
	;; [unrolled: 1-line block ×3, first 2 shown]
	s_waitcnt vmcnt(4)
	v_fmac_f32_e32 v10, v15, v23
	s_waitcnt vmcnt(3)
	v_fmac_f32_e32 v9, v15, v25
	;; [unrolled: 2-line block ×5, first 2 shown]
	v_fmac_f32_e32 v12, v16, v18
	v_fmac_f32_e32 v14, v16, v20
	;; [unrolled: 1-line block ×8, first 2 shown]
	s_andn2_b32 exec_lo, exec_lo, s11
	s_cbranch_execnz .LBB87_10
; %bb.11:
	s_or_b32 exec_lo, exec_lo, s11
.LBB87_12:
	s_or_b32 exec_lo, exec_lo, s13
	v_mbcnt_lo_u32_b32 v2, -1, 0
	v_xor_b32_e32 v1, 16, v2
	v_xor_b32_e32 v3, 8, v2
	v_cmp_gt_i32_e64 s0, 32, v1
	v_cndmask_b32_e64 v1, v2, v1, s0
	v_cmp_gt_i32_e64 s0, 32, v3
	v_lshlrev_b32_e32 v1, 2, v1
	v_cndmask_b32_e64 v3, v2, v3, s0
	ds_bpermute_b32 v4, v1, v12
	v_lshlrev_b32_e32 v3, 2, v3
	s_waitcnt lgkmcnt(0)
	v_add_f32_e32 v12, v12, v4
	v_xor_b32_e32 v4, 4, v2
	ds_bpermute_b32 v13, v3, v12
	v_cmp_gt_i32_e64 s0, 32, v4
	v_cndmask_b32_e64 v4, v2, v4, s0
	v_lshlrev_b32_e32 v4, 2, v4
	s_waitcnt lgkmcnt(0)
	v_add_f32_e32 v13, v12, v13
	v_xor_b32_e32 v12, 2, v2
	ds_bpermute_b32 v15, v4, v13
	v_cmp_gt_i32_e64 s0, 32, v12
	v_cndmask_b32_e64 v12, v2, v12, s0
	v_lshlrev_b32_e32 v12, 2, v12
	s_waitcnt lgkmcnt(0)
	v_add_f32_e32 v15, v13, v15
	v_xor_b32_e32 v13, 1, v2
	ds_bpermute_b32 v16, v12, v15
	v_cmp_gt_i32_e64 s0, 32, v13
	v_cndmask_b32_e64 v2, v2, v13, s0
	v_lshlrev_b32_e32 v13, 2, v2
	s_waitcnt lgkmcnt(0)
	v_add_f32_e32 v2, v15, v16
	v_lshrrev_b32_e32 v15, 3, v0
	ds_bpermute_b32 v16, v13, v2
	v_and_b32_e32 v15, 0x7c, v15
	v_add_nc_u32_e32 v15, 0, v15
	s_waitcnt lgkmcnt(0)
	v_add_f32_e32 v2, v2, v16
	ds_write_b32 v15, v2
	s_waitcnt lgkmcnt(0)
	s_barrier
	buffer_gl0_inv
	s_and_saveexec_b32 s0, vcc_lo
	s_cbranch_execz .LBB87_14
; %bb.13:
	ds_read_b32 v2, v5
	s_waitcnt lgkmcnt(0)
	ds_bpermute_b32 v16, v1, v2
	s_waitcnt lgkmcnt(0)
	v_add_f32_e32 v2, v2, v16
	ds_bpermute_b32 v16, v3, v2
	s_waitcnt lgkmcnt(0)
	v_add_f32_e32 v2, v2, v16
	ds_bpermute_b32 v16, v4, v2
	s_waitcnt lgkmcnt(0)
	v_add_f32_e32 v2, v2, v16
	ds_bpermute_b32 v16, v12, v2
	s_waitcnt lgkmcnt(0)
	v_add_f32_e32 v2, v2, v16
	ds_bpermute_b32 v16, v13, v2
	s_waitcnt lgkmcnt(0)
	v_add_f32_e32 v2, v2, v16
.LBB87_14:
	s_or_b32 exec_lo, exec_lo, s0
	ds_bpermute_b32 v16, v1, v14
	s_waitcnt lgkmcnt(0)
	s_barrier
	buffer_gl0_inv
	v_add_f32_e32 v14, v14, v16
	ds_bpermute_b32 v16, v3, v14
	s_waitcnt lgkmcnt(0)
	v_add_f32_e32 v14, v14, v16
	ds_bpermute_b32 v16, v4, v14
	s_waitcnt lgkmcnt(0)
	v_add_f32_e32 v14, v14, v16
	ds_bpermute_b32 v16, v12, v14
	s_waitcnt lgkmcnt(0)
	v_add_f32_e32 v14, v14, v16
	ds_bpermute_b32 v16, v13, v14
	s_waitcnt lgkmcnt(0)
	v_add_f32_e32 v14, v14, v16
	ds_write_b32 v15, v14
	s_waitcnt lgkmcnt(0)
	s_barrier
	buffer_gl0_inv
	s_and_saveexec_b32 s0, vcc_lo
	s_cbranch_execz .LBB87_16
; %bb.15:
	ds_read_b32 v14, v5
	s_waitcnt lgkmcnt(0)
	ds_bpermute_b32 v16, v1, v14
	s_waitcnt lgkmcnt(0)
	v_add_f32_e32 v14, v14, v16
	ds_bpermute_b32 v16, v3, v14
	s_waitcnt lgkmcnt(0)
	v_add_f32_e32 v14, v14, v16
	ds_bpermute_b32 v16, v4, v14
	s_waitcnt lgkmcnt(0)
	v_add_f32_e32 v14, v14, v16
	ds_bpermute_b32 v16, v12, v14
	s_waitcnt lgkmcnt(0)
	v_add_f32_e32 v14, v14, v16
	ds_bpermute_b32 v16, v13, v14
	s_waitcnt lgkmcnt(0)
	v_add_f32_e32 v14, v14, v16
.LBB87_16:
	s_or_b32 exec_lo, exec_lo, s0
	ds_bpermute_b32 v16, v1, v11
	s_waitcnt lgkmcnt(0)
	s_barrier
	buffer_gl0_inv
	v_add_f32_e32 v11, v11, v16
	ds_bpermute_b32 v16, v3, v11
	s_waitcnt lgkmcnt(0)
	v_add_f32_e32 v11, v11, v16
	ds_bpermute_b32 v16, v4, v11
	s_waitcnt lgkmcnt(0)
	v_add_f32_e32 v11, v11, v16
	ds_bpermute_b32 v16, v12, v11
	s_waitcnt lgkmcnt(0)
	v_add_f32_e32 v11, v11, v16
	ds_bpermute_b32 v16, v13, v11
	;; [unrolled: 43-line block ×7, first 2 shown]
	s_waitcnt lgkmcnt(0)
	v_add_f32_e32 v6, v6, v16
	ds_write_b32 v15, v6
	s_waitcnt lgkmcnt(0)
	s_barrier
	buffer_gl0_inv
	s_and_saveexec_b32 s0, vcc_lo
	s_cbranch_execz .LBB87_28
; %bb.27:
	ds_read_b32 v5, v5
	s_waitcnt lgkmcnt(0)
	ds_bpermute_b32 v1, v1, v5
	s_waitcnt lgkmcnt(0)
	v_add_f32_e32 v1, v5, v1
	ds_bpermute_b32 v3, v3, v1
	s_waitcnt lgkmcnt(0)
	v_add_f32_e32 v1, v1, v3
	;; [unrolled: 3-line block ×5, first 2 shown]
.LBB87_28:
	s_or_b32 exec_lo, exec_lo, s0
	s_barrier
	buffer_gl0_inv
	s_mov_b32 s0, exec_lo
	v_cmpx_gt_u32_e32 8, v0
	s_cbranch_execz .LBB87_30
; %bb.29:
	v_cmp_eq_u32_e32 vcc_lo, 1, v0
	s_load_dwordx2 s[0:1], s[4:5], 0x38
	s_mul_hi_i32 s3, s22, s10
	s_mul_i32 s2, s22, s10
	s_mul_i32 s4, s26, s7
	v_cndmask_b32_e32 v1, v2, v14, vcc_lo
	v_cmp_eq_u32_e32 vcc_lo, 2, v0
	s_lshl_b64 s[2:3], s[2:3], 2
	s_ashr_i32 s5, s4, 31
	v_cndmask_b32_e32 v3, v1, v11, vcc_lo
	v_cmp_eq_u32_e32 vcc_lo, 3, v0
	v_mad_u64_u32 v[1:2], null, s18, v0, s[6:7]
	v_cndmask_b32_e32 v2, v3, v10, vcc_lo
	v_cmp_eq_u32_e32 vcc_lo, 4, v0
	s_waitcnt lgkmcnt(0)
	s_add_u32 s2, s0, s2
	s_addc_u32 s3, s1, s3
	v_cndmask_b32_e32 v3, v2, v9, vcc_lo
	v_cmp_eq_u32_e32 vcc_lo, 5, v0
	v_ashrrev_i32_e32 v2, 31, v1
	s_lshl_b64 s[0:1], s[4:5], 2
	s_add_u32 s0, s2, s0
	v_cndmask_b32_e32 v3, v3, v8, vcc_lo
	v_cmp_eq_u32_e32 vcc_lo, 6, v0
	v_lshlrev_b64 v[1:2], 2, v[1:2]
	s_addc_u32 s1, s3, s1
	v_cndmask_b32_e32 v3, v3, v7, vcc_lo
	v_cmp_eq_u32_e32 vcc_lo, 7, v0
	v_cndmask_b32_e32 v3, v3, v6, vcc_lo
	v_add_co_u32 v0, vcc_lo, s0, v1
	v_add_co_ci_u32_e64 v1, null, s1, v2, vcc_lo
	global_store_dword v[0:1], v3, off
.LBB87_30:
	s_endpgm
	.section	.rodata,"a",@progbits
	.p2align	6, 0x0
	.amdhsa_kernel _ZL13mul_mat_vec_fIffLi8ELi256ELb0ELb0EEvPKT_PKfPKi31ggml_cuda_mm_fusion_args_devicePfi15HIP_vector_typeIjLj3EEiiiSA_iiiSA_iiii
		.amdhsa_group_segment_fixed_size 0
		.amdhsa_private_segment_fixed_size 0
		.amdhsa_kernarg_size 144
		.amdhsa_user_sgpr_count 6
		.amdhsa_user_sgpr_private_segment_buffer 1
		.amdhsa_user_sgpr_dispatch_ptr 0
		.amdhsa_user_sgpr_queue_ptr 0
		.amdhsa_user_sgpr_kernarg_segment_ptr 1
		.amdhsa_user_sgpr_dispatch_id 0
		.amdhsa_user_sgpr_flat_scratch_init 0
		.amdhsa_user_sgpr_private_segment_size 0
		.amdhsa_wavefront_size32 1
		.amdhsa_uses_dynamic_stack 0
		.amdhsa_system_sgpr_private_segment_wavefront_offset 0
		.amdhsa_system_sgpr_workgroup_id_x 1
		.amdhsa_system_sgpr_workgroup_id_y 1
		.amdhsa_system_sgpr_workgroup_id_z 1
		.amdhsa_system_sgpr_workgroup_info 0
		.amdhsa_system_vgpr_workitem_id 0
		.amdhsa_next_free_vgpr 33
		.amdhsa_next_free_sgpr 38
		.amdhsa_reserve_vcc 1
		.amdhsa_reserve_flat_scratch 0
		.amdhsa_float_round_mode_32 0
		.amdhsa_float_round_mode_16_64 0
		.amdhsa_float_denorm_mode_32 3
		.amdhsa_float_denorm_mode_16_64 3
		.amdhsa_dx10_clamp 1
		.amdhsa_ieee_mode 1
		.amdhsa_fp16_overflow 0
		.amdhsa_workgroup_processor_mode 1
		.amdhsa_memory_ordered 1
		.amdhsa_forward_progress 1
		.amdhsa_shared_vgpr_count 0
		.amdhsa_exception_fp_ieee_invalid_op 0
		.amdhsa_exception_fp_denorm_src 0
		.amdhsa_exception_fp_ieee_div_zero 0
		.amdhsa_exception_fp_ieee_overflow 0
		.amdhsa_exception_fp_ieee_underflow 0
		.amdhsa_exception_fp_ieee_inexact 0
		.amdhsa_exception_int_div_zero 0
	.end_amdhsa_kernel
	.section	.text._ZL13mul_mat_vec_fIffLi8ELi256ELb0ELb0EEvPKT_PKfPKi31ggml_cuda_mm_fusion_args_devicePfi15HIP_vector_typeIjLj3EEiiiSA_iiiSA_iiii,"axG",@progbits,_ZL13mul_mat_vec_fIffLi8ELi256ELb0ELb0EEvPKT_PKfPKi31ggml_cuda_mm_fusion_args_devicePfi15HIP_vector_typeIjLj3EEiiiSA_iiiSA_iiii,comdat
.Lfunc_end87:
	.size	_ZL13mul_mat_vec_fIffLi8ELi256ELb0ELb0EEvPKT_PKfPKi31ggml_cuda_mm_fusion_args_devicePfi15HIP_vector_typeIjLj3EEiiiSA_iiiSA_iiii, .Lfunc_end87-_ZL13mul_mat_vec_fIffLi8ELi256ELb0ELb0EEvPKT_PKfPKi31ggml_cuda_mm_fusion_args_devicePfi15HIP_vector_typeIjLj3EEiiiSA_iiiSA_iiii
                                        ; -- End function
	.set _ZL13mul_mat_vec_fIffLi8ELi256ELb0ELb0EEvPKT_PKfPKi31ggml_cuda_mm_fusion_args_devicePfi15HIP_vector_typeIjLj3EEiiiSA_iiiSA_iiii.num_vgpr, 33
	.set _ZL13mul_mat_vec_fIffLi8ELi256ELb0ELb0EEvPKT_PKfPKi31ggml_cuda_mm_fusion_args_devicePfi15HIP_vector_typeIjLj3EEiiiSA_iiiSA_iiii.num_agpr, 0
	.set _ZL13mul_mat_vec_fIffLi8ELi256ELb0ELb0EEvPKT_PKfPKi31ggml_cuda_mm_fusion_args_devicePfi15HIP_vector_typeIjLj3EEiiiSA_iiiSA_iiii.numbered_sgpr, 38
	.set _ZL13mul_mat_vec_fIffLi8ELi256ELb0ELb0EEvPKT_PKfPKi31ggml_cuda_mm_fusion_args_devicePfi15HIP_vector_typeIjLj3EEiiiSA_iiiSA_iiii.num_named_barrier, 0
	.set _ZL13mul_mat_vec_fIffLi8ELi256ELb0ELb0EEvPKT_PKfPKi31ggml_cuda_mm_fusion_args_devicePfi15HIP_vector_typeIjLj3EEiiiSA_iiiSA_iiii.private_seg_size, 0
	.set _ZL13mul_mat_vec_fIffLi8ELi256ELb0ELb0EEvPKT_PKfPKi31ggml_cuda_mm_fusion_args_devicePfi15HIP_vector_typeIjLj3EEiiiSA_iiiSA_iiii.uses_vcc, 1
	.set _ZL13mul_mat_vec_fIffLi8ELi256ELb0ELb0EEvPKT_PKfPKi31ggml_cuda_mm_fusion_args_devicePfi15HIP_vector_typeIjLj3EEiiiSA_iiiSA_iiii.uses_flat_scratch, 0
	.set _ZL13mul_mat_vec_fIffLi8ELi256ELb0ELb0EEvPKT_PKfPKi31ggml_cuda_mm_fusion_args_devicePfi15HIP_vector_typeIjLj3EEiiiSA_iiiSA_iiii.has_dyn_sized_stack, 0
	.set _ZL13mul_mat_vec_fIffLi8ELi256ELb0ELb0EEvPKT_PKfPKi31ggml_cuda_mm_fusion_args_devicePfi15HIP_vector_typeIjLj3EEiiiSA_iiiSA_iiii.has_recursion, 0
	.set _ZL13mul_mat_vec_fIffLi8ELi256ELb0ELb0EEvPKT_PKfPKi31ggml_cuda_mm_fusion_args_devicePfi15HIP_vector_typeIjLj3EEiiiSA_iiiSA_iiii.has_indirect_call, 0
	.section	.AMDGPU.csdata,"",@progbits
; Kernel info:
; codeLenInByte = 3080
; TotalNumSgprs: 40
; NumVgprs: 33
; ScratchSize: 0
; MemoryBound: 0
; FloatMode: 240
; IeeeMode: 1
; LDSByteSize: 0 bytes/workgroup (compile time only)
; SGPRBlocks: 0
; VGPRBlocks: 4
; NumSGPRsForWavesPerEU: 40
; NumVGPRsForWavesPerEU: 33
; Occupancy: 16
; WaveLimiterHint : 0
; COMPUTE_PGM_RSRC2:SCRATCH_EN: 0
; COMPUTE_PGM_RSRC2:USER_SGPR: 6
; COMPUTE_PGM_RSRC2:TRAP_HANDLER: 0
; COMPUTE_PGM_RSRC2:TGID_X_EN: 1
; COMPUTE_PGM_RSRC2:TGID_Y_EN: 1
; COMPUTE_PGM_RSRC2:TGID_Z_EN: 1
; COMPUTE_PGM_RSRC2:TIDIG_COMP_CNT: 0
	.section	.text._ZL13mul_mat_vec_fI6__halfS0_Li1ELi32ELb1ELb1EEvPKT_PKfPKi31ggml_cuda_mm_fusion_args_devicePfi15HIP_vector_typeIjLj3EEiiiSB_iiiSB_iiii,"axG",@progbits,_ZL13mul_mat_vec_fI6__halfS0_Li1ELi32ELb1ELb1EEvPKT_PKfPKi31ggml_cuda_mm_fusion_args_devicePfi15HIP_vector_typeIjLj3EEiiiSB_iiiSB_iiii,comdat
	.globl	_ZL13mul_mat_vec_fI6__halfS0_Li1ELi32ELb1ELb1EEvPKT_PKfPKi31ggml_cuda_mm_fusion_args_devicePfi15HIP_vector_typeIjLj3EEiiiSB_iiiSB_iiii ; -- Begin function _ZL13mul_mat_vec_fI6__halfS0_Li1ELi32ELb1ELb1EEvPKT_PKfPKi31ggml_cuda_mm_fusion_args_devicePfi15HIP_vector_typeIjLj3EEiiiSB_iiiSB_iiii
	.p2align	8
	.type	_ZL13mul_mat_vec_fI6__halfS0_Li1ELi32ELb1ELb1EEvPKT_PKfPKi31ggml_cuda_mm_fusion_args_devicePfi15HIP_vector_typeIjLj3EEiiiSB_iiiSB_iiii,@function
_ZL13mul_mat_vec_fI6__halfS0_Li1ELi32ELb1ELb1EEvPKT_PKfPKi31ggml_cuda_mm_fusion_args_devicePfi15HIP_vector_typeIjLj3EEiiiSB_iiiSB_iiii: ; @_ZL13mul_mat_vec_fI6__halfS0_Li1ELi32ELb1ELb1EEvPKT_PKfPKi31ggml_cuda_mm_fusion_args_devicePfi15HIP_vector_typeIjLj3EEiiiSB_iiiSB_iiii
; %bb.0:
	s_clause 0x3
	s_load_dword s1, s[4:5], 0x8c
	s_load_dwordx8 s[20:27], s[4:5], 0x0
	s_load_dwordx4 s[36:39], s[4:5], 0x20
	s_load_dwordx8 s[12:19], s[4:5], 0x40
	v_mov_b32_e32 v7, 0
	v_mov_b32_e32 v1, 0
	v_mov_b32_e32 v2, 0
	s_mov_b32 s0, s7
	s_mov_b32 s9, 0
	s_waitcnt lgkmcnt(0)
	s_mul_i32 s1, s1, s8
	s_add_i32 s2, s1, s7
	s_mov_b32 s7, exec_lo
	s_ashr_i32 s3, s2, 31
	s_lshl_b64 s[2:3], s[2:3], 2
	s_add_u32 s2, s24, s2
	s_addc_u32 s3, s25, s3
	s_load_dwordx4 s[28:31], s[4:5], 0x68
	s_load_dword s3, s[2:3], 0x0
	s_cmp_lg_u64 s[36:37], 0
	s_cselect_b32 s1, -1, 0
	v_cmpx_gt_i32_e64 s12, v0
	s_cbranch_execz .LBB88_7
; %bb.1:
	s_mul_hi_u32 s2, s13, s0
	s_waitcnt lgkmcnt(0)
	s_mul_i32 s10, s3, s28
	s_add_i32 s2, s0, s2
	s_mul_i32 s11, s16, s6
	s_lshr_b32 s2, s2, s14
	s_ashr_i32 s13, s10, 31
	s_mul_i32 s2, s2, s15
	s_ashr_i32 s14, s11, 31
	s_sub_i32 s2, s0, s2
	s_add_u32 s10, s10, s11
	s_addc_u32 s11, s13, s14
	s_mul_i32 s13, s8, s17
	s_mul_i32 s14, s2, s29
	s_lshl_b32 s16, s13, 1
	s_ashr_i32 s15, s14, 31
	s_ashr_i32 s17, s16, 31
	s_and_b32 s2, s1, exec_lo
	s_cselect_b32 s29, s11, 0
	s_cselect_b32 s28, s10, 0
	v_lshlrev_b32_e32 v5, 2, v0
	s_cselect_b32 s2, s37, 0
	s_cselect_b32 s13, s36, 0
	s_lshl_b64 s[28:29], s[28:29], 1
	v_lshlrev_b32_e32 v3, 3, v0
	s_add_u32 s13, s13, s28
	s_addc_u32 s2, s2, s29
	v_add_co_u32 v1, s13, s13, v5
	s_lshl_b64 s[14:15], s[14:15], 2
	s_lshl_b64 s[16:17], s[16:17], 2
	v_add_co_ci_u32_e64 v2, null, s2, 0, s13
	s_add_u32 s2, s22, s14
	s_addc_u32 s13, s23, s15
	s_add_u32 s2, s2, s16
	s_addc_u32 s13, s13, s17
	v_add_co_u32 v3, s2, s2, v3
	s_lshl_b64 s[10:11], s[10:11], 1
	v_add_co_ci_u32_e64 v4, null, s13, 0, s2
	s_add_u32 s2, s20, s10
	v_add_co_u32 v3, vcc_lo, v3, 4
	s_addc_u32 s10, s21, s11
	v_add_co_u32 v5, s2, s2, v5
	v_add_co_ci_u32_e64 v4, null, 0, v4, vcc_lo
	v_add_co_ci_u32_e64 v6, null, s10, 0, s2
	v_mov_b32_e32 v7, 0
	v_mov_b32_e32 v9, v0
	;; [unrolled: 1-line block ×3, first 2 shown]
	s_inst_prefetch 0x1
	s_branch .LBB88_4
	.p2align	6
.LBB88_2:                               ;   in Loop: Header=BB88_4 Depth=1
	global_load_dword v11, v[1:2], off
.LBB88_3:                               ;   in Loop: Header=BB88_4 Depth=1
	global_load_dwordx2 v[12:13], v[3:4], off offset:-4
	v_add_nc_u32_e32 v9, 32, v9
	v_add_co_u32 v1, vcc_lo, 0x80, v1
	v_add_co_ci_u32_e64 v2, null, 0, v2, vcc_lo
	v_add_co_u32 v3, vcc_lo, 0x100, v3
	v_add_co_ci_u32_e64 v4, null, 0, v4, vcc_lo
	v_cmp_le_i32_e32 vcc_lo, s12, v9
	v_add_co_u32 v5, s2, 0x80, v5
	v_add_co_ci_u32_e64 v6, null, 0, v6, s2
	s_or_b32 s9, vcc_lo, s9
	s_waitcnt vmcnt(0)
	v_cvt_f16_f32_e32 v12, v12
	v_cvt_f16_f32_e32 v13, v13
	v_pack_b32_f16 v12, v12, v13
	v_pk_fma_f16 v11, v11, v12, v8
	v_pk_fma_f16 v7, v10, v12, v7
	v_cndmask_b32_e64 v8, v8, v11, s1
	s_andn2_b32 exec_lo, exec_lo, s9
	s_cbranch_execz .LBB88_6
.LBB88_4:                               ; =>This Inner Loop Header: Depth=1
	global_load_dword v10, v[5:6], off
	s_andn2_b32 vcc_lo, exec_lo, s1
	s_cbranch_vccz .LBB88_2
; %bb.5:                                ;   in Loop: Header=BB88_4 Depth=1
	v_mov_b32_e32 v11, 0
	s_branch .LBB88_3
.LBB88_6:
	s_inst_prefetch 0x2
	s_or_b32 exec_lo, exec_lo, s9
	v_cvt_f32_f16_sdwa v1, v8 dst_sel:DWORD dst_unused:UNUSED_PAD src0_sel:WORD_1
	v_cvt_f32_f16_e32 v2, v8
.LBB88_7:
	s_or_b32 exec_lo, exec_lo, s7
	v_mbcnt_lo_u32_b32 v4, -1, 0
	v_cvt_f32_f16_e32 v5, v7
	v_cvt_f32_f16_sdwa v6, v7 dst_sel:DWORD dst_unused:UNUSED_PAD src0_sel:WORD_1
	s_load_dword s9, s[4:5], 0x30
	v_xor_b32_e32 v3, 16, v4
	v_add_f32_e32 v5, v5, v6
	v_xor_b32_e32 v6, 8, v4
	v_cmp_gt_i32_e32 vcc_lo, 32, v3
	v_cndmask_b32_e32 v3, v4, v3, vcc_lo
	v_cmp_gt_i32_e32 vcc_lo, 32, v6
	v_lshlrev_b32_e32 v3, 2, v3
	v_cndmask_b32_e32 v6, v4, v6, vcc_lo
	ds_bpermute_b32 v7, v3, v5
	v_lshlrev_b32_e32 v6, 2, v6
	s_waitcnt lgkmcnt(0)
	v_add_f32_e32 v5, v5, v7
	v_xor_b32_e32 v7, 4, v4
	ds_bpermute_b32 v8, v6, v5
	v_cmp_gt_i32_e32 vcc_lo, 32, v7
	v_cndmask_b32_e32 v7, v4, v7, vcc_lo
	v_lshlrev_b32_e32 v7, 2, v7
	s_waitcnt lgkmcnt(0)
	v_add_f32_e32 v5, v5, v8
	v_xor_b32_e32 v8, 2, v4
	ds_bpermute_b32 v9, v7, v5
	v_cmp_gt_i32_e32 vcc_lo, 32, v8
	v_cndmask_b32_e32 v8, v4, v8, vcc_lo
	;; [unrolled: 7-line block ×3, first 2 shown]
	s_andn2_b32 vcc_lo, exec_lo, s1
	v_lshlrev_b32_e32 v9, 2, v4
	s_waitcnt lgkmcnt(0)
	v_add_f32_e32 v4, v5, v10
	ds_bpermute_b32 v5, v9, v4
	s_cbranch_vccnz .LBB88_9
; %bb.8:
	v_add_f32_e32 v1, v2, v1
	ds_bpermute_b32 v2, v3, v1
	s_waitcnt lgkmcnt(0)
	v_add_f32_e32 v1, v1, v2
	ds_bpermute_b32 v2, v6, v1
	s_waitcnt lgkmcnt(0)
	;; [unrolled: 3-line block ×5, first 2 shown]
	v_add_f32_e32 v1, v1, v2
	s_branch .LBB88_10
.LBB88_9:
	v_mov_b32_e32 v1, 0
.LBB88_10:
	s_mov_b32 s2, exec_lo
	v_cmpx_eq_u32_e32 0, v0
	s_cbranch_execz .LBB88_34
; %bb.11:
	s_cmp_eq_u64 s[26:27], 0
	s_waitcnt lgkmcnt(0)
	v_add_f32_e32 v0, v4, v5
	s_cselect_b32 s7, -1, 0
	s_cmp_eq_u64 s[24:25], 0
	s_cselect_b32 s2, s0, s3
	s_mul_i32 s2, s2, s30
	s_ashr_i32 s3, s2, 31
	s_and_b32 vcc_lo, exec_lo, s7
	s_cbranch_vccnz .LBB88_13
; %bb.12:
	s_cselect_b32 s7, 0, s27
	s_cselect_b32 s12, 0, s26
	s_lshl_b64 s[10:11], s[2:3], 2
	s_add_u32 s12, s12, s10
	s_addc_u32 s13, s7, s11
	s_ashr_i32 s7, s6, 31
	s_lshl_b64 s[10:11], s[6:7], 2
	s_add_u32 s10, s12, s10
	s_addc_u32 s11, s13, s11
	s_load_dword s7, s[10:11], 0x0
	s_waitcnt lgkmcnt(0)
	v_add_f32_e32 v0, s7, v0
.LBB88_13:
	s_andn2_b32 vcc_lo, exec_lo, s1
	s_cbranch_vccnz .LBB88_33
; %bb.14:
	s_cmp_lg_u64 s[38:39], 0
	s_cselect_b32 s7, -1, 0
	s_and_b32 s1, s7, s1
	s_andn2_b32 vcc_lo, exec_lo, s1
	s_cbranch_vccnz .LBB88_16
; %bb.15:
	s_and_b32 s1, s1, exec_lo
	s_cselect_b32 s3, s3, 0
	s_cselect_b32 s2, s2, 0
	s_and_b32 s1, s7, exec_lo
	s_cselect_b32 s1, s39, 0
	s_cselect_b32 s7, s38, 0
	s_lshl_b64 s[2:3], s[2:3], 2
	s_add_u32 s10, s7, s2
	s_addc_u32 s1, s1, s3
	s_ashr_i32 s7, s6, 31
	s_lshl_b64 s[2:3], s[6:7], 2
	s_add_u32 s2, s10, s2
	s_addc_u32 s3, s1, s3
	s_load_dword s1, s[2:3], 0x0
	s_waitcnt lgkmcnt(0)
	v_add_f32_e32 v1, s1, v1
.LBB88_16:
	s_cmp_lt_i32 s9, 2
	s_cbranch_scc1 .LBB88_21
; %bb.17:
	s_cmp_lt_i32 s9, 3
	s_cbranch_scc1 .LBB88_22
; %bb.18:
	v_mov_b32_e32 v2, v0
	s_cmp_eq_u32 s9, 3
	s_cbranch_scc0 .LBB88_20
; %bb.19:
	v_max_f32_e32 v2, v1, v1
	v_min_f32_e32 v2, 0x40e00000, v2
	v_mul_f32_e32 v3, 0xbfd9db23, v2
	v_mul_f32_e32 v4, 0x3fb8aa3b, v3
	v_cmp_ngt_f32_e32 vcc_lo, 0xc2ce8ed0, v3
	v_fma_f32 v5, 0x3fb8aa3b, v3, -v4
	v_rndne_f32_e32 v6, v4
	v_fmamk_f32 v5, v3, 0x32a5705f, v5
	v_sub_f32_e32 v4, v4, v6
	v_add_f32_e32 v4, v4, v5
	v_cvt_i32_f32_e32 v5, v6
	v_exp_f32_e32 v4, v4
	v_ldexp_f32 v4, v4, v5
	v_cndmask_b32_e32 v4, 0, v4, vcc_lo
	v_cmp_nlt_f32_e32 vcc_lo, 0x42b17218, v3
	v_cndmask_b32_e32 v3, 0x7f800000, v4, vcc_lo
	v_add_f32_e32 v3, 1.0, v3
	v_div_scale_f32 v4, null, v3, v3, v2
	v_div_scale_f32 v7, vcc_lo, v2, v3, v2
	v_rcp_f32_e32 v5, v4
	v_fma_f32 v6, -v4, v5, 1.0
	v_fmac_f32_e32 v5, v6, v5
	v_mul_f32_e32 v6, v7, v5
	v_fma_f32 v8, -v4, v6, v7
	v_fmac_f32_e32 v6, v8, v5
	v_max_f32_e32 v8, v0, v0
	v_fma_f32 v4, -v4, v6, v7
	v_min_f32_e32 v7, 0x40e00000, v8
	v_div_fmas_f32 v4, v4, v5, v6
	v_max_f32_e32 v5, 0xc0e00000, v7
	v_div_fixup_f32 v2, v4, v3, v2
	v_add_f32_e32 v3, 1.0, v5
	v_mul_f32_e32 v2, v3, v2
.LBB88_20:
	s_cbranch_execz .LBB88_23
	s_branch .LBB88_24
.LBB88_21:
                                        ; implicit-def: $vgpr2
	s_branch .LBB88_25
.LBB88_22:
                                        ; implicit-def: $vgpr2
.LBB88_23:
	v_mul_f32_e32 v2, 0xbfb8aa3b, v1
	v_cmp_nlt_f32_e32 vcc_lo, 0x42ce8ed0, v1
	v_rndne_f32_e32 v3, v2
	v_fma_f32 v4, 0xbfb8aa3b, v1, -v2
	v_sub_f32_e32 v2, v2, v3
	v_fmamk_f32 v4, v1, 0xb2a5705f, v4
	v_cvt_i32_f32_e32 v3, v3
	v_add_f32_e32 v2, v2, v4
	v_exp_f32_e32 v2, v2
	v_ldexp_f32 v2, v2, v3
	v_cndmask_b32_e32 v2, 0, v2, vcc_lo
	v_cmp_ngt_f32_e32 vcc_lo, 0xc2b17218, v1
	v_cndmask_b32_e32 v2, 0x7f800000, v2, vcc_lo
	v_add_f32_e32 v2, 1.0, v2
	v_div_scale_f32 v3, null, v2, v2, v1
	v_rcp_f32_e32 v4, v3
	v_fma_f32 v5, -v3, v4, 1.0
	v_fmac_f32_e32 v4, v5, v4
	v_div_scale_f32 v5, vcc_lo, v1, v2, v1
	v_mul_f32_e32 v6, v5, v4
	v_fma_f32 v7, -v3, v6, v5
	v_fmac_f32_e32 v6, v7, v4
	v_fma_f32 v3, -v3, v6, v5
	v_div_fmas_f32 v3, v3, v4, v6
	v_div_fixup_f32 v2, v3, v2, v1
	v_mul_f32_e32 v2, v0, v2
.LBB88_24:
	s_cbranch_execnz .LBB88_32
.LBB88_25:
	s_cmp_eq_u32 s9, 1
	s_cbranch_scc0 .LBB88_31
; %bb.26:
	v_mul_f32_e32 v2, 0x3d372713, v1
	v_mul_f32_e32 v3, 0x3f4c422a, v1
	v_fma_f32 v2, v1, v2, 1.0
	v_mul_f32_e32 v2, v3, v2
                                        ; implicit-def: $vgpr3
	v_cmp_ngt_f32_e64 s1, 0x3f200000, |v2|
	s_and_saveexec_b32 s2, s1
	s_xor_b32 s1, exec_lo, s2
	s_cbranch_execz .LBB88_28
; %bb.27:
	v_add_f32_e64 v3, |v2|, |v2|
	v_mul_f32_e32 v4, 0x3fb8aa3b, v3
	v_cmp_ngt_f32_e32 vcc_lo, 0xc2ce8ed0, v3
	v_rndne_f32_e32 v5, v4
	v_fma_f32 v6, 0x3fb8aa3b, v3, -v4
	v_sub_f32_e32 v4, v4, v5
	v_fmamk_f32 v6, v3, 0x32a5705f, v6
	v_cvt_i32_f32_e32 v5, v5
	v_add_f32_e32 v4, v4, v6
	v_exp_f32_e32 v4, v4
	v_ldexp_f32 v4, v4, v5
	v_cndmask_b32_e32 v4, 0, v4, vcc_lo
	v_cmp_nlt_f32_e32 vcc_lo, 0x42b17218, v3
	v_cndmask_b32_e32 v3, 0x7f800000, v4, vcc_lo
	v_add_f32_e32 v3, 1.0, v3
	v_rcp_f32_e32 v3, v3
	v_fma_f32 v3, v3, -2.0, 1.0
.LBB88_28:
	s_andn2_saveexec_b32 s1, s1
	s_cbranch_execz .LBB88_30
; %bb.29:
	v_mul_f32_e32 v3, v2, v2
	s_mov_b32 s2, 0xbbbac73d
	v_fmaak_f32 v4, s2, v3, 0x3ca908c9
	v_fmaak_f32 v4, v3, v4, 0xbd5c1c4e
	;; [unrolled: 1-line block ×4, first 2 shown]
	v_mul_f32_e64 v4, |v2|, v4
	v_fma_f32 v3, v3, v4, |v2|
.LBB88_30:
	s_or_b32 exec_lo, exec_lo, s1
	v_bfi_b32 v2, 0x7fffffff, v3, v2
	v_mul_f32_e32 v1, 0.5, v1
	v_add_f32_e32 v2, 1.0, v2
	v_mul_f32_e32 v1, v1, v2
	v_mul_f32_e32 v0, v0, v1
.LBB88_31:
	v_mov_b32_e32 v2, v0
.LBB88_32:
	v_mov_b32_e32 v0, v2
.LBB88_33:
	s_load_dwordx2 s[2:3], s[4:5], 0x38
	s_mul_i32 s0, s30, s0
	s_mul_i32 s4, s18, s8
	s_ashr_i32 s1, s0, 31
	s_ashr_i32 s5, s4, 31
	s_lshl_b64 s[0:1], s[0:1], 2
	v_mov_b32_e32 v1, 0
	s_waitcnt lgkmcnt(0)
	s_add_u32 s2, s2, s0
	s_addc_u32 s3, s3, s1
	s_lshl_b64 s[0:1], s[4:5], 2
	s_add_u32 s2, s2, s0
	s_addc_u32 s3, s3, s1
	s_ashr_i32 s7, s6, 31
	s_lshl_b64 s[0:1], s[6:7], 2
	s_add_u32 s0, s2, s0
	s_addc_u32 s1, s3, s1
	global_store_dword v1, v0, s[0:1]
.LBB88_34:
	s_endpgm
	.section	.rodata,"a",@progbits
	.p2align	6, 0x0
	.amdhsa_kernel _ZL13mul_mat_vec_fI6__halfS0_Li1ELi32ELb1ELb1EEvPKT_PKfPKi31ggml_cuda_mm_fusion_args_devicePfi15HIP_vector_typeIjLj3EEiiiSB_iiiSB_iiii
		.amdhsa_group_segment_fixed_size 0
		.amdhsa_private_segment_fixed_size 0
		.amdhsa_kernarg_size 144
		.amdhsa_user_sgpr_count 6
		.amdhsa_user_sgpr_private_segment_buffer 1
		.amdhsa_user_sgpr_dispatch_ptr 0
		.amdhsa_user_sgpr_queue_ptr 0
		.amdhsa_user_sgpr_kernarg_segment_ptr 1
		.amdhsa_user_sgpr_dispatch_id 0
		.amdhsa_user_sgpr_flat_scratch_init 0
		.amdhsa_user_sgpr_private_segment_size 0
		.amdhsa_wavefront_size32 1
		.amdhsa_uses_dynamic_stack 0
		.amdhsa_system_sgpr_private_segment_wavefront_offset 0
		.amdhsa_system_sgpr_workgroup_id_x 1
		.amdhsa_system_sgpr_workgroup_id_y 1
		.amdhsa_system_sgpr_workgroup_id_z 1
		.amdhsa_system_sgpr_workgroup_info 0
		.amdhsa_system_vgpr_workitem_id 0
		.amdhsa_next_free_vgpr 14
		.amdhsa_next_free_sgpr 40
		.amdhsa_reserve_vcc 1
		.amdhsa_reserve_flat_scratch 0
		.amdhsa_float_round_mode_32 0
		.amdhsa_float_round_mode_16_64 0
		.amdhsa_float_denorm_mode_32 3
		.amdhsa_float_denorm_mode_16_64 3
		.amdhsa_dx10_clamp 1
		.amdhsa_ieee_mode 1
		.amdhsa_fp16_overflow 0
		.amdhsa_workgroup_processor_mode 1
		.amdhsa_memory_ordered 1
		.amdhsa_forward_progress 1
		.amdhsa_shared_vgpr_count 0
		.amdhsa_exception_fp_ieee_invalid_op 0
		.amdhsa_exception_fp_denorm_src 0
		.amdhsa_exception_fp_ieee_div_zero 0
		.amdhsa_exception_fp_ieee_overflow 0
		.amdhsa_exception_fp_ieee_underflow 0
		.amdhsa_exception_fp_ieee_inexact 0
		.amdhsa_exception_int_div_zero 0
	.end_amdhsa_kernel
	.section	.text._ZL13mul_mat_vec_fI6__halfS0_Li1ELi32ELb1ELb1EEvPKT_PKfPKi31ggml_cuda_mm_fusion_args_devicePfi15HIP_vector_typeIjLj3EEiiiSB_iiiSB_iiii,"axG",@progbits,_ZL13mul_mat_vec_fI6__halfS0_Li1ELi32ELb1ELb1EEvPKT_PKfPKi31ggml_cuda_mm_fusion_args_devicePfi15HIP_vector_typeIjLj3EEiiiSB_iiiSB_iiii,comdat
.Lfunc_end88:
	.size	_ZL13mul_mat_vec_fI6__halfS0_Li1ELi32ELb1ELb1EEvPKT_PKfPKi31ggml_cuda_mm_fusion_args_devicePfi15HIP_vector_typeIjLj3EEiiiSB_iiiSB_iiii, .Lfunc_end88-_ZL13mul_mat_vec_fI6__halfS0_Li1ELi32ELb1ELb1EEvPKT_PKfPKi31ggml_cuda_mm_fusion_args_devicePfi15HIP_vector_typeIjLj3EEiiiSB_iiiSB_iiii
                                        ; -- End function
	.set _ZL13mul_mat_vec_fI6__halfS0_Li1ELi32ELb1ELb1EEvPKT_PKfPKi31ggml_cuda_mm_fusion_args_devicePfi15HIP_vector_typeIjLj3EEiiiSB_iiiSB_iiii.num_vgpr, 14
	.set _ZL13mul_mat_vec_fI6__halfS0_Li1ELi32ELb1ELb1EEvPKT_PKfPKi31ggml_cuda_mm_fusion_args_devicePfi15HIP_vector_typeIjLj3EEiiiSB_iiiSB_iiii.num_agpr, 0
	.set _ZL13mul_mat_vec_fI6__halfS0_Li1ELi32ELb1ELb1EEvPKT_PKfPKi31ggml_cuda_mm_fusion_args_devicePfi15HIP_vector_typeIjLj3EEiiiSB_iiiSB_iiii.numbered_sgpr, 40
	.set _ZL13mul_mat_vec_fI6__halfS0_Li1ELi32ELb1ELb1EEvPKT_PKfPKi31ggml_cuda_mm_fusion_args_devicePfi15HIP_vector_typeIjLj3EEiiiSB_iiiSB_iiii.num_named_barrier, 0
	.set _ZL13mul_mat_vec_fI6__halfS0_Li1ELi32ELb1ELb1EEvPKT_PKfPKi31ggml_cuda_mm_fusion_args_devicePfi15HIP_vector_typeIjLj3EEiiiSB_iiiSB_iiii.private_seg_size, 0
	.set _ZL13mul_mat_vec_fI6__halfS0_Li1ELi32ELb1ELb1EEvPKT_PKfPKi31ggml_cuda_mm_fusion_args_devicePfi15HIP_vector_typeIjLj3EEiiiSB_iiiSB_iiii.uses_vcc, 1
	.set _ZL13mul_mat_vec_fI6__halfS0_Li1ELi32ELb1ELb1EEvPKT_PKfPKi31ggml_cuda_mm_fusion_args_devicePfi15HIP_vector_typeIjLj3EEiiiSB_iiiSB_iiii.uses_flat_scratch, 0
	.set _ZL13mul_mat_vec_fI6__halfS0_Li1ELi32ELb1ELb1EEvPKT_PKfPKi31ggml_cuda_mm_fusion_args_devicePfi15HIP_vector_typeIjLj3EEiiiSB_iiiSB_iiii.has_dyn_sized_stack, 0
	.set _ZL13mul_mat_vec_fI6__halfS0_Li1ELi32ELb1ELb1EEvPKT_PKfPKi31ggml_cuda_mm_fusion_args_devicePfi15HIP_vector_typeIjLj3EEiiiSB_iiiSB_iiii.has_recursion, 0
	.set _ZL13mul_mat_vec_fI6__halfS0_Li1ELi32ELb1ELb1EEvPKT_PKfPKi31ggml_cuda_mm_fusion_args_devicePfi15HIP_vector_typeIjLj3EEiiiSB_iiiSB_iiii.has_indirect_call, 0
	.section	.AMDGPU.csdata,"",@progbits
; Kernel info:
; codeLenInByte = 1832
; TotalNumSgprs: 42
; NumVgprs: 14
; ScratchSize: 0
; MemoryBound: 0
; FloatMode: 240
; IeeeMode: 1
; LDSByteSize: 0 bytes/workgroup (compile time only)
; SGPRBlocks: 0
; VGPRBlocks: 1
; NumSGPRsForWavesPerEU: 42
; NumVGPRsForWavesPerEU: 14
; Occupancy: 16
; WaveLimiterHint : 1
; COMPUTE_PGM_RSRC2:SCRATCH_EN: 0
; COMPUTE_PGM_RSRC2:USER_SGPR: 6
; COMPUTE_PGM_RSRC2:TRAP_HANDLER: 0
; COMPUTE_PGM_RSRC2:TGID_X_EN: 1
; COMPUTE_PGM_RSRC2:TGID_Y_EN: 1
; COMPUTE_PGM_RSRC2:TGID_Z_EN: 1
; COMPUTE_PGM_RSRC2:TIDIG_COMP_CNT: 0
	.section	.text._ZL13mul_mat_vec_fI6__halfS0_Li1ELi32ELb0ELb1EEvPKT_PKfPKi31ggml_cuda_mm_fusion_args_devicePfi15HIP_vector_typeIjLj3EEiiiSB_iiiSB_iiii,"axG",@progbits,_ZL13mul_mat_vec_fI6__halfS0_Li1ELi32ELb0ELb1EEvPKT_PKfPKi31ggml_cuda_mm_fusion_args_devicePfi15HIP_vector_typeIjLj3EEiiiSB_iiiSB_iiii,comdat
	.globl	_ZL13mul_mat_vec_fI6__halfS0_Li1ELi32ELb0ELb1EEvPKT_PKfPKi31ggml_cuda_mm_fusion_args_devicePfi15HIP_vector_typeIjLj3EEiiiSB_iiiSB_iiii ; -- Begin function _ZL13mul_mat_vec_fI6__halfS0_Li1ELi32ELb0ELb1EEvPKT_PKfPKi31ggml_cuda_mm_fusion_args_devicePfi15HIP_vector_typeIjLj3EEiiiSB_iiiSB_iiii
	.p2align	8
	.type	_ZL13mul_mat_vec_fI6__halfS0_Li1ELi32ELb0ELb1EEvPKT_PKfPKi31ggml_cuda_mm_fusion_args_devicePfi15HIP_vector_typeIjLj3EEiiiSB_iiiSB_iiii,@function
_ZL13mul_mat_vec_fI6__halfS0_Li1ELi32ELb0ELb1EEvPKT_PKfPKi31ggml_cuda_mm_fusion_args_devicePfi15HIP_vector_typeIjLj3EEiiiSB_iiiSB_iiii: ; @_ZL13mul_mat_vec_fI6__halfS0_Li1ELi32ELb0ELb1EEvPKT_PKfPKi31ggml_cuda_mm_fusion_args_devicePfi15HIP_vector_typeIjLj3EEiiiSB_iiiSB_iiii
; %bb.0:
	s_clause 0x1
	s_load_dwordx8 s[12:19], s[4:5], 0x40
	s_load_dwordx4 s[0:3], s[4:5], 0x68
	v_mov_b32_e32 v5, 0
	s_waitcnt lgkmcnt(0)
	s_mov_b32 s3, exec_lo
	v_cmpx_gt_i32_e64 s12, v0
	s_cbranch_execz .LBB89_4
; %bb.1:
	s_clause 0x1
	s_load_dword s9, s[4:5], 0x8c
	s_load_dwordx2 s[10:11], s[4:5], 0x10
	v_lshlrev_b32_e32 v1, 3, v0
	v_lshlrev_b32_e32 v3, 2, v0
	v_mov_b32_e32 v5, 0
	v_mov_b32_e32 v6, v0
	s_waitcnt lgkmcnt(0)
	s_mul_i32 s9, s9, s8
	s_add_i32 s20, s9, s7
	s_ashr_i32 s21, s20, 31
	s_lshl_b64 s[20:21], s[20:21], 2
	s_add_u32 s10, s10, s20
	s_addc_u32 s11, s11, s21
	s_load_dword s9, s[10:11], 0x0
	s_load_dwordx4 s[20:23], s[4:5], 0x0
	s_mul_hi_u32 s11, s13, s7
	s_mul_i32 s13, s8, s17
	s_add_i32 s11, s7, s11
	s_mul_i32 s10, s16, s6
	s_lshr_b32 s14, s11, s14
	s_ashr_i32 s11, s10, 31
	s_mul_i32 s15, s14, s15
	s_lshl_b32 s14, s13, 1
	s_sub_i32 s13, s7, s15
	s_ashr_i32 s15, s14, 31
	s_mul_i32 s16, s13, s1
	s_lshl_b64 s[14:15], s[14:15], 2
	s_ashr_i32 s17, s16, 31
	s_lshl_b64 s[16:17], s[16:17], 2
	s_waitcnt lgkmcnt(0)
	s_mul_i32 s0, s9, s0
	s_ashr_i32 s1, s0, 31
	s_add_u32 s9, s22, s16
	s_addc_u32 s13, s23, s17
	s_add_u32 s9, s9, s14
	s_addc_u32 s13, s13, s15
	s_lshl_b64 s[0:1], s[0:1], 1
	s_lshl_b64 s[10:11], s[10:11], 1
	v_add_co_u32 v1, s9, s9, v1
	s_add_u32 s0, s20, s0
	v_add_co_ci_u32_e64 v2, null, s13, 0, s9
	s_addc_u32 s1, s21, s1
	s_add_u32 s0, s0, s10
	s_addc_u32 s1, s1, s11
	v_add_co_u32 v1, vcc_lo, v1, 4
	v_add_co_u32 v3, s0, s0, v3
	v_add_co_ci_u32_e64 v2, null, 0, v2, vcc_lo
	v_add_co_ci_u32_e64 v4, null, s1, 0, s0
	s_mov_b32 s1, 0
	.p2align	6
.LBB89_2:                               ; =>This Inner Loop Header: Depth=1
	global_load_dwordx2 v[7:8], v[1:2], off offset:-4
	global_load_dword v9, v[3:4], off
	v_add_nc_u32_e32 v6, 32, v6
	v_add_co_u32 v1, vcc_lo, 0x100, v1
	v_add_co_ci_u32_e64 v2, null, 0, v2, vcc_lo
	v_add_co_u32 v3, vcc_lo, 0x80, v3
	v_cmp_le_i32_e64 s0, s12, v6
	v_add_co_ci_u32_e64 v4, null, 0, v4, vcc_lo
	s_or_b32 s1, s0, s1
	s_waitcnt vmcnt(1)
	v_cvt_f16_f32_e32 v7, v7
	v_cvt_f16_f32_e32 v8, v8
	v_pack_b32_f16 v7, v7, v8
	s_waitcnt vmcnt(0)
	v_pk_fma_f16 v5, v9, v7, v5
	s_andn2_b32 exec_lo, exec_lo, s1
	s_cbranch_execnz .LBB89_2
; %bb.3:
	s_or_b32 exec_lo, exec_lo, s1
.LBB89_4:
	s_or_b32 exec_lo, exec_lo, s3
	v_mbcnt_lo_u32_b32 v1, -1, 0
	v_cvt_f32_f16_e32 v3, v5
	v_cvt_f32_f16_sdwa v4, v5 dst_sel:DWORD dst_unused:UNUSED_PAD src0_sel:WORD_1
	s_mov_b32 s0, exec_lo
	v_xor_b32_e32 v2, 16, v1
	v_add_f32_e32 v3, v3, v4
	v_xor_b32_e32 v4, 8, v1
	v_cmp_gt_i32_e32 vcc_lo, 32, v2
	v_cndmask_b32_e32 v2, v1, v2, vcc_lo
	v_cmp_gt_i32_e32 vcc_lo, 32, v4
	v_lshlrev_b32_e32 v2, 2, v2
	v_cndmask_b32_e32 v4, v1, v4, vcc_lo
	ds_bpermute_b32 v2, v2, v3
	v_lshlrev_b32_e32 v4, 2, v4
	s_waitcnt lgkmcnt(0)
	v_add_f32_e32 v2, v3, v2
	ds_bpermute_b32 v3, v4, v2
	v_xor_b32_e32 v4, 4, v1
	v_cmp_gt_i32_e32 vcc_lo, 32, v4
	v_cndmask_b32_e32 v4, v1, v4, vcc_lo
	v_lshlrev_b32_e32 v4, 2, v4
	s_waitcnt lgkmcnt(0)
	v_add_f32_e32 v2, v2, v3
	ds_bpermute_b32 v3, v4, v2
	v_xor_b32_e32 v4, 2, v1
	v_cmp_gt_i32_e32 vcc_lo, 32, v4
	v_cndmask_b32_e32 v4, v1, v4, vcc_lo
	;; [unrolled: 7-line block ×3, first 2 shown]
	v_lshlrev_b32_e32 v4, 2, v1
	s_waitcnt lgkmcnt(0)
	v_add_f32_e32 v1, v2, v3
	ds_bpermute_b32 v2, v4, v1
	v_cmpx_eq_u32_e32 0, v0
	s_cbranch_execz .LBB89_6
; %bb.5:
	s_load_dwordx2 s[0:1], s[4:5], 0x38
	s_mul_i32 s2, s2, s7
	s_mul_i32 s4, s18, s8
	s_ashr_i32 s3, s2, 31
	s_waitcnt lgkmcnt(0)
	v_add_f32_e32 v0, v1, v2
	s_lshl_b64 s[2:3], s[2:3], 2
	v_mov_b32_e32 v1, 0
	s_add_u32 s2, s0, s2
	s_addc_u32 s3, s1, s3
	s_ashr_i32 s5, s4, 31
	s_lshl_b64 s[0:1], s[4:5], 2
	s_add_u32 s2, s2, s0
	s_addc_u32 s3, s3, s1
	s_ashr_i32 s7, s6, 31
	s_lshl_b64 s[0:1], s[6:7], 2
	s_add_u32 s0, s2, s0
	s_addc_u32 s1, s3, s1
	global_store_dword v1, v0, s[0:1]
.LBB89_6:
	s_endpgm
	.section	.rodata,"a",@progbits
	.p2align	6, 0x0
	.amdhsa_kernel _ZL13mul_mat_vec_fI6__halfS0_Li1ELi32ELb0ELb1EEvPKT_PKfPKi31ggml_cuda_mm_fusion_args_devicePfi15HIP_vector_typeIjLj3EEiiiSB_iiiSB_iiii
		.amdhsa_group_segment_fixed_size 0
		.amdhsa_private_segment_fixed_size 0
		.amdhsa_kernarg_size 144
		.amdhsa_user_sgpr_count 6
		.amdhsa_user_sgpr_private_segment_buffer 1
		.amdhsa_user_sgpr_dispatch_ptr 0
		.amdhsa_user_sgpr_queue_ptr 0
		.amdhsa_user_sgpr_kernarg_segment_ptr 1
		.amdhsa_user_sgpr_dispatch_id 0
		.amdhsa_user_sgpr_flat_scratch_init 0
		.amdhsa_user_sgpr_private_segment_size 0
		.amdhsa_wavefront_size32 1
		.amdhsa_uses_dynamic_stack 0
		.amdhsa_system_sgpr_private_segment_wavefront_offset 0
		.amdhsa_system_sgpr_workgroup_id_x 1
		.amdhsa_system_sgpr_workgroup_id_y 1
		.amdhsa_system_sgpr_workgroup_id_z 1
		.amdhsa_system_sgpr_workgroup_info 0
		.amdhsa_system_vgpr_workitem_id 0
		.amdhsa_next_free_vgpr 10
		.amdhsa_next_free_sgpr 24
		.amdhsa_reserve_vcc 1
		.amdhsa_reserve_flat_scratch 0
		.amdhsa_float_round_mode_32 0
		.amdhsa_float_round_mode_16_64 0
		.amdhsa_float_denorm_mode_32 3
		.amdhsa_float_denorm_mode_16_64 3
		.amdhsa_dx10_clamp 1
		.amdhsa_ieee_mode 1
		.amdhsa_fp16_overflow 0
		.amdhsa_workgroup_processor_mode 1
		.amdhsa_memory_ordered 1
		.amdhsa_forward_progress 1
		.amdhsa_shared_vgpr_count 0
		.amdhsa_exception_fp_ieee_invalid_op 0
		.amdhsa_exception_fp_denorm_src 0
		.amdhsa_exception_fp_ieee_div_zero 0
		.amdhsa_exception_fp_ieee_overflow 0
		.amdhsa_exception_fp_ieee_underflow 0
		.amdhsa_exception_fp_ieee_inexact 0
		.amdhsa_exception_int_div_zero 0
	.end_amdhsa_kernel
	.section	.text._ZL13mul_mat_vec_fI6__halfS0_Li1ELi32ELb0ELb1EEvPKT_PKfPKi31ggml_cuda_mm_fusion_args_devicePfi15HIP_vector_typeIjLj3EEiiiSB_iiiSB_iiii,"axG",@progbits,_ZL13mul_mat_vec_fI6__halfS0_Li1ELi32ELb0ELb1EEvPKT_PKfPKi31ggml_cuda_mm_fusion_args_devicePfi15HIP_vector_typeIjLj3EEiiiSB_iiiSB_iiii,comdat
.Lfunc_end89:
	.size	_ZL13mul_mat_vec_fI6__halfS0_Li1ELi32ELb0ELb1EEvPKT_PKfPKi31ggml_cuda_mm_fusion_args_devicePfi15HIP_vector_typeIjLj3EEiiiSB_iiiSB_iiii, .Lfunc_end89-_ZL13mul_mat_vec_fI6__halfS0_Li1ELi32ELb0ELb1EEvPKT_PKfPKi31ggml_cuda_mm_fusion_args_devicePfi15HIP_vector_typeIjLj3EEiiiSB_iiiSB_iiii
                                        ; -- End function
	.set _ZL13mul_mat_vec_fI6__halfS0_Li1ELi32ELb0ELb1EEvPKT_PKfPKi31ggml_cuda_mm_fusion_args_devicePfi15HIP_vector_typeIjLj3EEiiiSB_iiiSB_iiii.num_vgpr, 10
	.set _ZL13mul_mat_vec_fI6__halfS0_Li1ELi32ELb0ELb1EEvPKT_PKfPKi31ggml_cuda_mm_fusion_args_devicePfi15HIP_vector_typeIjLj3EEiiiSB_iiiSB_iiii.num_agpr, 0
	.set _ZL13mul_mat_vec_fI6__halfS0_Li1ELi32ELb0ELb1EEvPKT_PKfPKi31ggml_cuda_mm_fusion_args_devicePfi15HIP_vector_typeIjLj3EEiiiSB_iiiSB_iiii.numbered_sgpr, 24
	.set _ZL13mul_mat_vec_fI6__halfS0_Li1ELi32ELb0ELb1EEvPKT_PKfPKi31ggml_cuda_mm_fusion_args_devicePfi15HIP_vector_typeIjLj3EEiiiSB_iiiSB_iiii.num_named_barrier, 0
	.set _ZL13mul_mat_vec_fI6__halfS0_Li1ELi32ELb0ELb1EEvPKT_PKfPKi31ggml_cuda_mm_fusion_args_devicePfi15HIP_vector_typeIjLj3EEiiiSB_iiiSB_iiii.private_seg_size, 0
	.set _ZL13mul_mat_vec_fI6__halfS0_Li1ELi32ELb0ELb1EEvPKT_PKfPKi31ggml_cuda_mm_fusion_args_devicePfi15HIP_vector_typeIjLj3EEiiiSB_iiiSB_iiii.uses_vcc, 1
	.set _ZL13mul_mat_vec_fI6__halfS0_Li1ELi32ELb0ELb1EEvPKT_PKfPKi31ggml_cuda_mm_fusion_args_devicePfi15HIP_vector_typeIjLj3EEiiiSB_iiiSB_iiii.uses_flat_scratch, 0
	.set _ZL13mul_mat_vec_fI6__halfS0_Li1ELi32ELb0ELb1EEvPKT_PKfPKi31ggml_cuda_mm_fusion_args_devicePfi15HIP_vector_typeIjLj3EEiiiSB_iiiSB_iiii.has_dyn_sized_stack, 0
	.set _ZL13mul_mat_vec_fI6__halfS0_Li1ELi32ELb0ELb1EEvPKT_PKfPKi31ggml_cuda_mm_fusion_args_devicePfi15HIP_vector_typeIjLj3EEiiiSB_iiiSB_iiii.has_recursion, 0
	.set _ZL13mul_mat_vec_fI6__halfS0_Li1ELi32ELb0ELb1EEvPKT_PKfPKi31ggml_cuda_mm_fusion_args_devicePfi15HIP_vector_typeIjLj3EEiiiSB_iiiSB_iiii.has_indirect_call, 0
	.section	.AMDGPU.csdata,"",@progbits
; Kernel info:
; codeLenInByte = 716
; TotalNumSgprs: 26
; NumVgprs: 10
; ScratchSize: 0
; MemoryBound: 0
; FloatMode: 240
; IeeeMode: 1
; LDSByteSize: 0 bytes/workgroup (compile time only)
; SGPRBlocks: 0
; VGPRBlocks: 1
; NumSGPRsForWavesPerEU: 26
; NumVGPRsForWavesPerEU: 10
; Occupancy: 16
; WaveLimiterHint : 1
; COMPUTE_PGM_RSRC2:SCRATCH_EN: 0
; COMPUTE_PGM_RSRC2:USER_SGPR: 6
; COMPUTE_PGM_RSRC2:TRAP_HANDLER: 0
; COMPUTE_PGM_RSRC2:TGID_X_EN: 1
; COMPUTE_PGM_RSRC2:TGID_Y_EN: 1
; COMPUTE_PGM_RSRC2:TGID_Z_EN: 1
; COMPUTE_PGM_RSRC2:TIDIG_COMP_CNT: 0
	.section	.text._ZL13mul_mat_vec_fI6__halfS0_Li1ELi64ELb1ELb1EEvPKT_PKfPKi31ggml_cuda_mm_fusion_args_devicePfi15HIP_vector_typeIjLj3EEiiiSB_iiiSB_iiii,"axG",@progbits,_ZL13mul_mat_vec_fI6__halfS0_Li1ELi64ELb1ELb1EEvPKT_PKfPKi31ggml_cuda_mm_fusion_args_devicePfi15HIP_vector_typeIjLj3EEiiiSB_iiiSB_iiii,comdat
	.globl	_ZL13mul_mat_vec_fI6__halfS0_Li1ELi64ELb1ELb1EEvPKT_PKfPKi31ggml_cuda_mm_fusion_args_devicePfi15HIP_vector_typeIjLj3EEiiiSB_iiiSB_iiii ; -- Begin function _ZL13mul_mat_vec_fI6__halfS0_Li1ELi64ELb1ELb1EEvPKT_PKfPKi31ggml_cuda_mm_fusion_args_devicePfi15HIP_vector_typeIjLj3EEiiiSB_iiiSB_iiii
	.p2align	8
	.type	_ZL13mul_mat_vec_fI6__halfS0_Li1ELi64ELb1ELb1EEvPKT_PKfPKi31ggml_cuda_mm_fusion_args_devicePfi15HIP_vector_typeIjLj3EEiiiSB_iiiSB_iiii,@function
_ZL13mul_mat_vec_fI6__halfS0_Li1ELi64ELb1ELb1EEvPKT_PKfPKi31ggml_cuda_mm_fusion_args_devicePfi15HIP_vector_typeIjLj3EEiiiSB_iiiSB_iiii: ; @_ZL13mul_mat_vec_fI6__halfS0_Li1ELi64ELb1ELb1EEvPKT_PKfPKi31ggml_cuda_mm_fusion_args_devicePfi15HIP_vector_typeIjLj3EEiiiSB_iiiSB_iiii
; %bb.0:
	s_clause 0x3
	s_load_dword s1, s[4:5], 0x8c
	s_load_dwordx8 s[20:27], s[4:5], 0x0
	s_load_dwordx4 s[36:39], s[4:5], 0x20
	s_load_dwordx8 s[12:19], s[4:5], 0x40
	v_lshl_add_u32 v7, v0, 2, 0
	s_mov_b32 s0, s7
	s_waitcnt lgkmcnt(0)
	s_mul_i32 s1, s1, s8
	s_add_i32 s2, s1, s7
	s_ashr_i32 s3, s2, 31
	s_lshl_b64 s[2:3], s[2:3], 2
	s_add_u32 s10, s24, s2
	s_addc_u32 s11, s25, s3
	s_cmp_lg_u64 s[36:37], 0
	v_cmp_gt_u32_e64 s2, 32, v0
	s_cselect_b32 s1, -1, 0
	s_cmp_eq_u64 s[36:37], 0
	s_cselect_b32 s19, -1, 0
	s_and_saveexec_b32 s3, s2
	s_cbranch_execz .LBB90_3
; %bb.1:
	v_mov_b32_e32 v1, 0
	s_andn2_b32 vcc_lo, exec_lo, s1
	ds_write_b32 v7, v1
	s_cbranch_vccnz .LBB90_3
; %bb.2:
	ds_write_b32 v7, v1 offset:128
.LBB90_3:
	s_or_b32 exec_lo, exec_lo, s3
	s_load_dword s7, s[10:11], 0x0
	s_load_dwordx4 s[28:31], s[4:5], 0x68
	v_mov_b32_e32 v8, 0
	v_mov_b32_e32 v4, 0
	;; [unrolled: 1-line block ×3, first 2 shown]
	s_mov_b32 s10, 0
	s_mov_b32 s9, exec_lo
	s_waitcnt lgkmcnt(0)
	s_barrier
	buffer_gl0_inv
	v_cmpx_gt_i32_e64 s12, v0
	s_cbranch_execz .LBB90_10
; %bb.4:
	s_mul_hi_u32 s3, s13, s0
	s_mul_i32 s11, s7, s28
	s_add_i32 s3, s0, s3
	s_mul_i32 s13, s16, s6
	s_lshr_b32 s3, s3, s14
	s_ashr_i32 s16, s11, 31
	s_mul_i32 s3, s3, s15
	s_ashr_i32 s15, s13, 31
	s_sub_i32 s3, s0, s3
	s_add_u32 s14, s11, s13
	s_mul_i32 s11, s8, s17
	s_addc_u32 s15, s16, s15
	s_mul_i32 s16, s3, s29
	s_lshl_b32 s28, s11, 1
	s_ashr_i32 s17, s16, 31
	s_ashr_i32 s29, s28, 31
	s_and_b32 s3, s1, exec_lo
	s_cselect_b32 s35, s15, 0
	s_cselect_b32 s34, s14, 0
	v_lshlrev_b32_e32 v5, 2, v0
	s_cselect_b32 s3, s37, 0
	s_cselect_b32 s11, s36, 0
	s_lshl_b64 s[34:35], s[34:35], 1
	v_lshlrev_b32_e32 v3, 3, v0
	s_add_u32 s11, s11, s34
	s_addc_u32 s3, s3, s35
	v_add_co_u32 v1, s11, s11, v5
	s_lshl_b64 s[16:17], s[16:17], 2
	s_lshl_b64 s[28:29], s[28:29], 2
	v_add_co_ci_u32_e64 v2, null, s3, 0, s11
	s_add_u32 s3, s22, s16
	s_addc_u32 s11, s23, s17
	s_add_u32 s3, s3, s28
	s_addc_u32 s11, s11, s29
	v_add_co_u32 v3, s3, s3, v3
	s_lshl_b64 s[14:15], s[14:15], 1
	v_add_co_ci_u32_e64 v4, null, s11, 0, s3
	s_add_u32 s3, s20, s14
	v_add_co_u32 v3, vcc_lo, v3, 4
	s_addc_u32 s11, s21, s15
	v_add_co_u32 v5, s3, s3, v5
	v_add_co_ci_u32_e64 v4, null, 0, v4, vcc_lo
	v_add_co_ci_u32_e64 v6, null, s11, 0, s3
	v_mov_b32_e32 v8, 0
	v_mov_b32_e32 v10, v0
	v_mov_b32_e32 v9, 0
	s_inst_prefetch 0x1
	s_branch .LBB90_7
	.p2align	6
.LBB90_5:                               ;   in Loop: Header=BB90_7 Depth=1
	global_load_dword v12, v[1:2], off
.LBB90_6:                               ;   in Loop: Header=BB90_7 Depth=1
	global_load_dwordx2 v[13:14], v[3:4], off offset:-4
	v_add_nc_u32_e32 v10, 64, v10
	v_add_co_u32 v1, vcc_lo, 0x100, v1
	v_add_co_ci_u32_e64 v2, null, 0, v2, vcc_lo
	v_add_co_u32 v3, vcc_lo, 0x200, v3
	v_add_co_ci_u32_e64 v4, null, 0, v4, vcc_lo
	v_cmp_le_i32_e32 vcc_lo, s12, v10
	v_add_co_u32 v5, s3, 0x100, v5
	v_add_co_ci_u32_e64 v6, null, 0, v6, s3
	s_or_b32 s10, vcc_lo, s10
	s_waitcnt vmcnt(0)
	v_cvt_f16_f32_e32 v13, v13
	v_cvt_f16_f32_e32 v14, v14
	v_pack_b32_f16 v13, v13, v14
	v_pk_fma_f16 v12, v12, v13, v9
	v_pk_fma_f16 v8, v11, v13, v8
	v_cndmask_b32_e64 v9, v9, v12, s1
	s_andn2_b32 exec_lo, exec_lo, s10
	s_cbranch_execz .LBB90_9
.LBB90_7:                               ; =>This Inner Loop Header: Depth=1
	global_load_dword v11, v[5:6], off
	s_andn2_b32 vcc_lo, exec_lo, s1
	s_cbranch_vccz .LBB90_5
; %bb.8:                                ;   in Loop: Header=BB90_7 Depth=1
	v_mov_b32_e32 v12, 0
	s_branch .LBB90_6
.LBB90_9:
	s_inst_prefetch 0x2
	s_or_b32 exec_lo, exec_lo, s10
	v_cvt_f32_f16_sdwa v4, v9 dst_sel:DWORD dst_unused:UNUSED_PAD src0_sel:WORD_1
	v_cvt_f32_f16_e32 v5, v9
.LBB90_10:
	s_or_b32 exec_lo, exec_lo, s9
	v_mbcnt_lo_u32_b32 v1, -1, 0
	v_cvt_f32_f16_e32 v3, v8
	v_cvt_f32_f16_sdwa v6, v8 dst_sel:DWORD dst_unused:UNUSED_PAD src0_sel:WORD_1
	s_load_dword s9, s[4:5], 0x30
	s_mov_b32 s3, -1
	v_xor_b32_e32 v2, 16, v1
	v_add_f32_e32 v8, v3, v6
	v_xor_b32_e32 v6, 8, v1
	v_cmp_gt_i32_e32 vcc_lo, 32, v2
	v_cndmask_b32_e32 v2, v1, v2, vcc_lo
	v_cmp_gt_i32_e32 vcc_lo, 32, v6
	v_lshlrev_b32_e32 v3, 2, v2
	v_cndmask_b32_e32 v6, v1, v6, vcc_lo
	ds_bpermute_b32 v2, v3, v8
	v_lshlrev_b32_e32 v6, 2, v6
	s_waitcnt lgkmcnt(0)
	v_add_f32_e32 v2, v8, v2
	v_xor_b32_e32 v8, 4, v1
	ds_bpermute_b32 v9, v6, v2
	v_cmp_gt_i32_e32 vcc_lo, 32, v8
	v_cndmask_b32_e32 v8, v1, v8, vcc_lo
	v_lshlrev_b32_e32 v8, 2, v8
	s_waitcnt lgkmcnt(0)
	v_add_f32_e32 v2, v2, v9
	v_xor_b32_e32 v9, 2, v1
	ds_bpermute_b32 v10, v8, v2
	v_cmp_gt_i32_e32 vcc_lo, 32, v9
	v_cndmask_b32_e32 v9, v1, v9, vcc_lo
	;; [unrolled: 7-line block ×3, first 2 shown]
	s_and_b32 vcc_lo, exec_lo, s19
	v_lshlrev_b32_e32 v10, 2, v1
	s_waitcnt lgkmcnt(0)
	v_add_f32_e32 v1, v2, v11
	v_lshrrev_b32_e32 v11, 5, v0
	ds_bpermute_b32 v2, v10, v1
	v_lshl_add_u32 v11, v11, 2, 0
	s_waitcnt lgkmcnt(0)
	v_add_f32_e32 v1, v1, v2
	s_cbranch_vccz .LBB90_12
; %bb.11:
	s_mov_b32 s3, 0
	ds_write_b32 v11, v1
.LBB90_12:
	v_mov_b32_e32 v2, 0
	s_andn2_b32 vcc_lo, exec_lo, s3
	s_cbranch_vccnz .LBB90_14
; %bb.13:
	v_add_f32_e32 v2, v5, v4
	ds_bpermute_b32 v4, v3, v2
	s_waitcnt lgkmcnt(0)
	v_add_f32_e32 v2, v2, v4
	ds_bpermute_b32 v4, v6, v2
	s_waitcnt lgkmcnt(0)
	;; [unrolled: 3-line block ×5, first 2 shown]
	v_add_f32_e32 v2, v2, v4
	ds_write2_b32 v11, v1, v2 offset1:32
.LBB90_14:
	s_waitcnt lgkmcnt(0)
	s_barrier
	buffer_gl0_inv
	s_and_saveexec_b32 s3, s2
	s_cbranch_execz .LBB90_18
; %bb.15:
	ds_read_b32 v1, v7
	s_andn2_b32 vcc_lo, exec_lo, s1
	s_waitcnt lgkmcnt(0)
	ds_bpermute_b32 v4, v3, v1
	s_waitcnt lgkmcnt(0)
	v_add_f32_e32 v1, v1, v4
	ds_bpermute_b32 v4, v6, v1
	s_waitcnt lgkmcnt(0)
	v_add_f32_e32 v1, v1, v4
	;; [unrolled: 3-line block ×4, first 2 shown]
	ds_bpermute_b32 v4, v10, v1
	s_cbranch_vccnz .LBB90_17
; %bb.16:
	ds_read_b32 v2, v7 offset:128
	s_waitcnt lgkmcnt(0)
	ds_bpermute_b32 v3, v3, v2
	s_waitcnt lgkmcnt(0)
	v_add_f32_e32 v2, v2, v3
	ds_bpermute_b32 v3, v6, v2
	s_waitcnt lgkmcnt(0)
	v_add_f32_e32 v2, v2, v3
	;; [unrolled: 3-line block ×5, first 2 shown]
.LBB90_17:
	s_waitcnt lgkmcnt(0)
	v_add_f32_e32 v1, v1, v4
.LBB90_18:
	s_or_b32 exec_lo, exec_lo, s3
	s_barrier
	buffer_gl0_inv
	s_mov_b32 s2, exec_lo
	v_cmpx_eq_u32_e32 0, v0
	s_cbranch_execz .LBB90_42
; %bb.19:
	s_cmp_eq_u64 s[26:27], 0
	s_cselect_b32 s10, -1, 0
	s_cmp_eq_u64 s[24:25], 0
	s_cselect_b32 s2, s0, s7
	s_mul_i32 s2, s2, s30
	s_ashr_i32 s3, s2, 31
	s_and_b32 vcc_lo, exec_lo, s10
	s_cbranch_vccnz .LBB90_21
; %bb.20:
	s_cselect_b32 s7, 0, s27
	s_cselect_b32 s12, 0, s26
	s_lshl_b64 s[10:11], s[2:3], 2
	s_add_u32 s12, s12, s10
	s_addc_u32 s13, s7, s11
	s_ashr_i32 s7, s6, 31
	s_lshl_b64 s[10:11], s[6:7], 2
	s_add_u32 s10, s12, s10
	s_addc_u32 s11, s13, s11
	s_load_dword s7, s[10:11], 0x0
	s_waitcnt lgkmcnt(0)
	v_add_f32_e32 v1, s7, v1
.LBB90_21:
	s_andn2_b32 vcc_lo, exec_lo, s1
	s_cbranch_vccnz .LBB90_41
; %bb.22:
	s_cmp_lg_u64 s[38:39], 0
	s_cselect_b32 s7, -1, 0
	s_and_b32 s1, s7, s1
	s_andn2_b32 vcc_lo, exec_lo, s1
	s_cbranch_vccnz .LBB90_24
; %bb.23:
	s_and_b32 s7, s7, exec_lo
	s_cselect_b32 s7, s39, 0
	s_cselect_b32 s10, s38, 0
	s_and_b32 s1, s1, exec_lo
	s_cselect_b32 s3, s3, 0
	s_cselect_b32 s2, s2, 0
	s_lshl_b64 s[2:3], s[2:3], 2
	s_add_u32 s1, s10, s2
	s_addc_u32 s10, s7, s3
	s_ashr_i32 s7, s6, 31
	s_lshl_b64 s[2:3], s[6:7], 2
	s_add_u32 s2, s1, s2
	s_addc_u32 s3, s10, s3
	s_load_dword s1, s[2:3], 0x0
	s_waitcnt lgkmcnt(0)
	v_add_f32_e32 v2, s1, v2
.LBB90_24:
	s_cmp_lt_i32 s9, 2
	s_cbranch_scc1 .LBB90_29
; %bb.25:
	s_cmp_lt_i32 s9, 3
	s_cbranch_scc1 .LBB90_30
; %bb.26:
	v_mov_b32_e32 v0, v1
	s_cmp_eq_u32 s9, 3
	s_cbranch_scc0 .LBB90_28
; %bb.27:
	v_max_f32_e32 v0, v2, v2
	v_min_f32_e32 v0, 0x40e00000, v0
	v_mul_f32_e32 v3, 0xbfd9db23, v0
	v_mul_f32_e32 v4, 0x3fb8aa3b, v3
	v_cmp_ngt_f32_e32 vcc_lo, 0xc2ce8ed0, v3
	v_fma_f32 v5, 0x3fb8aa3b, v3, -v4
	v_rndne_f32_e32 v6, v4
	v_fmamk_f32 v5, v3, 0x32a5705f, v5
	v_sub_f32_e32 v4, v4, v6
	v_add_f32_e32 v4, v4, v5
	v_cvt_i32_f32_e32 v5, v6
	v_exp_f32_e32 v4, v4
	v_ldexp_f32 v4, v4, v5
	v_cndmask_b32_e32 v4, 0, v4, vcc_lo
	v_cmp_nlt_f32_e32 vcc_lo, 0x42b17218, v3
	v_cndmask_b32_e32 v3, 0x7f800000, v4, vcc_lo
	v_add_f32_e32 v3, 1.0, v3
	v_div_scale_f32 v4, null, v3, v3, v0
	v_div_scale_f32 v7, vcc_lo, v0, v3, v0
	v_rcp_f32_e32 v5, v4
	v_fma_f32 v6, -v4, v5, 1.0
	v_fmac_f32_e32 v5, v6, v5
	v_mul_f32_e32 v6, v7, v5
	v_fma_f32 v8, -v4, v6, v7
	v_fmac_f32_e32 v6, v8, v5
	v_max_f32_e32 v8, v1, v1
	v_fma_f32 v4, -v4, v6, v7
	v_min_f32_e32 v7, 0x40e00000, v8
	v_div_fmas_f32 v4, v4, v5, v6
	v_max_f32_e32 v5, 0xc0e00000, v7
	v_div_fixup_f32 v0, v4, v3, v0
	v_add_f32_e32 v3, 1.0, v5
	v_mul_f32_e32 v0, v3, v0
.LBB90_28:
	s_cbranch_execz .LBB90_31
	s_branch .LBB90_32
.LBB90_29:
                                        ; implicit-def: $vgpr0
	s_branch .LBB90_33
.LBB90_30:
                                        ; implicit-def: $vgpr0
.LBB90_31:
	v_mul_f32_e32 v0, 0xbfb8aa3b, v2
	v_cmp_nlt_f32_e32 vcc_lo, 0x42ce8ed0, v2
	v_rndne_f32_e32 v3, v0
	v_fma_f32 v4, 0xbfb8aa3b, v2, -v0
	v_sub_f32_e32 v0, v0, v3
	v_fmamk_f32 v4, v2, 0xb2a5705f, v4
	v_cvt_i32_f32_e32 v3, v3
	v_add_f32_e32 v0, v0, v4
	v_exp_f32_e32 v0, v0
	v_ldexp_f32 v0, v0, v3
	v_cndmask_b32_e32 v0, 0, v0, vcc_lo
	v_cmp_ngt_f32_e32 vcc_lo, 0xc2b17218, v2
	v_cndmask_b32_e32 v0, 0x7f800000, v0, vcc_lo
	v_add_f32_e32 v0, 1.0, v0
	v_div_scale_f32 v3, null, v0, v0, v2
	v_rcp_f32_e32 v4, v3
	v_fma_f32 v5, -v3, v4, 1.0
	v_fmac_f32_e32 v4, v5, v4
	v_div_scale_f32 v5, vcc_lo, v2, v0, v2
	v_mul_f32_e32 v6, v5, v4
	v_fma_f32 v7, -v3, v6, v5
	v_fmac_f32_e32 v6, v7, v4
	v_fma_f32 v3, -v3, v6, v5
	v_div_fmas_f32 v3, v3, v4, v6
	v_div_fixup_f32 v0, v3, v0, v2
	v_mul_f32_e32 v0, v1, v0
.LBB90_32:
	s_cbranch_execnz .LBB90_40
.LBB90_33:
	s_cmp_eq_u32 s9, 1
	s_cbranch_scc0 .LBB90_39
; %bb.34:
	v_mul_f32_e32 v0, 0x3d372713, v2
	v_mul_f32_e32 v3, 0x3f4c422a, v2
	v_fma_f32 v0, v2, v0, 1.0
	v_mul_f32_e32 v0, v3, v0
                                        ; implicit-def: $vgpr3
	v_cmp_ngt_f32_e64 s1, 0x3f200000, |v0|
	s_and_saveexec_b32 s2, s1
	s_xor_b32 s1, exec_lo, s2
	s_cbranch_execz .LBB90_36
; %bb.35:
	v_add_f32_e64 v3, |v0|, |v0|
	v_mul_f32_e32 v4, 0x3fb8aa3b, v3
	v_cmp_ngt_f32_e32 vcc_lo, 0xc2ce8ed0, v3
	v_rndne_f32_e32 v5, v4
	v_fma_f32 v6, 0x3fb8aa3b, v3, -v4
	v_sub_f32_e32 v4, v4, v5
	v_fmamk_f32 v6, v3, 0x32a5705f, v6
	v_cvt_i32_f32_e32 v5, v5
	v_add_f32_e32 v4, v4, v6
	v_exp_f32_e32 v4, v4
	v_ldexp_f32 v4, v4, v5
	v_cndmask_b32_e32 v4, 0, v4, vcc_lo
	v_cmp_nlt_f32_e32 vcc_lo, 0x42b17218, v3
	v_cndmask_b32_e32 v3, 0x7f800000, v4, vcc_lo
	v_add_f32_e32 v3, 1.0, v3
	v_rcp_f32_e32 v3, v3
	v_fma_f32 v3, v3, -2.0, 1.0
.LBB90_36:
	s_andn2_saveexec_b32 s1, s1
	s_cbranch_execz .LBB90_38
; %bb.37:
	v_mul_f32_e32 v3, v0, v0
	s_mov_b32 s2, 0xbbbac73d
	v_fmaak_f32 v4, s2, v3, 0x3ca908c9
	v_fmaak_f32 v4, v3, v4, 0xbd5c1c4e
	;; [unrolled: 1-line block ×4, first 2 shown]
	v_mul_f32_e64 v4, |v0|, v4
	v_fma_f32 v3, v3, v4, |v0|
.LBB90_38:
	s_or_b32 exec_lo, exec_lo, s1
	v_bfi_b32 v0, 0x7fffffff, v3, v0
	v_mul_f32_e32 v2, 0.5, v2
	v_add_f32_e32 v0, 1.0, v0
	v_mul_f32_e32 v0, v2, v0
	v_mul_f32_e32 v1, v1, v0
.LBB90_39:
	v_mov_b32_e32 v0, v1
.LBB90_40:
	v_mov_b32_e32 v1, v0
.LBB90_41:
	s_load_dwordx2 s[2:3], s[4:5], 0x38
	s_mul_i32 s0, s30, s0
	s_mul_i32 s4, s18, s8
	s_ashr_i32 s1, s0, 31
	v_mov_b32_e32 v0, 0
	s_lshl_b64 s[0:1], s[0:1], 2
	s_waitcnt lgkmcnt(0)
	s_add_u32 s2, s2, s0
	s_addc_u32 s3, s3, s1
	s_ashr_i32 s5, s4, 31
	s_lshl_b64 s[0:1], s[4:5], 2
	s_add_u32 s2, s2, s0
	s_addc_u32 s3, s3, s1
	s_ashr_i32 s7, s6, 31
	s_lshl_b64 s[0:1], s[6:7], 2
	s_add_u32 s0, s2, s0
	s_addc_u32 s1, s3, s1
	global_store_dword v0, v1, s[0:1]
.LBB90_42:
	s_endpgm
	.section	.rodata,"a",@progbits
	.p2align	6, 0x0
	.amdhsa_kernel _ZL13mul_mat_vec_fI6__halfS0_Li1ELi64ELb1ELb1EEvPKT_PKfPKi31ggml_cuda_mm_fusion_args_devicePfi15HIP_vector_typeIjLj3EEiiiSB_iiiSB_iiii
		.amdhsa_group_segment_fixed_size 0
		.amdhsa_private_segment_fixed_size 0
		.amdhsa_kernarg_size 144
		.amdhsa_user_sgpr_count 6
		.amdhsa_user_sgpr_private_segment_buffer 1
		.amdhsa_user_sgpr_dispatch_ptr 0
		.amdhsa_user_sgpr_queue_ptr 0
		.amdhsa_user_sgpr_kernarg_segment_ptr 1
		.amdhsa_user_sgpr_dispatch_id 0
		.amdhsa_user_sgpr_flat_scratch_init 0
		.amdhsa_user_sgpr_private_segment_size 0
		.amdhsa_wavefront_size32 1
		.amdhsa_uses_dynamic_stack 0
		.amdhsa_system_sgpr_private_segment_wavefront_offset 0
		.amdhsa_system_sgpr_workgroup_id_x 1
		.amdhsa_system_sgpr_workgroup_id_y 1
		.amdhsa_system_sgpr_workgroup_id_z 1
		.amdhsa_system_sgpr_workgroup_info 0
		.amdhsa_system_vgpr_workitem_id 0
		.amdhsa_next_free_vgpr 15
		.amdhsa_next_free_sgpr 40
		.amdhsa_reserve_vcc 1
		.amdhsa_reserve_flat_scratch 0
		.amdhsa_float_round_mode_32 0
		.amdhsa_float_round_mode_16_64 0
		.amdhsa_float_denorm_mode_32 3
		.amdhsa_float_denorm_mode_16_64 3
		.amdhsa_dx10_clamp 1
		.amdhsa_ieee_mode 1
		.amdhsa_fp16_overflow 0
		.amdhsa_workgroup_processor_mode 1
		.amdhsa_memory_ordered 1
		.amdhsa_forward_progress 1
		.amdhsa_shared_vgpr_count 0
		.amdhsa_exception_fp_ieee_invalid_op 0
		.amdhsa_exception_fp_denorm_src 0
		.amdhsa_exception_fp_ieee_div_zero 0
		.amdhsa_exception_fp_ieee_overflow 0
		.amdhsa_exception_fp_ieee_underflow 0
		.amdhsa_exception_fp_ieee_inexact 0
		.amdhsa_exception_int_div_zero 0
	.end_amdhsa_kernel
	.section	.text._ZL13mul_mat_vec_fI6__halfS0_Li1ELi64ELb1ELb1EEvPKT_PKfPKi31ggml_cuda_mm_fusion_args_devicePfi15HIP_vector_typeIjLj3EEiiiSB_iiiSB_iiii,"axG",@progbits,_ZL13mul_mat_vec_fI6__halfS0_Li1ELi64ELb1ELb1EEvPKT_PKfPKi31ggml_cuda_mm_fusion_args_devicePfi15HIP_vector_typeIjLj3EEiiiSB_iiiSB_iiii,comdat
.Lfunc_end90:
	.size	_ZL13mul_mat_vec_fI6__halfS0_Li1ELi64ELb1ELb1EEvPKT_PKfPKi31ggml_cuda_mm_fusion_args_devicePfi15HIP_vector_typeIjLj3EEiiiSB_iiiSB_iiii, .Lfunc_end90-_ZL13mul_mat_vec_fI6__halfS0_Li1ELi64ELb1ELb1EEvPKT_PKfPKi31ggml_cuda_mm_fusion_args_devicePfi15HIP_vector_typeIjLj3EEiiiSB_iiiSB_iiii
                                        ; -- End function
	.set _ZL13mul_mat_vec_fI6__halfS0_Li1ELi64ELb1ELb1EEvPKT_PKfPKi31ggml_cuda_mm_fusion_args_devicePfi15HIP_vector_typeIjLj3EEiiiSB_iiiSB_iiii.num_vgpr, 15
	.set _ZL13mul_mat_vec_fI6__halfS0_Li1ELi64ELb1ELb1EEvPKT_PKfPKi31ggml_cuda_mm_fusion_args_devicePfi15HIP_vector_typeIjLj3EEiiiSB_iiiSB_iiii.num_agpr, 0
	.set _ZL13mul_mat_vec_fI6__halfS0_Li1ELi64ELb1ELb1EEvPKT_PKfPKi31ggml_cuda_mm_fusion_args_devicePfi15HIP_vector_typeIjLj3EEiiiSB_iiiSB_iiii.numbered_sgpr, 40
	.set _ZL13mul_mat_vec_fI6__halfS0_Li1ELi64ELb1ELb1EEvPKT_PKfPKi31ggml_cuda_mm_fusion_args_devicePfi15HIP_vector_typeIjLj3EEiiiSB_iiiSB_iiii.num_named_barrier, 0
	.set _ZL13mul_mat_vec_fI6__halfS0_Li1ELi64ELb1ELb1EEvPKT_PKfPKi31ggml_cuda_mm_fusion_args_devicePfi15HIP_vector_typeIjLj3EEiiiSB_iiiSB_iiii.private_seg_size, 0
	.set _ZL13mul_mat_vec_fI6__halfS0_Li1ELi64ELb1ELb1EEvPKT_PKfPKi31ggml_cuda_mm_fusion_args_devicePfi15HIP_vector_typeIjLj3EEiiiSB_iiiSB_iiii.uses_vcc, 1
	.set _ZL13mul_mat_vec_fI6__halfS0_Li1ELi64ELb1ELb1EEvPKT_PKfPKi31ggml_cuda_mm_fusion_args_devicePfi15HIP_vector_typeIjLj3EEiiiSB_iiiSB_iiii.uses_flat_scratch, 0
	.set _ZL13mul_mat_vec_fI6__halfS0_Li1ELi64ELb1ELb1EEvPKT_PKfPKi31ggml_cuda_mm_fusion_args_devicePfi15HIP_vector_typeIjLj3EEiiiSB_iiiSB_iiii.has_dyn_sized_stack, 0
	.set _ZL13mul_mat_vec_fI6__halfS0_Li1ELi64ELb1ELb1EEvPKT_PKfPKi31ggml_cuda_mm_fusion_args_devicePfi15HIP_vector_typeIjLj3EEiiiSB_iiiSB_iiii.has_recursion, 0
	.set _ZL13mul_mat_vec_fI6__halfS0_Li1ELi64ELb1ELb1EEvPKT_PKfPKi31ggml_cuda_mm_fusion_args_devicePfi15HIP_vector_typeIjLj3EEiiiSB_iiiSB_iiii.has_indirect_call, 0
	.section	.AMDGPU.csdata,"",@progbits
; Kernel info:
; codeLenInByte = 2168
; TotalNumSgprs: 42
; NumVgprs: 15
; ScratchSize: 0
; MemoryBound: 0
; FloatMode: 240
; IeeeMode: 1
; LDSByteSize: 0 bytes/workgroup (compile time only)
; SGPRBlocks: 0
; VGPRBlocks: 1
; NumSGPRsForWavesPerEU: 42
; NumVGPRsForWavesPerEU: 15
; Occupancy: 16
; WaveLimiterHint : 1
; COMPUTE_PGM_RSRC2:SCRATCH_EN: 0
; COMPUTE_PGM_RSRC2:USER_SGPR: 6
; COMPUTE_PGM_RSRC2:TRAP_HANDLER: 0
; COMPUTE_PGM_RSRC2:TGID_X_EN: 1
; COMPUTE_PGM_RSRC2:TGID_Y_EN: 1
; COMPUTE_PGM_RSRC2:TGID_Z_EN: 1
; COMPUTE_PGM_RSRC2:TIDIG_COMP_CNT: 0
	.section	.text._ZL13mul_mat_vec_fI6__halfS0_Li1ELi64ELb0ELb1EEvPKT_PKfPKi31ggml_cuda_mm_fusion_args_devicePfi15HIP_vector_typeIjLj3EEiiiSB_iiiSB_iiii,"axG",@progbits,_ZL13mul_mat_vec_fI6__halfS0_Li1ELi64ELb0ELb1EEvPKT_PKfPKi31ggml_cuda_mm_fusion_args_devicePfi15HIP_vector_typeIjLj3EEiiiSB_iiiSB_iiii,comdat
	.globl	_ZL13mul_mat_vec_fI6__halfS0_Li1ELi64ELb0ELb1EEvPKT_PKfPKi31ggml_cuda_mm_fusion_args_devicePfi15HIP_vector_typeIjLj3EEiiiSB_iiiSB_iiii ; -- Begin function _ZL13mul_mat_vec_fI6__halfS0_Li1ELi64ELb0ELb1EEvPKT_PKfPKi31ggml_cuda_mm_fusion_args_devicePfi15HIP_vector_typeIjLj3EEiiiSB_iiiSB_iiii
	.p2align	8
	.type	_ZL13mul_mat_vec_fI6__halfS0_Li1ELi64ELb0ELb1EEvPKT_PKfPKi31ggml_cuda_mm_fusion_args_devicePfi15HIP_vector_typeIjLj3EEiiiSB_iiiSB_iiii,@function
_ZL13mul_mat_vec_fI6__halfS0_Li1ELi64ELb0ELb1EEvPKT_PKfPKi31ggml_cuda_mm_fusion_args_devicePfi15HIP_vector_typeIjLj3EEiiiSB_iiiSB_iiii: ; @_ZL13mul_mat_vec_fI6__halfS0_Li1ELi64ELb0ELb1EEvPKT_PKfPKi31ggml_cuda_mm_fusion_args_devicePfi15HIP_vector_typeIjLj3EEiiiSB_iiiSB_iiii
; %bb.0:
	s_clause 0x2
	s_load_dword s2, s[4:5], 0x8c
	s_load_dwordx2 s[0:1], s[4:5], 0x10
	s_load_dwordx8 s[12:19], s[4:5], 0x40
	v_cmp_gt_u32_e32 vcc_lo, 32, v0
	v_lshl_add_u32 v5, v0, 2, 0
	s_waitcnt lgkmcnt(0)
	s_mul_i32 s2, s2, s8
	s_add_i32 s2, s2, s7
	s_ashr_i32 s3, s2, 31
	s_lshl_b64 s[2:3], s[2:3], 2
	s_add_u32 s2, s0, s2
	s_addc_u32 s3, s1, s3
	s_and_saveexec_b32 s0, vcc_lo
; %bb.1:
	v_mov_b32_e32 v1, 0
	ds_write_b32 v5, v1
; %bb.2:
	s_or_b32 exec_lo, exec_lo, s0
	s_load_dwordx4 s[20:23], s[4:5], 0x68
	v_mov_b32_e32 v1, 0
	v_mov_b32_e32 v2, 0
	s_mov_b32 s9, exec_lo
	s_waitcnt lgkmcnt(0)
	s_barrier
	buffer_gl0_inv
	v_cmpx_gt_i32_e64 s12, v0
	s_cbranch_execz .LBB91_6
; %bb.3:
	s_load_dword s19, s[2:3], 0x0
	s_load_dwordx4 s[24:27], s[4:5], 0x0
	s_mul_hi_u32 s1, s13, s7
	s_mul_i32 s2, s8, s17
	s_add_i32 s1, s7, s1
	s_lshl_b32 s2, s2, 1
	s_lshr_b32 s3, s1, s14
	s_mul_i32 s0, s16, s6
	s_mul_i32 s3, s3, s15
	v_lshlrev_b32_e32 v1, 3, v0
	s_sub_i32 s10, s7, s3
	s_ashr_i32 s3, s2, 31
	s_mul_i32 s10, s10, s21
	s_ashr_i32 s1, s0, 31
	s_ashr_i32 s11, s10, 31
	s_lshl_b64 s[2:3], s[2:3], 2
	s_lshl_b64 s[10:11], s[10:11], 2
	v_lshlrev_b32_e32 v3, 2, v0
	v_mov_b32_e32 v6, 0
	v_mov_b32_e32 v7, v0
	s_waitcnt lgkmcnt(0)
	s_mul_i32 s14, s19, s20
	s_ashr_i32 s15, s14, 31
	s_add_u32 s10, s26, s10
	s_addc_u32 s11, s27, s11
	s_add_u32 s10, s10, s2
	s_addc_u32 s11, s11, s3
	s_lshl_b64 s[2:3], s[0:1], 1
	v_add_co_u32 v1, s0, s10, v1
	v_add_co_ci_u32_e64 v2, null, s11, 0, s0
	s_lshl_b64 s[10:11], s[14:15], 1
	v_add_co_u32 v1, s0, v1, 4
	v_add_co_ci_u32_e64 v2, null, 0, v2, s0
	s_add_u32 s0, s24, s10
	s_addc_u32 s1, s25, s11
	s_add_u32 s0, s0, s2
	s_addc_u32 s1, s1, s3
	v_add_co_u32 v3, s0, s0, v3
	v_add_co_ci_u32_e64 v4, null, s1, 0, s0
	s_mov_b32 s2, 0
	.p2align	6
.LBB91_4:                               ; =>This Inner Loop Header: Depth=1
	global_load_dwordx2 v[8:9], v[1:2], off offset:-4
	global_load_dword v10, v[3:4], off
	v_add_nc_u32_e32 v7, 64, v7
	v_add_co_u32 v1, s0, 0x200, v1
	v_add_co_ci_u32_e64 v2, null, 0, v2, s0
	v_add_co_u32 v3, s0, 0x100, v3
	v_cmp_le_i32_e64 s1, s12, v7
	v_add_co_ci_u32_e64 v4, null, 0, v4, s0
	s_or_b32 s2, s1, s2
	s_waitcnt vmcnt(1)
	v_cvt_f16_f32_e32 v8, v8
	v_cvt_f16_f32_e32 v9, v9
	v_pack_b32_f16 v8, v8, v9
	s_waitcnt vmcnt(0)
	v_pk_fma_f16 v6, v10, v8, v6
	s_andn2_b32 exec_lo, exec_lo, s2
	s_cbranch_execnz .LBB91_4
; %bb.5:
	s_or_b32 exec_lo, exec_lo, s2
	v_cvt_f32_f16_sdwa v1, v6 dst_sel:DWORD dst_unused:UNUSED_PAD src0_sel:WORD_1
	v_cvt_f32_f16_e32 v2, v6
.LBB91_6:
	s_or_b32 exec_lo, exec_lo, s9
	v_mbcnt_lo_u32_b32 v7, -1, 0
	v_add_f32_e32 v2, v2, v1
	v_xor_b32_e32 v3, 16, v7
	v_xor_b32_e32 v9, 1, v7
	v_cmp_gt_i32_e64 s0, 32, v3
	v_cndmask_b32_e64 v3, v7, v3, s0
	v_lshlrev_b32_e32 v1, 2, v3
	v_xor_b32_e32 v3, 8, v7
	ds_bpermute_b32 v4, v1, v2
	v_cmp_gt_i32_e64 s0, 32, v3
	v_cndmask_b32_e64 v3, v7, v3, s0
	v_lshlrev_b32_e32 v3, 2, v3
	s_waitcnt lgkmcnt(0)
	v_add_f32_e32 v2, v2, v4
	v_xor_b32_e32 v4, 4, v7
	ds_bpermute_b32 v6, v3, v2
	v_cmp_gt_i32_e64 s0, 32, v4
	v_cndmask_b32_e64 v4, v7, v4, s0
	v_lshlrev_b32_e32 v4, 2, v4
	s_waitcnt lgkmcnt(0)
	v_add_f32_e32 v2, v2, v6
	v_xor_b32_e32 v6, 2, v7
	ds_bpermute_b32 v8, v4, v2
	v_cmp_gt_i32_e64 s0, 32, v6
	v_cndmask_b32_e64 v6, v7, v6, s0
	v_cmp_gt_i32_e64 s0, 32, v9
	v_lshlrev_b32_e32 v6, 2, v6
	v_cndmask_b32_e64 v7, v7, v9, s0
	v_lshrrev_b32_e32 v9, 3, v0
	v_lshlrev_b32_e32 v7, 2, v7
	v_and_b32_e32 v9, 0x7c, v9
	s_waitcnt lgkmcnt(0)
	v_add_f32_e32 v2, v2, v8
	v_add_nc_u32_e32 v9, 0, v9
	ds_bpermute_b32 v8, v6, v2
	s_waitcnt lgkmcnt(0)
	v_add_f32_e32 v2, v2, v8
	ds_bpermute_b32 v8, v7, v2
	s_waitcnt lgkmcnt(0)
	v_add_f32_e32 v2, v2, v8
	ds_write_b32 v9, v2
	s_waitcnt lgkmcnt(0)
	s_barrier
	buffer_gl0_inv
	s_and_saveexec_b32 s0, vcc_lo
	s_cbranch_execz .LBB91_8
; %bb.7:
	ds_read_b32 v2, v5
	s_waitcnt lgkmcnt(0)
	ds_bpermute_b32 v1, v1, v2
	s_waitcnt lgkmcnt(0)
	v_add_f32_e32 v1, v2, v1
	ds_bpermute_b32 v2, v3, v1
	s_waitcnt lgkmcnt(0)
	v_add_f32_e32 v1, v1, v2
	;; [unrolled: 3-line block ×5, first 2 shown]
.LBB91_8:
	s_or_b32 exec_lo, exec_lo, s0
	s_barrier
	buffer_gl0_inv
	s_mov_b32 s0, exec_lo
	v_cmpx_eq_u32_e32 0, v0
	s_cbranch_execz .LBB91_10
; %bb.9:
	s_load_dwordx2 s[0:1], s[4:5], 0x38
	s_mul_i32 s2, s22, s7
	s_mul_i32 s4, s18, s8
	s_ashr_i32 s3, s2, 31
	v_mov_b32_e32 v0, 0
	s_lshl_b64 s[2:3], s[2:3], 2
	s_waitcnt lgkmcnt(0)
	s_add_u32 s2, s0, s2
	s_addc_u32 s3, s1, s3
	s_ashr_i32 s5, s4, 31
	s_lshl_b64 s[0:1], s[4:5], 2
	s_add_u32 s2, s2, s0
	s_addc_u32 s3, s3, s1
	s_ashr_i32 s7, s6, 31
	s_lshl_b64 s[0:1], s[6:7], 2
	s_add_u32 s0, s2, s0
	s_addc_u32 s1, s3, s1
	global_store_dword v0, v2, s[0:1]
.LBB91_10:
	s_endpgm
	.section	.rodata,"a",@progbits
	.p2align	6, 0x0
	.amdhsa_kernel _ZL13mul_mat_vec_fI6__halfS0_Li1ELi64ELb0ELb1EEvPKT_PKfPKi31ggml_cuda_mm_fusion_args_devicePfi15HIP_vector_typeIjLj3EEiiiSB_iiiSB_iiii
		.amdhsa_group_segment_fixed_size 0
		.amdhsa_private_segment_fixed_size 0
		.amdhsa_kernarg_size 144
		.amdhsa_user_sgpr_count 6
		.amdhsa_user_sgpr_private_segment_buffer 1
		.amdhsa_user_sgpr_dispatch_ptr 0
		.amdhsa_user_sgpr_queue_ptr 0
		.amdhsa_user_sgpr_kernarg_segment_ptr 1
		.amdhsa_user_sgpr_dispatch_id 0
		.amdhsa_user_sgpr_flat_scratch_init 0
		.amdhsa_user_sgpr_private_segment_size 0
		.amdhsa_wavefront_size32 1
		.amdhsa_uses_dynamic_stack 0
		.amdhsa_system_sgpr_private_segment_wavefront_offset 0
		.amdhsa_system_sgpr_workgroup_id_x 1
		.amdhsa_system_sgpr_workgroup_id_y 1
		.amdhsa_system_sgpr_workgroup_id_z 1
		.amdhsa_system_sgpr_workgroup_info 0
		.amdhsa_system_vgpr_workitem_id 0
		.amdhsa_next_free_vgpr 11
		.amdhsa_next_free_sgpr 28
		.amdhsa_reserve_vcc 1
		.amdhsa_reserve_flat_scratch 0
		.amdhsa_float_round_mode_32 0
		.amdhsa_float_round_mode_16_64 0
		.amdhsa_float_denorm_mode_32 3
		.amdhsa_float_denorm_mode_16_64 3
		.amdhsa_dx10_clamp 1
		.amdhsa_ieee_mode 1
		.amdhsa_fp16_overflow 0
		.amdhsa_workgroup_processor_mode 1
		.amdhsa_memory_ordered 1
		.amdhsa_forward_progress 1
		.amdhsa_shared_vgpr_count 0
		.amdhsa_exception_fp_ieee_invalid_op 0
		.amdhsa_exception_fp_denorm_src 0
		.amdhsa_exception_fp_ieee_div_zero 0
		.amdhsa_exception_fp_ieee_overflow 0
		.amdhsa_exception_fp_ieee_underflow 0
		.amdhsa_exception_fp_ieee_inexact 0
		.amdhsa_exception_int_div_zero 0
	.end_amdhsa_kernel
	.section	.text._ZL13mul_mat_vec_fI6__halfS0_Li1ELi64ELb0ELb1EEvPKT_PKfPKi31ggml_cuda_mm_fusion_args_devicePfi15HIP_vector_typeIjLj3EEiiiSB_iiiSB_iiii,"axG",@progbits,_ZL13mul_mat_vec_fI6__halfS0_Li1ELi64ELb0ELb1EEvPKT_PKfPKi31ggml_cuda_mm_fusion_args_devicePfi15HIP_vector_typeIjLj3EEiiiSB_iiiSB_iiii,comdat
.Lfunc_end91:
	.size	_ZL13mul_mat_vec_fI6__halfS0_Li1ELi64ELb0ELb1EEvPKT_PKfPKi31ggml_cuda_mm_fusion_args_devicePfi15HIP_vector_typeIjLj3EEiiiSB_iiiSB_iiii, .Lfunc_end91-_ZL13mul_mat_vec_fI6__halfS0_Li1ELi64ELb0ELb1EEvPKT_PKfPKi31ggml_cuda_mm_fusion_args_devicePfi15HIP_vector_typeIjLj3EEiiiSB_iiiSB_iiii
                                        ; -- End function
	.set _ZL13mul_mat_vec_fI6__halfS0_Li1ELi64ELb0ELb1EEvPKT_PKfPKi31ggml_cuda_mm_fusion_args_devicePfi15HIP_vector_typeIjLj3EEiiiSB_iiiSB_iiii.num_vgpr, 11
	.set _ZL13mul_mat_vec_fI6__halfS0_Li1ELi64ELb0ELb1EEvPKT_PKfPKi31ggml_cuda_mm_fusion_args_devicePfi15HIP_vector_typeIjLj3EEiiiSB_iiiSB_iiii.num_agpr, 0
	.set _ZL13mul_mat_vec_fI6__halfS0_Li1ELi64ELb0ELb1EEvPKT_PKfPKi31ggml_cuda_mm_fusion_args_devicePfi15HIP_vector_typeIjLj3EEiiiSB_iiiSB_iiii.numbered_sgpr, 28
	.set _ZL13mul_mat_vec_fI6__halfS0_Li1ELi64ELb0ELb1EEvPKT_PKfPKi31ggml_cuda_mm_fusion_args_devicePfi15HIP_vector_typeIjLj3EEiiiSB_iiiSB_iiii.num_named_barrier, 0
	.set _ZL13mul_mat_vec_fI6__halfS0_Li1ELi64ELb0ELb1EEvPKT_PKfPKi31ggml_cuda_mm_fusion_args_devicePfi15HIP_vector_typeIjLj3EEiiiSB_iiiSB_iiii.private_seg_size, 0
	.set _ZL13mul_mat_vec_fI6__halfS0_Li1ELi64ELb0ELb1EEvPKT_PKfPKi31ggml_cuda_mm_fusion_args_devicePfi15HIP_vector_typeIjLj3EEiiiSB_iiiSB_iiii.uses_vcc, 1
	.set _ZL13mul_mat_vec_fI6__halfS0_Li1ELi64ELb0ELb1EEvPKT_PKfPKi31ggml_cuda_mm_fusion_args_devicePfi15HIP_vector_typeIjLj3EEiiiSB_iiiSB_iiii.uses_flat_scratch, 0
	.set _ZL13mul_mat_vec_fI6__halfS0_Li1ELi64ELb0ELb1EEvPKT_PKfPKi31ggml_cuda_mm_fusion_args_devicePfi15HIP_vector_typeIjLj3EEiiiSB_iiiSB_iiii.has_dyn_sized_stack, 0
	.set _ZL13mul_mat_vec_fI6__halfS0_Li1ELi64ELb0ELb1EEvPKT_PKfPKi31ggml_cuda_mm_fusion_args_devicePfi15HIP_vector_typeIjLj3EEiiiSB_iiiSB_iiii.has_recursion, 0
	.set _ZL13mul_mat_vec_fI6__halfS0_Li1ELi64ELb0ELb1EEvPKT_PKfPKi31ggml_cuda_mm_fusion_args_devicePfi15HIP_vector_typeIjLj3EEiiiSB_iiiSB_iiii.has_indirect_call, 0
	.section	.AMDGPU.csdata,"",@progbits
; Kernel info:
; codeLenInByte = 980
; TotalNumSgprs: 30
; NumVgprs: 11
; ScratchSize: 0
; MemoryBound: 0
; FloatMode: 240
; IeeeMode: 1
; LDSByteSize: 0 bytes/workgroup (compile time only)
; SGPRBlocks: 0
; VGPRBlocks: 1
; NumSGPRsForWavesPerEU: 30
; NumVGPRsForWavesPerEU: 11
; Occupancy: 16
; WaveLimiterHint : 1
; COMPUTE_PGM_RSRC2:SCRATCH_EN: 0
; COMPUTE_PGM_RSRC2:USER_SGPR: 6
; COMPUTE_PGM_RSRC2:TRAP_HANDLER: 0
; COMPUTE_PGM_RSRC2:TGID_X_EN: 1
; COMPUTE_PGM_RSRC2:TGID_Y_EN: 1
; COMPUTE_PGM_RSRC2:TGID_Z_EN: 1
; COMPUTE_PGM_RSRC2:TIDIG_COMP_CNT: 0
	.section	.text._ZL13mul_mat_vec_fI6__halfS0_Li1ELi96ELb1ELb1EEvPKT_PKfPKi31ggml_cuda_mm_fusion_args_devicePfi15HIP_vector_typeIjLj3EEiiiSB_iiiSB_iiii,"axG",@progbits,_ZL13mul_mat_vec_fI6__halfS0_Li1ELi96ELb1ELb1EEvPKT_PKfPKi31ggml_cuda_mm_fusion_args_devicePfi15HIP_vector_typeIjLj3EEiiiSB_iiiSB_iiii,comdat
	.globl	_ZL13mul_mat_vec_fI6__halfS0_Li1ELi96ELb1ELb1EEvPKT_PKfPKi31ggml_cuda_mm_fusion_args_devicePfi15HIP_vector_typeIjLj3EEiiiSB_iiiSB_iiii ; -- Begin function _ZL13mul_mat_vec_fI6__halfS0_Li1ELi96ELb1ELb1EEvPKT_PKfPKi31ggml_cuda_mm_fusion_args_devicePfi15HIP_vector_typeIjLj3EEiiiSB_iiiSB_iiii
	.p2align	8
	.type	_ZL13mul_mat_vec_fI6__halfS0_Li1ELi96ELb1ELb1EEvPKT_PKfPKi31ggml_cuda_mm_fusion_args_devicePfi15HIP_vector_typeIjLj3EEiiiSB_iiiSB_iiii,@function
_ZL13mul_mat_vec_fI6__halfS0_Li1ELi96ELb1ELb1EEvPKT_PKfPKi31ggml_cuda_mm_fusion_args_devicePfi15HIP_vector_typeIjLj3EEiiiSB_iiiSB_iiii: ; @_ZL13mul_mat_vec_fI6__halfS0_Li1ELi96ELb1ELb1EEvPKT_PKfPKi31ggml_cuda_mm_fusion_args_devicePfi15HIP_vector_typeIjLj3EEiiiSB_iiiSB_iiii
; %bb.0:
	s_clause 0x3
	s_load_dword s1, s[4:5], 0x8c
	s_load_dwordx8 s[20:27], s[4:5], 0x0
	s_load_dwordx4 s[36:39], s[4:5], 0x20
	s_load_dwordx8 s[12:19], s[4:5], 0x40
	v_lshl_add_u32 v7, v0, 2, 0
	s_mov_b32 s0, s7
	s_waitcnt lgkmcnt(0)
	s_mul_i32 s1, s1, s8
	s_add_i32 s2, s1, s7
	s_ashr_i32 s3, s2, 31
	s_lshl_b64 s[2:3], s[2:3], 2
	s_add_u32 s10, s24, s2
	s_addc_u32 s11, s25, s3
	s_cmp_lg_u64 s[36:37], 0
	v_cmp_gt_u32_e64 s2, 32, v0
	s_cselect_b32 s1, -1, 0
	s_cmp_eq_u64 s[36:37], 0
	s_cselect_b32 s19, -1, 0
	s_and_saveexec_b32 s3, s2
	s_cbranch_execz .LBB92_3
; %bb.1:
	v_mov_b32_e32 v1, 0
	s_andn2_b32 vcc_lo, exec_lo, s1
	ds_write_b32 v7, v1
	s_cbranch_vccnz .LBB92_3
; %bb.2:
	ds_write_b32 v7, v1 offset:128
.LBB92_3:
	s_or_b32 exec_lo, exec_lo, s3
	s_load_dword s7, s[10:11], 0x0
	s_load_dwordx4 s[28:31], s[4:5], 0x68
	v_mov_b32_e32 v8, 0
	v_mov_b32_e32 v4, 0
	;; [unrolled: 1-line block ×3, first 2 shown]
	s_mov_b32 s10, 0
	s_mov_b32 s9, exec_lo
	s_waitcnt lgkmcnt(0)
	s_barrier
	buffer_gl0_inv
	v_cmpx_gt_i32_e64 s12, v0
	s_cbranch_execz .LBB92_10
; %bb.4:
	s_mul_hi_u32 s3, s13, s0
	s_mul_i32 s11, s7, s28
	s_add_i32 s3, s0, s3
	s_mul_i32 s13, s16, s6
	s_lshr_b32 s3, s3, s14
	s_ashr_i32 s16, s11, 31
	s_mul_i32 s3, s3, s15
	s_ashr_i32 s15, s13, 31
	s_sub_i32 s3, s0, s3
	s_add_u32 s14, s11, s13
	s_mul_i32 s11, s8, s17
	s_addc_u32 s15, s16, s15
	s_mul_i32 s16, s3, s29
	s_lshl_b32 s28, s11, 1
	s_ashr_i32 s17, s16, 31
	s_ashr_i32 s29, s28, 31
	s_and_b32 s3, s1, exec_lo
	s_cselect_b32 s35, s15, 0
	s_cselect_b32 s34, s14, 0
	v_lshlrev_b32_e32 v5, 2, v0
	s_cselect_b32 s3, s37, 0
	s_cselect_b32 s11, s36, 0
	s_lshl_b64 s[34:35], s[34:35], 1
	v_lshlrev_b32_e32 v3, 3, v0
	s_add_u32 s11, s11, s34
	s_addc_u32 s3, s3, s35
	v_add_co_u32 v1, s11, s11, v5
	s_lshl_b64 s[16:17], s[16:17], 2
	s_lshl_b64 s[28:29], s[28:29], 2
	v_add_co_ci_u32_e64 v2, null, s3, 0, s11
	s_add_u32 s3, s22, s16
	s_addc_u32 s11, s23, s17
	s_add_u32 s3, s3, s28
	s_addc_u32 s11, s11, s29
	v_add_co_u32 v3, s3, s3, v3
	s_lshl_b64 s[14:15], s[14:15], 1
	v_add_co_ci_u32_e64 v4, null, s11, 0, s3
	s_add_u32 s3, s20, s14
	v_add_co_u32 v3, vcc_lo, v3, 4
	s_addc_u32 s11, s21, s15
	v_add_co_u32 v5, s3, s3, v5
	v_add_co_ci_u32_e64 v4, null, 0, v4, vcc_lo
	v_add_co_ci_u32_e64 v6, null, s11, 0, s3
	v_mov_b32_e32 v8, 0
	v_mov_b32_e32 v10, v0
	;; [unrolled: 1-line block ×3, first 2 shown]
	s_inst_prefetch 0x1
	s_branch .LBB92_7
	.p2align	6
.LBB92_5:                               ;   in Loop: Header=BB92_7 Depth=1
	global_load_dword v12, v[1:2], off
.LBB92_6:                               ;   in Loop: Header=BB92_7 Depth=1
	global_load_dwordx2 v[13:14], v[3:4], off offset:-4
	v_add_nc_u32_e32 v10, 0x60, v10
	v_add_co_u32 v1, vcc_lo, 0x180, v1
	v_add_co_ci_u32_e64 v2, null, 0, v2, vcc_lo
	v_add_co_u32 v3, vcc_lo, 0x300, v3
	v_add_co_ci_u32_e64 v4, null, 0, v4, vcc_lo
	v_cmp_le_i32_e32 vcc_lo, s12, v10
	v_add_co_u32 v5, s3, 0x180, v5
	v_add_co_ci_u32_e64 v6, null, 0, v6, s3
	s_or_b32 s10, vcc_lo, s10
	s_waitcnt vmcnt(0)
	v_cvt_f16_f32_e32 v13, v13
	v_cvt_f16_f32_e32 v14, v14
	v_pack_b32_f16 v13, v13, v14
	v_pk_fma_f16 v12, v12, v13, v9
	v_pk_fma_f16 v8, v11, v13, v8
	v_cndmask_b32_e64 v9, v9, v12, s1
	s_andn2_b32 exec_lo, exec_lo, s10
	s_cbranch_execz .LBB92_9
.LBB92_7:                               ; =>This Inner Loop Header: Depth=1
	global_load_dword v11, v[5:6], off
	s_andn2_b32 vcc_lo, exec_lo, s1
	s_cbranch_vccz .LBB92_5
; %bb.8:                                ;   in Loop: Header=BB92_7 Depth=1
	v_mov_b32_e32 v12, 0
	s_branch .LBB92_6
.LBB92_9:
	s_inst_prefetch 0x2
	s_or_b32 exec_lo, exec_lo, s10
	v_cvt_f32_f16_sdwa v4, v9 dst_sel:DWORD dst_unused:UNUSED_PAD src0_sel:WORD_1
	v_cvt_f32_f16_e32 v5, v9
.LBB92_10:
	s_or_b32 exec_lo, exec_lo, s9
	v_mbcnt_lo_u32_b32 v1, -1, 0
	v_cvt_f32_f16_e32 v3, v8
	v_cvt_f32_f16_sdwa v6, v8 dst_sel:DWORD dst_unused:UNUSED_PAD src0_sel:WORD_1
	s_load_dword s9, s[4:5], 0x30
	s_mov_b32 s3, -1
	v_xor_b32_e32 v2, 16, v1
	v_add_f32_e32 v8, v3, v6
	v_xor_b32_e32 v6, 8, v1
	v_cmp_gt_i32_e32 vcc_lo, 32, v2
	v_cndmask_b32_e32 v2, v1, v2, vcc_lo
	v_cmp_gt_i32_e32 vcc_lo, 32, v6
	v_lshlrev_b32_e32 v3, 2, v2
	v_cndmask_b32_e32 v6, v1, v6, vcc_lo
	ds_bpermute_b32 v2, v3, v8
	v_lshlrev_b32_e32 v6, 2, v6
	s_waitcnt lgkmcnt(0)
	v_add_f32_e32 v2, v8, v2
	v_xor_b32_e32 v8, 4, v1
	ds_bpermute_b32 v9, v6, v2
	v_cmp_gt_i32_e32 vcc_lo, 32, v8
	v_cndmask_b32_e32 v8, v1, v8, vcc_lo
	v_lshlrev_b32_e32 v8, 2, v8
	s_waitcnt lgkmcnt(0)
	v_add_f32_e32 v2, v2, v9
	v_xor_b32_e32 v9, 2, v1
	ds_bpermute_b32 v10, v8, v2
	v_cmp_gt_i32_e32 vcc_lo, 32, v9
	v_cndmask_b32_e32 v9, v1, v9, vcc_lo
	;; [unrolled: 7-line block ×3, first 2 shown]
	s_and_b32 vcc_lo, exec_lo, s19
	v_lshlrev_b32_e32 v10, 2, v1
	s_waitcnt lgkmcnt(0)
	v_add_f32_e32 v1, v2, v11
	v_lshrrev_b32_e32 v11, 5, v0
	ds_bpermute_b32 v2, v10, v1
	v_lshl_add_u32 v11, v11, 2, 0
	s_waitcnt lgkmcnt(0)
	v_add_f32_e32 v1, v1, v2
	s_cbranch_vccz .LBB92_12
; %bb.11:
	s_mov_b32 s3, 0
	ds_write_b32 v11, v1
.LBB92_12:
	v_mov_b32_e32 v2, 0
	s_andn2_b32 vcc_lo, exec_lo, s3
	s_cbranch_vccnz .LBB92_14
; %bb.13:
	v_add_f32_e32 v2, v5, v4
	ds_bpermute_b32 v4, v3, v2
	s_waitcnt lgkmcnt(0)
	v_add_f32_e32 v2, v2, v4
	ds_bpermute_b32 v4, v6, v2
	s_waitcnt lgkmcnt(0)
	;; [unrolled: 3-line block ×5, first 2 shown]
	v_add_f32_e32 v2, v2, v4
	ds_write2_b32 v11, v1, v2 offset1:32
.LBB92_14:
	s_waitcnt lgkmcnt(0)
	s_barrier
	buffer_gl0_inv
	s_and_saveexec_b32 s3, s2
	s_cbranch_execz .LBB92_18
; %bb.15:
	ds_read_b32 v1, v7
	s_andn2_b32 vcc_lo, exec_lo, s1
	s_waitcnt lgkmcnt(0)
	ds_bpermute_b32 v4, v3, v1
	s_waitcnt lgkmcnt(0)
	v_add_f32_e32 v1, v1, v4
	ds_bpermute_b32 v4, v6, v1
	s_waitcnt lgkmcnt(0)
	v_add_f32_e32 v1, v1, v4
	;; [unrolled: 3-line block ×4, first 2 shown]
	ds_bpermute_b32 v4, v10, v1
	s_cbranch_vccnz .LBB92_17
; %bb.16:
	ds_read_b32 v2, v7 offset:128
	s_waitcnt lgkmcnt(0)
	ds_bpermute_b32 v3, v3, v2
	s_waitcnt lgkmcnt(0)
	v_add_f32_e32 v2, v2, v3
	ds_bpermute_b32 v3, v6, v2
	s_waitcnt lgkmcnt(0)
	v_add_f32_e32 v2, v2, v3
	;; [unrolled: 3-line block ×5, first 2 shown]
.LBB92_17:
	s_waitcnt lgkmcnt(0)
	v_add_f32_e32 v1, v1, v4
.LBB92_18:
	s_or_b32 exec_lo, exec_lo, s3
	s_barrier
	buffer_gl0_inv
	s_mov_b32 s2, exec_lo
	v_cmpx_eq_u32_e32 0, v0
	s_cbranch_execz .LBB92_42
; %bb.19:
	s_cmp_eq_u64 s[26:27], 0
	s_cselect_b32 s10, -1, 0
	s_cmp_eq_u64 s[24:25], 0
	s_cselect_b32 s2, s0, s7
	s_mul_i32 s2, s2, s30
	s_ashr_i32 s3, s2, 31
	s_and_b32 vcc_lo, exec_lo, s10
	s_cbranch_vccnz .LBB92_21
; %bb.20:
	s_cselect_b32 s7, 0, s27
	s_cselect_b32 s12, 0, s26
	s_lshl_b64 s[10:11], s[2:3], 2
	s_add_u32 s12, s12, s10
	s_addc_u32 s13, s7, s11
	s_ashr_i32 s7, s6, 31
	s_lshl_b64 s[10:11], s[6:7], 2
	s_add_u32 s10, s12, s10
	s_addc_u32 s11, s13, s11
	s_load_dword s7, s[10:11], 0x0
	s_waitcnt lgkmcnt(0)
	v_add_f32_e32 v1, s7, v1
.LBB92_21:
	s_andn2_b32 vcc_lo, exec_lo, s1
	s_cbranch_vccnz .LBB92_41
; %bb.22:
	s_cmp_lg_u64 s[38:39], 0
	s_cselect_b32 s7, -1, 0
	s_and_b32 s1, s7, s1
	s_andn2_b32 vcc_lo, exec_lo, s1
	s_cbranch_vccnz .LBB92_24
; %bb.23:
	s_and_b32 s7, s7, exec_lo
	s_cselect_b32 s7, s39, 0
	s_cselect_b32 s10, s38, 0
	s_and_b32 s1, s1, exec_lo
	s_cselect_b32 s3, s3, 0
	s_cselect_b32 s2, s2, 0
	s_lshl_b64 s[2:3], s[2:3], 2
	s_add_u32 s1, s10, s2
	s_addc_u32 s10, s7, s3
	s_ashr_i32 s7, s6, 31
	s_lshl_b64 s[2:3], s[6:7], 2
	s_add_u32 s2, s1, s2
	s_addc_u32 s3, s10, s3
	s_load_dword s1, s[2:3], 0x0
	s_waitcnt lgkmcnt(0)
	v_add_f32_e32 v2, s1, v2
.LBB92_24:
	s_cmp_lt_i32 s9, 2
	s_cbranch_scc1 .LBB92_29
; %bb.25:
	s_cmp_lt_i32 s9, 3
	s_cbranch_scc1 .LBB92_30
; %bb.26:
	v_mov_b32_e32 v0, v1
	s_cmp_eq_u32 s9, 3
	s_cbranch_scc0 .LBB92_28
; %bb.27:
	v_max_f32_e32 v0, v2, v2
	v_min_f32_e32 v0, 0x40e00000, v0
	v_mul_f32_e32 v3, 0xbfd9db23, v0
	v_mul_f32_e32 v4, 0x3fb8aa3b, v3
	v_cmp_ngt_f32_e32 vcc_lo, 0xc2ce8ed0, v3
	v_fma_f32 v5, 0x3fb8aa3b, v3, -v4
	v_rndne_f32_e32 v6, v4
	v_fmamk_f32 v5, v3, 0x32a5705f, v5
	v_sub_f32_e32 v4, v4, v6
	v_add_f32_e32 v4, v4, v5
	v_cvt_i32_f32_e32 v5, v6
	v_exp_f32_e32 v4, v4
	v_ldexp_f32 v4, v4, v5
	v_cndmask_b32_e32 v4, 0, v4, vcc_lo
	v_cmp_nlt_f32_e32 vcc_lo, 0x42b17218, v3
	v_cndmask_b32_e32 v3, 0x7f800000, v4, vcc_lo
	v_add_f32_e32 v3, 1.0, v3
	v_div_scale_f32 v4, null, v3, v3, v0
	v_div_scale_f32 v7, vcc_lo, v0, v3, v0
	v_rcp_f32_e32 v5, v4
	v_fma_f32 v6, -v4, v5, 1.0
	v_fmac_f32_e32 v5, v6, v5
	v_mul_f32_e32 v6, v7, v5
	v_fma_f32 v8, -v4, v6, v7
	v_fmac_f32_e32 v6, v8, v5
	v_max_f32_e32 v8, v1, v1
	v_fma_f32 v4, -v4, v6, v7
	v_min_f32_e32 v7, 0x40e00000, v8
	v_div_fmas_f32 v4, v4, v5, v6
	v_max_f32_e32 v5, 0xc0e00000, v7
	v_div_fixup_f32 v0, v4, v3, v0
	v_add_f32_e32 v3, 1.0, v5
	v_mul_f32_e32 v0, v3, v0
.LBB92_28:
	s_cbranch_execz .LBB92_31
	s_branch .LBB92_32
.LBB92_29:
                                        ; implicit-def: $vgpr0
	s_branch .LBB92_33
.LBB92_30:
                                        ; implicit-def: $vgpr0
.LBB92_31:
	v_mul_f32_e32 v0, 0xbfb8aa3b, v2
	v_cmp_nlt_f32_e32 vcc_lo, 0x42ce8ed0, v2
	v_rndne_f32_e32 v3, v0
	v_fma_f32 v4, 0xbfb8aa3b, v2, -v0
	v_sub_f32_e32 v0, v0, v3
	v_fmamk_f32 v4, v2, 0xb2a5705f, v4
	v_cvt_i32_f32_e32 v3, v3
	v_add_f32_e32 v0, v0, v4
	v_exp_f32_e32 v0, v0
	v_ldexp_f32 v0, v0, v3
	v_cndmask_b32_e32 v0, 0, v0, vcc_lo
	v_cmp_ngt_f32_e32 vcc_lo, 0xc2b17218, v2
	v_cndmask_b32_e32 v0, 0x7f800000, v0, vcc_lo
	v_add_f32_e32 v0, 1.0, v0
	v_div_scale_f32 v3, null, v0, v0, v2
	v_rcp_f32_e32 v4, v3
	v_fma_f32 v5, -v3, v4, 1.0
	v_fmac_f32_e32 v4, v5, v4
	v_div_scale_f32 v5, vcc_lo, v2, v0, v2
	v_mul_f32_e32 v6, v5, v4
	v_fma_f32 v7, -v3, v6, v5
	v_fmac_f32_e32 v6, v7, v4
	v_fma_f32 v3, -v3, v6, v5
	v_div_fmas_f32 v3, v3, v4, v6
	v_div_fixup_f32 v0, v3, v0, v2
	v_mul_f32_e32 v0, v1, v0
.LBB92_32:
	s_cbranch_execnz .LBB92_40
.LBB92_33:
	s_cmp_eq_u32 s9, 1
	s_cbranch_scc0 .LBB92_39
; %bb.34:
	v_mul_f32_e32 v0, 0x3d372713, v2
	v_mul_f32_e32 v3, 0x3f4c422a, v2
	v_fma_f32 v0, v2, v0, 1.0
	v_mul_f32_e32 v0, v3, v0
                                        ; implicit-def: $vgpr3
	v_cmp_ngt_f32_e64 s1, 0x3f200000, |v0|
	s_and_saveexec_b32 s2, s1
	s_xor_b32 s1, exec_lo, s2
	s_cbranch_execz .LBB92_36
; %bb.35:
	v_add_f32_e64 v3, |v0|, |v0|
	v_mul_f32_e32 v4, 0x3fb8aa3b, v3
	v_cmp_ngt_f32_e32 vcc_lo, 0xc2ce8ed0, v3
	v_rndne_f32_e32 v5, v4
	v_fma_f32 v6, 0x3fb8aa3b, v3, -v4
	v_sub_f32_e32 v4, v4, v5
	v_fmamk_f32 v6, v3, 0x32a5705f, v6
	v_cvt_i32_f32_e32 v5, v5
	v_add_f32_e32 v4, v4, v6
	v_exp_f32_e32 v4, v4
	v_ldexp_f32 v4, v4, v5
	v_cndmask_b32_e32 v4, 0, v4, vcc_lo
	v_cmp_nlt_f32_e32 vcc_lo, 0x42b17218, v3
	v_cndmask_b32_e32 v3, 0x7f800000, v4, vcc_lo
	v_add_f32_e32 v3, 1.0, v3
	v_rcp_f32_e32 v3, v3
	v_fma_f32 v3, v3, -2.0, 1.0
.LBB92_36:
	s_andn2_saveexec_b32 s1, s1
	s_cbranch_execz .LBB92_38
; %bb.37:
	v_mul_f32_e32 v3, v0, v0
	s_mov_b32 s2, 0xbbbac73d
	v_fmaak_f32 v4, s2, v3, 0x3ca908c9
	v_fmaak_f32 v4, v3, v4, 0xbd5c1c4e
	;; [unrolled: 1-line block ×4, first 2 shown]
	v_mul_f32_e64 v4, |v0|, v4
	v_fma_f32 v3, v3, v4, |v0|
.LBB92_38:
	s_or_b32 exec_lo, exec_lo, s1
	v_bfi_b32 v0, 0x7fffffff, v3, v0
	v_mul_f32_e32 v2, 0.5, v2
	v_add_f32_e32 v0, 1.0, v0
	v_mul_f32_e32 v0, v2, v0
	v_mul_f32_e32 v1, v1, v0
.LBB92_39:
	v_mov_b32_e32 v0, v1
.LBB92_40:
	v_mov_b32_e32 v1, v0
.LBB92_41:
	s_load_dwordx2 s[2:3], s[4:5], 0x38
	s_mul_i32 s0, s30, s0
	s_mul_i32 s4, s18, s8
	s_ashr_i32 s1, s0, 31
	v_mov_b32_e32 v0, 0
	s_lshl_b64 s[0:1], s[0:1], 2
	s_waitcnt lgkmcnt(0)
	s_add_u32 s2, s2, s0
	s_addc_u32 s3, s3, s1
	s_ashr_i32 s5, s4, 31
	s_lshl_b64 s[0:1], s[4:5], 2
	s_add_u32 s2, s2, s0
	s_addc_u32 s3, s3, s1
	s_ashr_i32 s7, s6, 31
	s_lshl_b64 s[0:1], s[6:7], 2
	s_add_u32 s0, s2, s0
	s_addc_u32 s1, s3, s1
	global_store_dword v0, v1, s[0:1]
.LBB92_42:
	s_endpgm
	.section	.rodata,"a",@progbits
	.p2align	6, 0x0
	.amdhsa_kernel _ZL13mul_mat_vec_fI6__halfS0_Li1ELi96ELb1ELb1EEvPKT_PKfPKi31ggml_cuda_mm_fusion_args_devicePfi15HIP_vector_typeIjLj3EEiiiSB_iiiSB_iiii
		.amdhsa_group_segment_fixed_size 0
		.amdhsa_private_segment_fixed_size 0
		.amdhsa_kernarg_size 144
		.amdhsa_user_sgpr_count 6
		.amdhsa_user_sgpr_private_segment_buffer 1
		.amdhsa_user_sgpr_dispatch_ptr 0
		.amdhsa_user_sgpr_queue_ptr 0
		.amdhsa_user_sgpr_kernarg_segment_ptr 1
		.amdhsa_user_sgpr_dispatch_id 0
		.amdhsa_user_sgpr_flat_scratch_init 0
		.amdhsa_user_sgpr_private_segment_size 0
		.amdhsa_wavefront_size32 1
		.amdhsa_uses_dynamic_stack 0
		.amdhsa_system_sgpr_private_segment_wavefront_offset 0
		.amdhsa_system_sgpr_workgroup_id_x 1
		.amdhsa_system_sgpr_workgroup_id_y 1
		.amdhsa_system_sgpr_workgroup_id_z 1
		.amdhsa_system_sgpr_workgroup_info 0
		.amdhsa_system_vgpr_workitem_id 0
		.amdhsa_next_free_vgpr 15
		.amdhsa_next_free_sgpr 40
		.amdhsa_reserve_vcc 1
		.amdhsa_reserve_flat_scratch 0
		.amdhsa_float_round_mode_32 0
		.amdhsa_float_round_mode_16_64 0
		.amdhsa_float_denorm_mode_32 3
		.amdhsa_float_denorm_mode_16_64 3
		.amdhsa_dx10_clamp 1
		.amdhsa_ieee_mode 1
		.amdhsa_fp16_overflow 0
		.amdhsa_workgroup_processor_mode 1
		.amdhsa_memory_ordered 1
		.amdhsa_forward_progress 1
		.amdhsa_shared_vgpr_count 0
		.amdhsa_exception_fp_ieee_invalid_op 0
		.amdhsa_exception_fp_denorm_src 0
		.amdhsa_exception_fp_ieee_div_zero 0
		.amdhsa_exception_fp_ieee_overflow 0
		.amdhsa_exception_fp_ieee_underflow 0
		.amdhsa_exception_fp_ieee_inexact 0
		.amdhsa_exception_int_div_zero 0
	.end_amdhsa_kernel
	.section	.text._ZL13mul_mat_vec_fI6__halfS0_Li1ELi96ELb1ELb1EEvPKT_PKfPKi31ggml_cuda_mm_fusion_args_devicePfi15HIP_vector_typeIjLj3EEiiiSB_iiiSB_iiii,"axG",@progbits,_ZL13mul_mat_vec_fI6__halfS0_Li1ELi96ELb1ELb1EEvPKT_PKfPKi31ggml_cuda_mm_fusion_args_devicePfi15HIP_vector_typeIjLj3EEiiiSB_iiiSB_iiii,comdat
.Lfunc_end92:
	.size	_ZL13mul_mat_vec_fI6__halfS0_Li1ELi96ELb1ELb1EEvPKT_PKfPKi31ggml_cuda_mm_fusion_args_devicePfi15HIP_vector_typeIjLj3EEiiiSB_iiiSB_iiii, .Lfunc_end92-_ZL13mul_mat_vec_fI6__halfS0_Li1ELi96ELb1ELb1EEvPKT_PKfPKi31ggml_cuda_mm_fusion_args_devicePfi15HIP_vector_typeIjLj3EEiiiSB_iiiSB_iiii
                                        ; -- End function
	.set _ZL13mul_mat_vec_fI6__halfS0_Li1ELi96ELb1ELb1EEvPKT_PKfPKi31ggml_cuda_mm_fusion_args_devicePfi15HIP_vector_typeIjLj3EEiiiSB_iiiSB_iiii.num_vgpr, 15
	.set _ZL13mul_mat_vec_fI6__halfS0_Li1ELi96ELb1ELb1EEvPKT_PKfPKi31ggml_cuda_mm_fusion_args_devicePfi15HIP_vector_typeIjLj3EEiiiSB_iiiSB_iiii.num_agpr, 0
	.set _ZL13mul_mat_vec_fI6__halfS0_Li1ELi96ELb1ELb1EEvPKT_PKfPKi31ggml_cuda_mm_fusion_args_devicePfi15HIP_vector_typeIjLj3EEiiiSB_iiiSB_iiii.numbered_sgpr, 40
	.set _ZL13mul_mat_vec_fI6__halfS0_Li1ELi96ELb1ELb1EEvPKT_PKfPKi31ggml_cuda_mm_fusion_args_devicePfi15HIP_vector_typeIjLj3EEiiiSB_iiiSB_iiii.num_named_barrier, 0
	.set _ZL13mul_mat_vec_fI6__halfS0_Li1ELi96ELb1ELb1EEvPKT_PKfPKi31ggml_cuda_mm_fusion_args_devicePfi15HIP_vector_typeIjLj3EEiiiSB_iiiSB_iiii.private_seg_size, 0
	.set _ZL13mul_mat_vec_fI6__halfS0_Li1ELi96ELb1ELb1EEvPKT_PKfPKi31ggml_cuda_mm_fusion_args_devicePfi15HIP_vector_typeIjLj3EEiiiSB_iiiSB_iiii.uses_vcc, 1
	.set _ZL13mul_mat_vec_fI6__halfS0_Li1ELi96ELb1ELb1EEvPKT_PKfPKi31ggml_cuda_mm_fusion_args_devicePfi15HIP_vector_typeIjLj3EEiiiSB_iiiSB_iiii.uses_flat_scratch, 0
	.set _ZL13mul_mat_vec_fI6__halfS0_Li1ELi96ELb1ELb1EEvPKT_PKfPKi31ggml_cuda_mm_fusion_args_devicePfi15HIP_vector_typeIjLj3EEiiiSB_iiiSB_iiii.has_dyn_sized_stack, 0
	.set _ZL13mul_mat_vec_fI6__halfS0_Li1ELi96ELb1ELb1EEvPKT_PKfPKi31ggml_cuda_mm_fusion_args_devicePfi15HIP_vector_typeIjLj3EEiiiSB_iiiSB_iiii.has_recursion, 0
	.set _ZL13mul_mat_vec_fI6__halfS0_Li1ELi96ELb1ELb1EEvPKT_PKfPKi31ggml_cuda_mm_fusion_args_devicePfi15HIP_vector_typeIjLj3EEiiiSB_iiiSB_iiii.has_indirect_call, 0
	.section	.AMDGPU.csdata,"",@progbits
; Kernel info:
; codeLenInByte = 2172
; TotalNumSgprs: 42
; NumVgprs: 15
; ScratchSize: 0
; MemoryBound: 0
; FloatMode: 240
; IeeeMode: 1
; LDSByteSize: 0 bytes/workgroup (compile time only)
; SGPRBlocks: 0
; VGPRBlocks: 1
; NumSGPRsForWavesPerEU: 42
; NumVGPRsForWavesPerEU: 15
; Occupancy: 16
; WaveLimiterHint : 1
; COMPUTE_PGM_RSRC2:SCRATCH_EN: 0
; COMPUTE_PGM_RSRC2:USER_SGPR: 6
; COMPUTE_PGM_RSRC2:TRAP_HANDLER: 0
; COMPUTE_PGM_RSRC2:TGID_X_EN: 1
; COMPUTE_PGM_RSRC2:TGID_Y_EN: 1
; COMPUTE_PGM_RSRC2:TGID_Z_EN: 1
; COMPUTE_PGM_RSRC2:TIDIG_COMP_CNT: 0
	.section	.text._ZL13mul_mat_vec_fI6__halfS0_Li1ELi96ELb0ELb1EEvPKT_PKfPKi31ggml_cuda_mm_fusion_args_devicePfi15HIP_vector_typeIjLj3EEiiiSB_iiiSB_iiii,"axG",@progbits,_ZL13mul_mat_vec_fI6__halfS0_Li1ELi96ELb0ELb1EEvPKT_PKfPKi31ggml_cuda_mm_fusion_args_devicePfi15HIP_vector_typeIjLj3EEiiiSB_iiiSB_iiii,comdat
	.globl	_ZL13mul_mat_vec_fI6__halfS0_Li1ELi96ELb0ELb1EEvPKT_PKfPKi31ggml_cuda_mm_fusion_args_devicePfi15HIP_vector_typeIjLj3EEiiiSB_iiiSB_iiii ; -- Begin function _ZL13mul_mat_vec_fI6__halfS0_Li1ELi96ELb0ELb1EEvPKT_PKfPKi31ggml_cuda_mm_fusion_args_devicePfi15HIP_vector_typeIjLj3EEiiiSB_iiiSB_iiii
	.p2align	8
	.type	_ZL13mul_mat_vec_fI6__halfS0_Li1ELi96ELb0ELb1EEvPKT_PKfPKi31ggml_cuda_mm_fusion_args_devicePfi15HIP_vector_typeIjLj3EEiiiSB_iiiSB_iiii,@function
_ZL13mul_mat_vec_fI6__halfS0_Li1ELi96ELb0ELb1EEvPKT_PKfPKi31ggml_cuda_mm_fusion_args_devicePfi15HIP_vector_typeIjLj3EEiiiSB_iiiSB_iiii: ; @_ZL13mul_mat_vec_fI6__halfS0_Li1ELi96ELb0ELb1EEvPKT_PKfPKi31ggml_cuda_mm_fusion_args_devicePfi15HIP_vector_typeIjLj3EEiiiSB_iiiSB_iiii
; %bb.0:
	s_clause 0x2
	s_load_dword s2, s[4:5], 0x8c
	s_load_dwordx2 s[0:1], s[4:5], 0x10
	s_load_dwordx8 s[12:19], s[4:5], 0x40
	v_cmp_gt_u32_e32 vcc_lo, 32, v0
	v_lshl_add_u32 v5, v0, 2, 0
	s_waitcnt lgkmcnt(0)
	s_mul_i32 s2, s2, s8
	s_add_i32 s2, s2, s7
	s_ashr_i32 s3, s2, 31
	s_lshl_b64 s[2:3], s[2:3], 2
	s_add_u32 s2, s0, s2
	s_addc_u32 s3, s1, s3
	s_and_saveexec_b32 s0, vcc_lo
; %bb.1:
	v_mov_b32_e32 v1, 0
	ds_write_b32 v5, v1
; %bb.2:
	s_or_b32 exec_lo, exec_lo, s0
	s_load_dwordx4 s[20:23], s[4:5], 0x68
	v_mov_b32_e32 v1, 0
	v_mov_b32_e32 v2, 0
	s_mov_b32 s9, exec_lo
	s_waitcnt lgkmcnt(0)
	s_barrier
	buffer_gl0_inv
	v_cmpx_gt_i32_e64 s12, v0
	s_cbranch_execz .LBB93_6
; %bb.3:
	s_load_dword s19, s[2:3], 0x0
	s_load_dwordx4 s[24:27], s[4:5], 0x0
	s_mul_hi_u32 s1, s13, s7
	s_mul_i32 s2, s8, s17
	s_add_i32 s1, s7, s1
	s_lshl_b32 s2, s2, 1
	s_lshr_b32 s3, s1, s14
	s_mul_i32 s0, s16, s6
	s_mul_i32 s3, s3, s15
	v_lshlrev_b32_e32 v1, 3, v0
	s_sub_i32 s10, s7, s3
	s_ashr_i32 s3, s2, 31
	s_mul_i32 s10, s10, s21
	s_ashr_i32 s1, s0, 31
	s_ashr_i32 s11, s10, 31
	s_lshl_b64 s[2:3], s[2:3], 2
	s_lshl_b64 s[10:11], s[10:11], 2
	v_lshlrev_b32_e32 v3, 2, v0
	v_mov_b32_e32 v6, 0
	v_mov_b32_e32 v7, v0
	s_waitcnt lgkmcnt(0)
	s_mul_i32 s14, s19, s20
	s_ashr_i32 s15, s14, 31
	s_add_u32 s10, s26, s10
	s_addc_u32 s11, s27, s11
	s_add_u32 s10, s10, s2
	s_addc_u32 s11, s11, s3
	s_lshl_b64 s[2:3], s[0:1], 1
	v_add_co_u32 v1, s0, s10, v1
	v_add_co_ci_u32_e64 v2, null, s11, 0, s0
	s_lshl_b64 s[10:11], s[14:15], 1
	v_add_co_u32 v1, s0, v1, 4
	v_add_co_ci_u32_e64 v2, null, 0, v2, s0
	s_add_u32 s0, s24, s10
	s_addc_u32 s1, s25, s11
	s_add_u32 s0, s0, s2
	s_addc_u32 s1, s1, s3
	v_add_co_u32 v3, s0, s0, v3
	v_add_co_ci_u32_e64 v4, null, s1, 0, s0
	s_mov_b32 s2, 0
	.p2align	6
.LBB93_4:                               ; =>This Inner Loop Header: Depth=1
	global_load_dwordx2 v[8:9], v[1:2], off offset:-4
	global_load_dword v10, v[3:4], off
	v_add_nc_u32_e32 v7, 0x60, v7
	v_add_co_u32 v1, s0, 0x300, v1
	v_add_co_ci_u32_e64 v2, null, 0, v2, s0
	v_add_co_u32 v3, s0, 0x180, v3
	v_cmp_le_i32_e64 s1, s12, v7
	v_add_co_ci_u32_e64 v4, null, 0, v4, s0
	s_or_b32 s2, s1, s2
	s_waitcnt vmcnt(1)
	v_cvt_f16_f32_e32 v8, v8
	v_cvt_f16_f32_e32 v9, v9
	v_pack_b32_f16 v8, v8, v9
	s_waitcnt vmcnt(0)
	v_pk_fma_f16 v6, v10, v8, v6
	s_andn2_b32 exec_lo, exec_lo, s2
	s_cbranch_execnz .LBB93_4
; %bb.5:
	s_or_b32 exec_lo, exec_lo, s2
	v_cvt_f32_f16_sdwa v1, v6 dst_sel:DWORD dst_unused:UNUSED_PAD src0_sel:WORD_1
	v_cvt_f32_f16_e32 v2, v6
.LBB93_6:
	s_or_b32 exec_lo, exec_lo, s9
	v_mbcnt_lo_u32_b32 v7, -1, 0
	v_add_f32_e32 v2, v2, v1
	v_xor_b32_e32 v3, 16, v7
	v_xor_b32_e32 v9, 1, v7
	v_cmp_gt_i32_e64 s0, 32, v3
	v_cndmask_b32_e64 v3, v7, v3, s0
	v_lshlrev_b32_e32 v1, 2, v3
	v_xor_b32_e32 v3, 8, v7
	ds_bpermute_b32 v4, v1, v2
	v_cmp_gt_i32_e64 s0, 32, v3
	v_cndmask_b32_e64 v3, v7, v3, s0
	v_lshlrev_b32_e32 v3, 2, v3
	s_waitcnt lgkmcnt(0)
	v_add_f32_e32 v2, v2, v4
	v_xor_b32_e32 v4, 4, v7
	ds_bpermute_b32 v6, v3, v2
	v_cmp_gt_i32_e64 s0, 32, v4
	v_cndmask_b32_e64 v4, v7, v4, s0
	v_lshlrev_b32_e32 v4, 2, v4
	s_waitcnt lgkmcnt(0)
	v_add_f32_e32 v2, v2, v6
	v_xor_b32_e32 v6, 2, v7
	ds_bpermute_b32 v8, v4, v2
	v_cmp_gt_i32_e64 s0, 32, v6
	v_cndmask_b32_e64 v6, v7, v6, s0
	v_cmp_gt_i32_e64 s0, 32, v9
	v_lshlrev_b32_e32 v6, 2, v6
	v_cndmask_b32_e64 v7, v7, v9, s0
	v_lshrrev_b32_e32 v9, 3, v0
	v_lshlrev_b32_e32 v7, 2, v7
	v_and_b32_e32 v9, 0x7c, v9
	s_waitcnt lgkmcnt(0)
	v_add_f32_e32 v2, v2, v8
	v_add_nc_u32_e32 v9, 0, v9
	ds_bpermute_b32 v8, v6, v2
	s_waitcnt lgkmcnt(0)
	v_add_f32_e32 v2, v2, v8
	ds_bpermute_b32 v8, v7, v2
	s_waitcnt lgkmcnt(0)
	v_add_f32_e32 v2, v2, v8
	ds_write_b32 v9, v2
	s_waitcnt lgkmcnt(0)
	s_barrier
	buffer_gl0_inv
	s_and_saveexec_b32 s0, vcc_lo
	s_cbranch_execz .LBB93_8
; %bb.7:
	ds_read_b32 v2, v5
	s_waitcnt lgkmcnt(0)
	ds_bpermute_b32 v1, v1, v2
	s_waitcnt lgkmcnt(0)
	v_add_f32_e32 v1, v2, v1
	ds_bpermute_b32 v2, v3, v1
	s_waitcnt lgkmcnt(0)
	v_add_f32_e32 v1, v1, v2
	;; [unrolled: 3-line block ×5, first 2 shown]
.LBB93_8:
	s_or_b32 exec_lo, exec_lo, s0
	s_barrier
	buffer_gl0_inv
	s_mov_b32 s0, exec_lo
	v_cmpx_eq_u32_e32 0, v0
	s_cbranch_execz .LBB93_10
; %bb.9:
	s_load_dwordx2 s[0:1], s[4:5], 0x38
	s_mul_i32 s2, s22, s7
	s_mul_i32 s4, s18, s8
	s_ashr_i32 s3, s2, 31
	v_mov_b32_e32 v0, 0
	s_lshl_b64 s[2:3], s[2:3], 2
	s_waitcnt lgkmcnt(0)
	s_add_u32 s2, s0, s2
	s_addc_u32 s3, s1, s3
	s_ashr_i32 s5, s4, 31
	s_lshl_b64 s[0:1], s[4:5], 2
	s_add_u32 s2, s2, s0
	s_addc_u32 s3, s3, s1
	s_ashr_i32 s7, s6, 31
	s_lshl_b64 s[0:1], s[6:7], 2
	s_add_u32 s0, s2, s0
	s_addc_u32 s1, s3, s1
	global_store_dword v0, v2, s[0:1]
.LBB93_10:
	s_endpgm
	.section	.rodata,"a",@progbits
	.p2align	6, 0x0
	.amdhsa_kernel _ZL13mul_mat_vec_fI6__halfS0_Li1ELi96ELb0ELb1EEvPKT_PKfPKi31ggml_cuda_mm_fusion_args_devicePfi15HIP_vector_typeIjLj3EEiiiSB_iiiSB_iiii
		.amdhsa_group_segment_fixed_size 0
		.amdhsa_private_segment_fixed_size 0
		.amdhsa_kernarg_size 144
		.amdhsa_user_sgpr_count 6
		.amdhsa_user_sgpr_private_segment_buffer 1
		.amdhsa_user_sgpr_dispatch_ptr 0
		.amdhsa_user_sgpr_queue_ptr 0
		.amdhsa_user_sgpr_kernarg_segment_ptr 1
		.amdhsa_user_sgpr_dispatch_id 0
		.amdhsa_user_sgpr_flat_scratch_init 0
		.amdhsa_user_sgpr_private_segment_size 0
		.amdhsa_wavefront_size32 1
		.amdhsa_uses_dynamic_stack 0
		.amdhsa_system_sgpr_private_segment_wavefront_offset 0
		.amdhsa_system_sgpr_workgroup_id_x 1
		.amdhsa_system_sgpr_workgroup_id_y 1
		.amdhsa_system_sgpr_workgroup_id_z 1
		.amdhsa_system_sgpr_workgroup_info 0
		.amdhsa_system_vgpr_workitem_id 0
		.amdhsa_next_free_vgpr 11
		.amdhsa_next_free_sgpr 28
		.amdhsa_reserve_vcc 1
		.amdhsa_reserve_flat_scratch 0
		.amdhsa_float_round_mode_32 0
		.amdhsa_float_round_mode_16_64 0
		.amdhsa_float_denorm_mode_32 3
		.amdhsa_float_denorm_mode_16_64 3
		.amdhsa_dx10_clamp 1
		.amdhsa_ieee_mode 1
		.amdhsa_fp16_overflow 0
		.amdhsa_workgroup_processor_mode 1
		.amdhsa_memory_ordered 1
		.amdhsa_forward_progress 1
		.amdhsa_shared_vgpr_count 0
		.amdhsa_exception_fp_ieee_invalid_op 0
		.amdhsa_exception_fp_denorm_src 0
		.amdhsa_exception_fp_ieee_div_zero 0
		.amdhsa_exception_fp_ieee_overflow 0
		.amdhsa_exception_fp_ieee_underflow 0
		.amdhsa_exception_fp_ieee_inexact 0
		.amdhsa_exception_int_div_zero 0
	.end_amdhsa_kernel
	.section	.text._ZL13mul_mat_vec_fI6__halfS0_Li1ELi96ELb0ELb1EEvPKT_PKfPKi31ggml_cuda_mm_fusion_args_devicePfi15HIP_vector_typeIjLj3EEiiiSB_iiiSB_iiii,"axG",@progbits,_ZL13mul_mat_vec_fI6__halfS0_Li1ELi96ELb0ELb1EEvPKT_PKfPKi31ggml_cuda_mm_fusion_args_devicePfi15HIP_vector_typeIjLj3EEiiiSB_iiiSB_iiii,comdat
.Lfunc_end93:
	.size	_ZL13mul_mat_vec_fI6__halfS0_Li1ELi96ELb0ELb1EEvPKT_PKfPKi31ggml_cuda_mm_fusion_args_devicePfi15HIP_vector_typeIjLj3EEiiiSB_iiiSB_iiii, .Lfunc_end93-_ZL13mul_mat_vec_fI6__halfS0_Li1ELi96ELb0ELb1EEvPKT_PKfPKi31ggml_cuda_mm_fusion_args_devicePfi15HIP_vector_typeIjLj3EEiiiSB_iiiSB_iiii
                                        ; -- End function
	.set _ZL13mul_mat_vec_fI6__halfS0_Li1ELi96ELb0ELb1EEvPKT_PKfPKi31ggml_cuda_mm_fusion_args_devicePfi15HIP_vector_typeIjLj3EEiiiSB_iiiSB_iiii.num_vgpr, 11
	.set _ZL13mul_mat_vec_fI6__halfS0_Li1ELi96ELb0ELb1EEvPKT_PKfPKi31ggml_cuda_mm_fusion_args_devicePfi15HIP_vector_typeIjLj3EEiiiSB_iiiSB_iiii.num_agpr, 0
	.set _ZL13mul_mat_vec_fI6__halfS0_Li1ELi96ELb0ELb1EEvPKT_PKfPKi31ggml_cuda_mm_fusion_args_devicePfi15HIP_vector_typeIjLj3EEiiiSB_iiiSB_iiii.numbered_sgpr, 28
	.set _ZL13mul_mat_vec_fI6__halfS0_Li1ELi96ELb0ELb1EEvPKT_PKfPKi31ggml_cuda_mm_fusion_args_devicePfi15HIP_vector_typeIjLj3EEiiiSB_iiiSB_iiii.num_named_barrier, 0
	.set _ZL13mul_mat_vec_fI6__halfS0_Li1ELi96ELb0ELb1EEvPKT_PKfPKi31ggml_cuda_mm_fusion_args_devicePfi15HIP_vector_typeIjLj3EEiiiSB_iiiSB_iiii.private_seg_size, 0
	.set _ZL13mul_mat_vec_fI6__halfS0_Li1ELi96ELb0ELb1EEvPKT_PKfPKi31ggml_cuda_mm_fusion_args_devicePfi15HIP_vector_typeIjLj3EEiiiSB_iiiSB_iiii.uses_vcc, 1
	.set _ZL13mul_mat_vec_fI6__halfS0_Li1ELi96ELb0ELb1EEvPKT_PKfPKi31ggml_cuda_mm_fusion_args_devicePfi15HIP_vector_typeIjLj3EEiiiSB_iiiSB_iiii.uses_flat_scratch, 0
	.set _ZL13mul_mat_vec_fI6__halfS0_Li1ELi96ELb0ELb1EEvPKT_PKfPKi31ggml_cuda_mm_fusion_args_devicePfi15HIP_vector_typeIjLj3EEiiiSB_iiiSB_iiii.has_dyn_sized_stack, 0
	.set _ZL13mul_mat_vec_fI6__halfS0_Li1ELi96ELb0ELb1EEvPKT_PKfPKi31ggml_cuda_mm_fusion_args_devicePfi15HIP_vector_typeIjLj3EEiiiSB_iiiSB_iiii.has_recursion, 0
	.set _ZL13mul_mat_vec_fI6__halfS0_Li1ELi96ELb0ELb1EEvPKT_PKfPKi31ggml_cuda_mm_fusion_args_devicePfi15HIP_vector_typeIjLj3EEiiiSB_iiiSB_iiii.has_indirect_call, 0
	.section	.AMDGPU.csdata,"",@progbits
; Kernel info:
; codeLenInByte = 984
; TotalNumSgprs: 30
; NumVgprs: 11
; ScratchSize: 0
; MemoryBound: 0
; FloatMode: 240
; IeeeMode: 1
; LDSByteSize: 0 bytes/workgroup (compile time only)
; SGPRBlocks: 0
; VGPRBlocks: 1
; NumSGPRsForWavesPerEU: 30
; NumVGPRsForWavesPerEU: 11
; Occupancy: 16
; WaveLimiterHint : 1
; COMPUTE_PGM_RSRC2:SCRATCH_EN: 0
; COMPUTE_PGM_RSRC2:USER_SGPR: 6
; COMPUTE_PGM_RSRC2:TRAP_HANDLER: 0
; COMPUTE_PGM_RSRC2:TGID_X_EN: 1
; COMPUTE_PGM_RSRC2:TGID_Y_EN: 1
; COMPUTE_PGM_RSRC2:TGID_Z_EN: 1
; COMPUTE_PGM_RSRC2:TIDIG_COMP_CNT: 0
	.section	.text._ZL13mul_mat_vec_fI6__halfS0_Li1ELi128ELb1ELb1EEvPKT_PKfPKi31ggml_cuda_mm_fusion_args_devicePfi15HIP_vector_typeIjLj3EEiiiSB_iiiSB_iiii,"axG",@progbits,_ZL13mul_mat_vec_fI6__halfS0_Li1ELi128ELb1ELb1EEvPKT_PKfPKi31ggml_cuda_mm_fusion_args_devicePfi15HIP_vector_typeIjLj3EEiiiSB_iiiSB_iiii,comdat
	.globl	_ZL13mul_mat_vec_fI6__halfS0_Li1ELi128ELb1ELb1EEvPKT_PKfPKi31ggml_cuda_mm_fusion_args_devicePfi15HIP_vector_typeIjLj3EEiiiSB_iiiSB_iiii ; -- Begin function _ZL13mul_mat_vec_fI6__halfS0_Li1ELi128ELb1ELb1EEvPKT_PKfPKi31ggml_cuda_mm_fusion_args_devicePfi15HIP_vector_typeIjLj3EEiiiSB_iiiSB_iiii
	.p2align	8
	.type	_ZL13mul_mat_vec_fI6__halfS0_Li1ELi128ELb1ELb1EEvPKT_PKfPKi31ggml_cuda_mm_fusion_args_devicePfi15HIP_vector_typeIjLj3EEiiiSB_iiiSB_iiii,@function
_ZL13mul_mat_vec_fI6__halfS0_Li1ELi128ELb1ELb1EEvPKT_PKfPKi31ggml_cuda_mm_fusion_args_devicePfi15HIP_vector_typeIjLj3EEiiiSB_iiiSB_iiii: ; @_ZL13mul_mat_vec_fI6__halfS0_Li1ELi128ELb1ELb1EEvPKT_PKfPKi31ggml_cuda_mm_fusion_args_devicePfi15HIP_vector_typeIjLj3EEiiiSB_iiiSB_iiii
; %bb.0:
	s_clause 0x3
	s_load_dword s1, s[4:5], 0x8c
	s_load_dwordx8 s[20:27], s[4:5], 0x0
	s_load_dwordx4 s[36:39], s[4:5], 0x20
	s_load_dwordx8 s[12:19], s[4:5], 0x40
	v_lshl_add_u32 v7, v0, 2, 0
	s_mov_b32 s0, s7
	s_waitcnt lgkmcnt(0)
	s_mul_i32 s1, s1, s8
	s_add_i32 s2, s1, s7
	s_ashr_i32 s3, s2, 31
	s_lshl_b64 s[2:3], s[2:3], 2
	s_add_u32 s10, s24, s2
	s_addc_u32 s11, s25, s3
	s_cmp_lg_u64 s[36:37], 0
	v_cmp_gt_u32_e64 s2, 32, v0
	s_cselect_b32 s1, -1, 0
	s_cmp_eq_u64 s[36:37], 0
	s_cselect_b32 s19, -1, 0
	s_and_saveexec_b32 s3, s2
	s_cbranch_execz .LBB94_3
; %bb.1:
	v_mov_b32_e32 v1, 0
	s_andn2_b32 vcc_lo, exec_lo, s1
	ds_write_b32 v7, v1
	s_cbranch_vccnz .LBB94_3
; %bb.2:
	ds_write_b32 v7, v1 offset:128
.LBB94_3:
	s_or_b32 exec_lo, exec_lo, s3
	s_load_dword s7, s[10:11], 0x0
	s_load_dwordx4 s[28:31], s[4:5], 0x68
	v_mov_b32_e32 v8, 0
	v_mov_b32_e32 v4, 0
	;; [unrolled: 1-line block ×3, first 2 shown]
	s_mov_b32 s10, 0
	s_mov_b32 s9, exec_lo
	s_waitcnt lgkmcnt(0)
	s_barrier
	buffer_gl0_inv
	v_cmpx_gt_i32_e64 s12, v0
	s_cbranch_execz .LBB94_10
; %bb.4:
	s_mul_hi_u32 s3, s13, s0
	s_mul_i32 s11, s7, s28
	s_add_i32 s3, s0, s3
	s_mul_i32 s13, s16, s6
	s_lshr_b32 s3, s3, s14
	s_ashr_i32 s16, s11, 31
	s_mul_i32 s3, s3, s15
	s_ashr_i32 s15, s13, 31
	s_sub_i32 s3, s0, s3
	s_add_u32 s14, s11, s13
	s_mul_i32 s11, s8, s17
	s_addc_u32 s15, s16, s15
	s_mul_i32 s16, s3, s29
	s_lshl_b32 s28, s11, 1
	s_ashr_i32 s17, s16, 31
	s_ashr_i32 s29, s28, 31
	s_and_b32 s3, s1, exec_lo
	s_cselect_b32 s35, s15, 0
	s_cselect_b32 s34, s14, 0
	v_lshlrev_b32_e32 v5, 2, v0
	s_cselect_b32 s3, s37, 0
	s_cselect_b32 s11, s36, 0
	s_lshl_b64 s[34:35], s[34:35], 1
	v_lshlrev_b32_e32 v3, 3, v0
	s_add_u32 s11, s11, s34
	s_addc_u32 s3, s3, s35
	v_add_co_u32 v1, s11, s11, v5
	s_lshl_b64 s[16:17], s[16:17], 2
	s_lshl_b64 s[28:29], s[28:29], 2
	v_add_co_ci_u32_e64 v2, null, s3, 0, s11
	s_add_u32 s3, s22, s16
	s_addc_u32 s11, s23, s17
	s_add_u32 s3, s3, s28
	s_addc_u32 s11, s11, s29
	v_add_co_u32 v3, s3, s3, v3
	s_lshl_b64 s[14:15], s[14:15], 1
	v_add_co_ci_u32_e64 v4, null, s11, 0, s3
	s_add_u32 s3, s20, s14
	v_add_co_u32 v3, vcc_lo, v3, 4
	s_addc_u32 s11, s21, s15
	v_add_co_u32 v5, s3, s3, v5
	v_add_co_ci_u32_e64 v4, null, 0, v4, vcc_lo
	v_add_co_ci_u32_e64 v6, null, s11, 0, s3
	v_mov_b32_e32 v8, 0
	v_mov_b32_e32 v10, v0
	v_mov_b32_e32 v9, 0
	s_inst_prefetch 0x1
	s_branch .LBB94_7
	.p2align	6
.LBB94_5:                               ;   in Loop: Header=BB94_7 Depth=1
	global_load_dword v12, v[1:2], off
.LBB94_6:                               ;   in Loop: Header=BB94_7 Depth=1
	global_load_dwordx2 v[13:14], v[3:4], off offset:-4
	v_add_nc_u32_e32 v10, 0x80, v10
	v_add_co_u32 v1, vcc_lo, 0x200, v1
	v_add_co_ci_u32_e64 v2, null, 0, v2, vcc_lo
	v_add_co_u32 v3, vcc_lo, 0x400, v3
	v_add_co_ci_u32_e64 v4, null, 0, v4, vcc_lo
	v_cmp_le_i32_e32 vcc_lo, s12, v10
	v_add_co_u32 v5, s3, 0x200, v5
	v_add_co_ci_u32_e64 v6, null, 0, v6, s3
	s_or_b32 s10, vcc_lo, s10
	s_waitcnt vmcnt(0)
	v_cvt_f16_f32_e32 v13, v13
	v_cvt_f16_f32_e32 v14, v14
	v_pack_b32_f16 v13, v13, v14
	v_pk_fma_f16 v12, v12, v13, v9
	v_pk_fma_f16 v8, v11, v13, v8
	v_cndmask_b32_e64 v9, v9, v12, s1
	s_andn2_b32 exec_lo, exec_lo, s10
	s_cbranch_execz .LBB94_9
.LBB94_7:                               ; =>This Inner Loop Header: Depth=1
	global_load_dword v11, v[5:6], off
	s_andn2_b32 vcc_lo, exec_lo, s1
	s_cbranch_vccz .LBB94_5
; %bb.8:                                ;   in Loop: Header=BB94_7 Depth=1
	v_mov_b32_e32 v12, 0
	s_branch .LBB94_6
.LBB94_9:
	s_inst_prefetch 0x2
	s_or_b32 exec_lo, exec_lo, s10
	v_cvt_f32_f16_sdwa v4, v9 dst_sel:DWORD dst_unused:UNUSED_PAD src0_sel:WORD_1
	v_cvt_f32_f16_e32 v5, v9
.LBB94_10:
	s_or_b32 exec_lo, exec_lo, s9
	v_mbcnt_lo_u32_b32 v1, -1, 0
	v_cvt_f32_f16_e32 v3, v8
	v_cvt_f32_f16_sdwa v6, v8 dst_sel:DWORD dst_unused:UNUSED_PAD src0_sel:WORD_1
	s_load_dword s9, s[4:5], 0x30
	s_mov_b32 s3, -1
	v_xor_b32_e32 v2, 16, v1
	v_add_f32_e32 v8, v3, v6
	v_xor_b32_e32 v6, 8, v1
	v_cmp_gt_i32_e32 vcc_lo, 32, v2
	v_cndmask_b32_e32 v2, v1, v2, vcc_lo
	v_cmp_gt_i32_e32 vcc_lo, 32, v6
	v_lshlrev_b32_e32 v3, 2, v2
	v_cndmask_b32_e32 v6, v1, v6, vcc_lo
	ds_bpermute_b32 v2, v3, v8
	v_lshlrev_b32_e32 v6, 2, v6
	s_waitcnt lgkmcnt(0)
	v_add_f32_e32 v2, v8, v2
	v_xor_b32_e32 v8, 4, v1
	ds_bpermute_b32 v9, v6, v2
	v_cmp_gt_i32_e32 vcc_lo, 32, v8
	v_cndmask_b32_e32 v8, v1, v8, vcc_lo
	v_lshlrev_b32_e32 v8, 2, v8
	s_waitcnt lgkmcnt(0)
	v_add_f32_e32 v2, v2, v9
	v_xor_b32_e32 v9, 2, v1
	ds_bpermute_b32 v10, v8, v2
	v_cmp_gt_i32_e32 vcc_lo, 32, v9
	v_cndmask_b32_e32 v9, v1, v9, vcc_lo
	;; [unrolled: 7-line block ×3, first 2 shown]
	s_and_b32 vcc_lo, exec_lo, s19
	v_lshlrev_b32_e32 v10, 2, v1
	s_waitcnt lgkmcnt(0)
	v_add_f32_e32 v1, v2, v11
	v_lshrrev_b32_e32 v11, 5, v0
	ds_bpermute_b32 v2, v10, v1
	v_lshl_add_u32 v11, v11, 2, 0
	s_waitcnt lgkmcnt(0)
	v_add_f32_e32 v1, v1, v2
	s_cbranch_vccz .LBB94_12
; %bb.11:
	s_mov_b32 s3, 0
	ds_write_b32 v11, v1
.LBB94_12:
	v_mov_b32_e32 v2, 0
	s_andn2_b32 vcc_lo, exec_lo, s3
	s_cbranch_vccnz .LBB94_14
; %bb.13:
	v_add_f32_e32 v2, v5, v4
	ds_bpermute_b32 v4, v3, v2
	s_waitcnt lgkmcnt(0)
	v_add_f32_e32 v2, v2, v4
	ds_bpermute_b32 v4, v6, v2
	s_waitcnt lgkmcnt(0)
	;; [unrolled: 3-line block ×5, first 2 shown]
	v_add_f32_e32 v2, v2, v4
	ds_write2_b32 v11, v1, v2 offset1:32
.LBB94_14:
	s_waitcnt lgkmcnt(0)
	s_barrier
	buffer_gl0_inv
	s_and_saveexec_b32 s3, s2
	s_cbranch_execz .LBB94_18
; %bb.15:
	ds_read_b32 v1, v7
	s_andn2_b32 vcc_lo, exec_lo, s1
	s_waitcnt lgkmcnt(0)
	ds_bpermute_b32 v4, v3, v1
	s_waitcnt lgkmcnt(0)
	v_add_f32_e32 v1, v1, v4
	ds_bpermute_b32 v4, v6, v1
	s_waitcnt lgkmcnt(0)
	v_add_f32_e32 v1, v1, v4
	;; [unrolled: 3-line block ×4, first 2 shown]
	ds_bpermute_b32 v4, v10, v1
	s_cbranch_vccnz .LBB94_17
; %bb.16:
	ds_read_b32 v2, v7 offset:128
	s_waitcnt lgkmcnt(0)
	ds_bpermute_b32 v3, v3, v2
	s_waitcnt lgkmcnt(0)
	v_add_f32_e32 v2, v2, v3
	ds_bpermute_b32 v3, v6, v2
	s_waitcnt lgkmcnt(0)
	v_add_f32_e32 v2, v2, v3
	;; [unrolled: 3-line block ×5, first 2 shown]
.LBB94_17:
	s_waitcnt lgkmcnt(0)
	v_add_f32_e32 v1, v1, v4
.LBB94_18:
	s_or_b32 exec_lo, exec_lo, s3
	s_barrier
	buffer_gl0_inv
	s_mov_b32 s2, exec_lo
	v_cmpx_eq_u32_e32 0, v0
	s_cbranch_execz .LBB94_42
; %bb.19:
	s_cmp_eq_u64 s[26:27], 0
	s_cselect_b32 s10, -1, 0
	s_cmp_eq_u64 s[24:25], 0
	s_cselect_b32 s2, s0, s7
	s_mul_i32 s2, s2, s30
	s_ashr_i32 s3, s2, 31
	s_and_b32 vcc_lo, exec_lo, s10
	s_cbranch_vccnz .LBB94_21
; %bb.20:
	s_cselect_b32 s7, 0, s27
	s_cselect_b32 s12, 0, s26
	s_lshl_b64 s[10:11], s[2:3], 2
	s_add_u32 s12, s12, s10
	s_addc_u32 s13, s7, s11
	s_ashr_i32 s7, s6, 31
	s_lshl_b64 s[10:11], s[6:7], 2
	s_add_u32 s10, s12, s10
	s_addc_u32 s11, s13, s11
	s_load_dword s7, s[10:11], 0x0
	s_waitcnt lgkmcnt(0)
	v_add_f32_e32 v1, s7, v1
.LBB94_21:
	s_andn2_b32 vcc_lo, exec_lo, s1
	s_cbranch_vccnz .LBB94_41
; %bb.22:
	s_cmp_lg_u64 s[38:39], 0
	s_cselect_b32 s7, -1, 0
	s_and_b32 s1, s7, s1
	s_andn2_b32 vcc_lo, exec_lo, s1
	s_cbranch_vccnz .LBB94_24
; %bb.23:
	s_and_b32 s7, s7, exec_lo
	s_cselect_b32 s7, s39, 0
	s_cselect_b32 s10, s38, 0
	s_and_b32 s1, s1, exec_lo
	s_cselect_b32 s3, s3, 0
	s_cselect_b32 s2, s2, 0
	s_lshl_b64 s[2:3], s[2:3], 2
	s_add_u32 s1, s10, s2
	s_addc_u32 s10, s7, s3
	s_ashr_i32 s7, s6, 31
	s_lshl_b64 s[2:3], s[6:7], 2
	s_add_u32 s2, s1, s2
	s_addc_u32 s3, s10, s3
	s_load_dword s1, s[2:3], 0x0
	s_waitcnt lgkmcnt(0)
	v_add_f32_e32 v2, s1, v2
.LBB94_24:
	s_cmp_lt_i32 s9, 2
	s_cbranch_scc1 .LBB94_29
; %bb.25:
	s_cmp_lt_i32 s9, 3
	s_cbranch_scc1 .LBB94_30
; %bb.26:
	v_mov_b32_e32 v0, v1
	s_cmp_eq_u32 s9, 3
	s_cbranch_scc0 .LBB94_28
; %bb.27:
	v_max_f32_e32 v0, v2, v2
	v_min_f32_e32 v0, 0x40e00000, v0
	v_mul_f32_e32 v3, 0xbfd9db23, v0
	v_mul_f32_e32 v4, 0x3fb8aa3b, v3
	v_cmp_ngt_f32_e32 vcc_lo, 0xc2ce8ed0, v3
	v_fma_f32 v5, 0x3fb8aa3b, v3, -v4
	v_rndne_f32_e32 v6, v4
	v_fmamk_f32 v5, v3, 0x32a5705f, v5
	v_sub_f32_e32 v4, v4, v6
	v_add_f32_e32 v4, v4, v5
	v_cvt_i32_f32_e32 v5, v6
	v_exp_f32_e32 v4, v4
	v_ldexp_f32 v4, v4, v5
	v_cndmask_b32_e32 v4, 0, v4, vcc_lo
	v_cmp_nlt_f32_e32 vcc_lo, 0x42b17218, v3
	v_cndmask_b32_e32 v3, 0x7f800000, v4, vcc_lo
	v_add_f32_e32 v3, 1.0, v3
	v_div_scale_f32 v4, null, v3, v3, v0
	v_div_scale_f32 v7, vcc_lo, v0, v3, v0
	v_rcp_f32_e32 v5, v4
	v_fma_f32 v6, -v4, v5, 1.0
	v_fmac_f32_e32 v5, v6, v5
	v_mul_f32_e32 v6, v7, v5
	v_fma_f32 v8, -v4, v6, v7
	v_fmac_f32_e32 v6, v8, v5
	v_max_f32_e32 v8, v1, v1
	v_fma_f32 v4, -v4, v6, v7
	v_min_f32_e32 v7, 0x40e00000, v8
	v_div_fmas_f32 v4, v4, v5, v6
	v_max_f32_e32 v5, 0xc0e00000, v7
	v_div_fixup_f32 v0, v4, v3, v0
	v_add_f32_e32 v3, 1.0, v5
	v_mul_f32_e32 v0, v3, v0
.LBB94_28:
	s_cbranch_execz .LBB94_31
	s_branch .LBB94_32
.LBB94_29:
                                        ; implicit-def: $vgpr0
	s_branch .LBB94_33
.LBB94_30:
                                        ; implicit-def: $vgpr0
.LBB94_31:
	v_mul_f32_e32 v0, 0xbfb8aa3b, v2
	v_cmp_nlt_f32_e32 vcc_lo, 0x42ce8ed0, v2
	v_rndne_f32_e32 v3, v0
	v_fma_f32 v4, 0xbfb8aa3b, v2, -v0
	v_sub_f32_e32 v0, v0, v3
	v_fmamk_f32 v4, v2, 0xb2a5705f, v4
	v_cvt_i32_f32_e32 v3, v3
	v_add_f32_e32 v0, v0, v4
	v_exp_f32_e32 v0, v0
	v_ldexp_f32 v0, v0, v3
	v_cndmask_b32_e32 v0, 0, v0, vcc_lo
	v_cmp_ngt_f32_e32 vcc_lo, 0xc2b17218, v2
	v_cndmask_b32_e32 v0, 0x7f800000, v0, vcc_lo
	v_add_f32_e32 v0, 1.0, v0
	v_div_scale_f32 v3, null, v0, v0, v2
	v_rcp_f32_e32 v4, v3
	v_fma_f32 v5, -v3, v4, 1.0
	v_fmac_f32_e32 v4, v5, v4
	v_div_scale_f32 v5, vcc_lo, v2, v0, v2
	v_mul_f32_e32 v6, v5, v4
	v_fma_f32 v7, -v3, v6, v5
	v_fmac_f32_e32 v6, v7, v4
	v_fma_f32 v3, -v3, v6, v5
	v_div_fmas_f32 v3, v3, v4, v6
	v_div_fixup_f32 v0, v3, v0, v2
	v_mul_f32_e32 v0, v1, v0
.LBB94_32:
	s_cbranch_execnz .LBB94_40
.LBB94_33:
	s_cmp_eq_u32 s9, 1
	s_cbranch_scc0 .LBB94_39
; %bb.34:
	v_mul_f32_e32 v0, 0x3d372713, v2
	v_mul_f32_e32 v3, 0x3f4c422a, v2
	v_fma_f32 v0, v2, v0, 1.0
	v_mul_f32_e32 v0, v3, v0
                                        ; implicit-def: $vgpr3
	v_cmp_ngt_f32_e64 s1, 0x3f200000, |v0|
	s_and_saveexec_b32 s2, s1
	s_xor_b32 s1, exec_lo, s2
	s_cbranch_execz .LBB94_36
; %bb.35:
	v_add_f32_e64 v3, |v0|, |v0|
	v_mul_f32_e32 v4, 0x3fb8aa3b, v3
	v_cmp_ngt_f32_e32 vcc_lo, 0xc2ce8ed0, v3
	v_rndne_f32_e32 v5, v4
	v_fma_f32 v6, 0x3fb8aa3b, v3, -v4
	v_sub_f32_e32 v4, v4, v5
	v_fmamk_f32 v6, v3, 0x32a5705f, v6
	v_cvt_i32_f32_e32 v5, v5
	v_add_f32_e32 v4, v4, v6
	v_exp_f32_e32 v4, v4
	v_ldexp_f32 v4, v4, v5
	v_cndmask_b32_e32 v4, 0, v4, vcc_lo
	v_cmp_nlt_f32_e32 vcc_lo, 0x42b17218, v3
	v_cndmask_b32_e32 v3, 0x7f800000, v4, vcc_lo
	v_add_f32_e32 v3, 1.0, v3
	v_rcp_f32_e32 v3, v3
	v_fma_f32 v3, v3, -2.0, 1.0
.LBB94_36:
	s_andn2_saveexec_b32 s1, s1
	s_cbranch_execz .LBB94_38
; %bb.37:
	v_mul_f32_e32 v3, v0, v0
	s_mov_b32 s2, 0xbbbac73d
	v_fmaak_f32 v4, s2, v3, 0x3ca908c9
	v_fmaak_f32 v4, v3, v4, 0xbd5c1c4e
	v_fmaak_f32 v4, v3, v4, 0x3e088382
	v_fmaak_f32 v4, v3, v4, 0xbeaaaa99
	v_mul_f32_e64 v4, |v0|, v4
	v_fma_f32 v3, v3, v4, |v0|
.LBB94_38:
	s_or_b32 exec_lo, exec_lo, s1
	v_bfi_b32 v0, 0x7fffffff, v3, v0
	v_mul_f32_e32 v2, 0.5, v2
	v_add_f32_e32 v0, 1.0, v0
	v_mul_f32_e32 v0, v2, v0
	v_mul_f32_e32 v1, v1, v0
.LBB94_39:
	v_mov_b32_e32 v0, v1
.LBB94_40:
	v_mov_b32_e32 v1, v0
.LBB94_41:
	s_load_dwordx2 s[2:3], s[4:5], 0x38
	s_mul_i32 s0, s30, s0
	s_mul_i32 s4, s18, s8
	s_ashr_i32 s1, s0, 31
	v_mov_b32_e32 v0, 0
	s_lshl_b64 s[0:1], s[0:1], 2
	s_waitcnt lgkmcnt(0)
	s_add_u32 s2, s2, s0
	s_addc_u32 s3, s3, s1
	s_ashr_i32 s5, s4, 31
	s_lshl_b64 s[0:1], s[4:5], 2
	s_add_u32 s2, s2, s0
	s_addc_u32 s3, s3, s1
	s_ashr_i32 s7, s6, 31
	s_lshl_b64 s[0:1], s[6:7], 2
	s_add_u32 s0, s2, s0
	s_addc_u32 s1, s3, s1
	global_store_dword v0, v1, s[0:1]
.LBB94_42:
	s_endpgm
	.section	.rodata,"a",@progbits
	.p2align	6, 0x0
	.amdhsa_kernel _ZL13mul_mat_vec_fI6__halfS0_Li1ELi128ELb1ELb1EEvPKT_PKfPKi31ggml_cuda_mm_fusion_args_devicePfi15HIP_vector_typeIjLj3EEiiiSB_iiiSB_iiii
		.amdhsa_group_segment_fixed_size 0
		.amdhsa_private_segment_fixed_size 0
		.amdhsa_kernarg_size 144
		.amdhsa_user_sgpr_count 6
		.amdhsa_user_sgpr_private_segment_buffer 1
		.amdhsa_user_sgpr_dispatch_ptr 0
		.amdhsa_user_sgpr_queue_ptr 0
		.amdhsa_user_sgpr_kernarg_segment_ptr 1
		.amdhsa_user_sgpr_dispatch_id 0
		.amdhsa_user_sgpr_flat_scratch_init 0
		.amdhsa_user_sgpr_private_segment_size 0
		.amdhsa_wavefront_size32 1
		.amdhsa_uses_dynamic_stack 0
		.amdhsa_system_sgpr_private_segment_wavefront_offset 0
		.amdhsa_system_sgpr_workgroup_id_x 1
		.amdhsa_system_sgpr_workgroup_id_y 1
		.amdhsa_system_sgpr_workgroup_id_z 1
		.amdhsa_system_sgpr_workgroup_info 0
		.amdhsa_system_vgpr_workitem_id 0
		.amdhsa_next_free_vgpr 15
		.amdhsa_next_free_sgpr 40
		.amdhsa_reserve_vcc 1
		.amdhsa_reserve_flat_scratch 0
		.amdhsa_float_round_mode_32 0
		.amdhsa_float_round_mode_16_64 0
		.amdhsa_float_denorm_mode_32 3
		.amdhsa_float_denorm_mode_16_64 3
		.amdhsa_dx10_clamp 1
		.amdhsa_ieee_mode 1
		.amdhsa_fp16_overflow 0
		.amdhsa_workgroup_processor_mode 1
		.amdhsa_memory_ordered 1
		.amdhsa_forward_progress 1
		.amdhsa_shared_vgpr_count 0
		.amdhsa_exception_fp_ieee_invalid_op 0
		.amdhsa_exception_fp_denorm_src 0
		.amdhsa_exception_fp_ieee_div_zero 0
		.amdhsa_exception_fp_ieee_overflow 0
		.amdhsa_exception_fp_ieee_underflow 0
		.amdhsa_exception_fp_ieee_inexact 0
		.amdhsa_exception_int_div_zero 0
	.end_amdhsa_kernel
	.section	.text._ZL13mul_mat_vec_fI6__halfS0_Li1ELi128ELb1ELb1EEvPKT_PKfPKi31ggml_cuda_mm_fusion_args_devicePfi15HIP_vector_typeIjLj3EEiiiSB_iiiSB_iiii,"axG",@progbits,_ZL13mul_mat_vec_fI6__halfS0_Li1ELi128ELb1ELb1EEvPKT_PKfPKi31ggml_cuda_mm_fusion_args_devicePfi15HIP_vector_typeIjLj3EEiiiSB_iiiSB_iiii,comdat
.Lfunc_end94:
	.size	_ZL13mul_mat_vec_fI6__halfS0_Li1ELi128ELb1ELb1EEvPKT_PKfPKi31ggml_cuda_mm_fusion_args_devicePfi15HIP_vector_typeIjLj3EEiiiSB_iiiSB_iiii, .Lfunc_end94-_ZL13mul_mat_vec_fI6__halfS0_Li1ELi128ELb1ELb1EEvPKT_PKfPKi31ggml_cuda_mm_fusion_args_devicePfi15HIP_vector_typeIjLj3EEiiiSB_iiiSB_iiii
                                        ; -- End function
	.set _ZL13mul_mat_vec_fI6__halfS0_Li1ELi128ELb1ELb1EEvPKT_PKfPKi31ggml_cuda_mm_fusion_args_devicePfi15HIP_vector_typeIjLj3EEiiiSB_iiiSB_iiii.num_vgpr, 15
	.set _ZL13mul_mat_vec_fI6__halfS0_Li1ELi128ELb1ELb1EEvPKT_PKfPKi31ggml_cuda_mm_fusion_args_devicePfi15HIP_vector_typeIjLj3EEiiiSB_iiiSB_iiii.num_agpr, 0
	.set _ZL13mul_mat_vec_fI6__halfS0_Li1ELi128ELb1ELb1EEvPKT_PKfPKi31ggml_cuda_mm_fusion_args_devicePfi15HIP_vector_typeIjLj3EEiiiSB_iiiSB_iiii.numbered_sgpr, 40
	.set _ZL13mul_mat_vec_fI6__halfS0_Li1ELi128ELb1ELb1EEvPKT_PKfPKi31ggml_cuda_mm_fusion_args_devicePfi15HIP_vector_typeIjLj3EEiiiSB_iiiSB_iiii.num_named_barrier, 0
	.set _ZL13mul_mat_vec_fI6__halfS0_Li1ELi128ELb1ELb1EEvPKT_PKfPKi31ggml_cuda_mm_fusion_args_devicePfi15HIP_vector_typeIjLj3EEiiiSB_iiiSB_iiii.private_seg_size, 0
	.set _ZL13mul_mat_vec_fI6__halfS0_Li1ELi128ELb1ELb1EEvPKT_PKfPKi31ggml_cuda_mm_fusion_args_devicePfi15HIP_vector_typeIjLj3EEiiiSB_iiiSB_iiii.uses_vcc, 1
	.set _ZL13mul_mat_vec_fI6__halfS0_Li1ELi128ELb1ELb1EEvPKT_PKfPKi31ggml_cuda_mm_fusion_args_devicePfi15HIP_vector_typeIjLj3EEiiiSB_iiiSB_iiii.uses_flat_scratch, 0
	.set _ZL13mul_mat_vec_fI6__halfS0_Li1ELi128ELb1ELb1EEvPKT_PKfPKi31ggml_cuda_mm_fusion_args_devicePfi15HIP_vector_typeIjLj3EEiiiSB_iiiSB_iiii.has_dyn_sized_stack, 0
	.set _ZL13mul_mat_vec_fI6__halfS0_Li1ELi128ELb1ELb1EEvPKT_PKfPKi31ggml_cuda_mm_fusion_args_devicePfi15HIP_vector_typeIjLj3EEiiiSB_iiiSB_iiii.has_recursion, 0
	.set _ZL13mul_mat_vec_fI6__halfS0_Li1ELi128ELb1ELb1EEvPKT_PKfPKi31ggml_cuda_mm_fusion_args_devicePfi15HIP_vector_typeIjLj3EEiiiSB_iiiSB_iiii.has_indirect_call, 0
	.section	.AMDGPU.csdata,"",@progbits
; Kernel info:
; codeLenInByte = 2172
; TotalNumSgprs: 42
; NumVgprs: 15
; ScratchSize: 0
; MemoryBound: 0
; FloatMode: 240
; IeeeMode: 1
; LDSByteSize: 0 bytes/workgroup (compile time only)
; SGPRBlocks: 0
; VGPRBlocks: 1
; NumSGPRsForWavesPerEU: 42
; NumVGPRsForWavesPerEU: 15
; Occupancy: 16
; WaveLimiterHint : 1
; COMPUTE_PGM_RSRC2:SCRATCH_EN: 0
; COMPUTE_PGM_RSRC2:USER_SGPR: 6
; COMPUTE_PGM_RSRC2:TRAP_HANDLER: 0
; COMPUTE_PGM_RSRC2:TGID_X_EN: 1
; COMPUTE_PGM_RSRC2:TGID_Y_EN: 1
; COMPUTE_PGM_RSRC2:TGID_Z_EN: 1
; COMPUTE_PGM_RSRC2:TIDIG_COMP_CNT: 0
	.section	.text._ZL13mul_mat_vec_fI6__halfS0_Li1ELi128ELb0ELb1EEvPKT_PKfPKi31ggml_cuda_mm_fusion_args_devicePfi15HIP_vector_typeIjLj3EEiiiSB_iiiSB_iiii,"axG",@progbits,_ZL13mul_mat_vec_fI6__halfS0_Li1ELi128ELb0ELb1EEvPKT_PKfPKi31ggml_cuda_mm_fusion_args_devicePfi15HIP_vector_typeIjLj3EEiiiSB_iiiSB_iiii,comdat
	.globl	_ZL13mul_mat_vec_fI6__halfS0_Li1ELi128ELb0ELb1EEvPKT_PKfPKi31ggml_cuda_mm_fusion_args_devicePfi15HIP_vector_typeIjLj3EEiiiSB_iiiSB_iiii ; -- Begin function _ZL13mul_mat_vec_fI6__halfS0_Li1ELi128ELb0ELb1EEvPKT_PKfPKi31ggml_cuda_mm_fusion_args_devicePfi15HIP_vector_typeIjLj3EEiiiSB_iiiSB_iiii
	.p2align	8
	.type	_ZL13mul_mat_vec_fI6__halfS0_Li1ELi128ELb0ELb1EEvPKT_PKfPKi31ggml_cuda_mm_fusion_args_devicePfi15HIP_vector_typeIjLj3EEiiiSB_iiiSB_iiii,@function
_ZL13mul_mat_vec_fI6__halfS0_Li1ELi128ELb0ELb1EEvPKT_PKfPKi31ggml_cuda_mm_fusion_args_devicePfi15HIP_vector_typeIjLj3EEiiiSB_iiiSB_iiii: ; @_ZL13mul_mat_vec_fI6__halfS0_Li1ELi128ELb0ELb1EEvPKT_PKfPKi31ggml_cuda_mm_fusion_args_devicePfi15HIP_vector_typeIjLj3EEiiiSB_iiiSB_iiii
; %bb.0:
	s_clause 0x2
	s_load_dword s2, s[4:5], 0x8c
	s_load_dwordx2 s[0:1], s[4:5], 0x10
	s_load_dwordx8 s[12:19], s[4:5], 0x40
	v_cmp_gt_u32_e32 vcc_lo, 32, v0
	v_lshl_add_u32 v5, v0, 2, 0
	s_waitcnt lgkmcnt(0)
	s_mul_i32 s2, s2, s8
	s_add_i32 s2, s2, s7
	s_ashr_i32 s3, s2, 31
	s_lshl_b64 s[2:3], s[2:3], 2
	s_add_u32 s2, s0, s2
	s_addc_u32 s3, s1, s3
	s_and_saveexec_b32 s0, vcc_lo
; %bb.1:
	v_mov_b32_e32 v1, 0
	ds_write_b32 v5, v1
; %bb.2:
	s_or_b32 exec_lo, exec_lo, s0
	s_load_dwordx4 s[20:23], s[4:5], 0x68
	v_mov_b32_e32 v1, 0
	v_mov_b32_e32 v2, 0
	s_mov_b32 s9, exec_lo
	s_waitcnt lgkmcnt(0)
	s_barrier
	buffer_gl0_inv
	v_cmpx_gt_i32_e64 s12, v0
	s_cbranch_execz .LBB95_6
; %bb.3:
	s_load_dword s19, s[2:3], 0x0
	s_load_dwordx4 s[24:27], s[4:5], 0x0
	s_mul_hi_u32 s1, s13, s7
	s_mul_i32 s2, s8, s17
	s_add_i32 s1, s7, s1
	s_lshl_b32 s2, s2, 1
	s_lshr_b32 s3, s1, s14
	s_mul_i32 s0, s16, s6
	s_mul_i32 s3, s3, s15
	v_lshlrev_b32_e32 v1, 3, v0
	s_sub_i32 s10, s7, s3
	s_ashr_i32 s3, s2, 31
	s_mul_i32 s10, s10, s21
	s_ashr_i32 s1, s0, 31
	s_ashr_i32 s11, s10, 31
	s_lshl_b64 s[2:3], s[2:3], 2
	s_lshl_b64 s[10:11], s[10:11], 2
	v_lshlrev_b32_e32 v3, 2, v0
	v_mov_b32_e32 v6, 0
	v_mov_b32_e32 v7, v0
	s_waitcnt lgkmcnt(0)
	s_mul_i32 s14, s19, s20
	s_ashr_i32 s15, s14, 31
	s_add_u32 s10, s26, s10
	s_addc_u32 s11, s27, s11
	s_add_u32 s10, s10, s2
	s_addc_u32 s11, s11, s3
	s_lshl_b64 s[2:3], s[0:1], 1
	v_add_co_u32 v1, s0, s10, v1
	v_add_co_ci_u32_e64 v2, null, s11, 0, s0
	s_lshl_b64 s[10:11], s[14:15], 1
	v_add_co_u32 v1, s0, v1, 4
	v_add_co_ci_u32_e64 v2, null, 0, v2, s0
	s_add_u32 s0, s24, s10
	s_addc_u32 s1, s25, s11
	s_add_u32 s0, s0, s2
	s_addc_u32 s1, s1, s3
	v_add_co_u32 v3, s0, s0, v3
	v_add_co_ci_u32_e64 v4, null, s1, 0, s0
	s_mov_b32 s2, 0
	.p2align	6
.LBB95_4:                               ; =>This Inner Loop Header: Depth=1
	global_load_dwordx2 v[8:9], v[1:2], off offset:-4
	global_load_dword v10, v[3:4], off
	v_add_nc_u32_e32 v7, 0x80, v7
	v_add_co_u32 v1, s0, 0x400, v1
	v_add_co_ci_u32_e64 v2, null, 0, v2, s0
	v_add_co_u32 v3, s0, 0x200, v3
	v_cmp_le_i32_e64 s1, s12, v7
	v_add_co_ci_u32_e64 v4, null, 0, v4, s0
	s_or_b32 s2, s1, s2
	s_waitcnt vmcnt(1)
	v_cvt_f16_f32_e32 v8, v8
	v_cvt_f16_f32_e32 v9, v9
	v_pack_b32_f16 v8, v8, v9
	s_waitcnt vmcnt(0)
	v_pk_fma_f16 v6, v10, v8, v6
	s_andn2_b32 exec_lo, exec_lo, s2
	s_cbranch_execnz .LBB95_4
; %bb.5:
	s_or_b32 exec_lo, exec_lo, s2
	v_cvt_f32_f16_sdwa v1, v6 dst_sel:DWORD dst_unused:UNUSED_PAD src0_sel:WORD_1
	v_cvt_f32_f16_e32 v2, v6
.LBB95_6:
	s_or_b32 exec_lo, exec_lo, s9
	v_mbcnt_lo_u32_b32 v7, -1, 0
	v_add_f32_e32 v2, v2, v1
	v_xor_b32_e32 v3, 16, v7
	v_xor_b32_e32 v9, 1, v7
	v_cmp_gt_i32_e64 s0, 32, v3
	v_cndmask_b32_e64 v3, v7, v3, s0
	v_lshlrev_b32_e32 v1, 2, v3
	v_xor_b32_e32 v3, 8, v7
	ds_bpermute_b32 v4, v1, v2
	v_cmp_gt_i32_e64 s0, 32, v3
	v_cndmask_b32_e64 v3, v7, v3, s0
	v_lshlrev_b32_e32 v3, 2, v3
	s_waitcnt lgkmcnt(0)
	v_add_f32_e32 v2, v2, v4
	v_xor_b32_e32 v4, 4, v7
	ds_bpermute_b32 v6, v3, v2
	v_cmp_gt_i32_e64 s0, 32, v4
	v_cndmask_b32_e64 v4, v7, v4, s0
	v_lshlrev_b32_e32 v4, 2, v4
	s_waitcnt lgkmcnt(0)
	v_add_f32_e32 v2, v2, v6
	v_xor_b32_e32 v6, 2, v7
	ds_bpermute_b32 v8, v4, v2
	v_cmp_gt_i32_e64 s0, 32, v6
	v_cndmask_b32_e64 v6, v7, v6, s0
	v_cmp_gt_i32_e64 s0, 32, v9
	v_lshlrev_b32_e32 v6, 2, v6
	v_cndmask_b32_e64 v7, v7, v9, s0
	v_lshrrev_b32_e32 v9, 3, v0
	v_lshlrev_b32_e32 v7, 2, v7
	v_and_b32_e32 v9, 0x7c, v9
	s_waitcnt lgkmcnt(0)
	v_add_f32_e32 v2, v2, v8
	v_add_nc_u32_e32 v9, 0, v9
	ds_bpermute_b32 v8, v6, v2
	s_waitcnt lgkmcnt(0)
	v_add_f32_e32 v2, v2, v8
	ds_bpermute_b32 v8, v7, v2
	s_waitcnt lgkmcnt(0)
	v_add_f32_e32 v2, v2, v8
	ds_write_b32 v9, v2
	s_waitcnt lgkmcnt(0)
	s_barrier
	buffer_gl0_inv
	s_and_saveexec_b32 s0, vcc_lo
	s_cbranch_execz .LBB95_8
; %bb.7:
	ds_read_b32 v2, v5
	s_waitcnt lgkmcnt(0)
	ds_bpermute_b32 v1, v1, v2
	s_waitcnt lgkmcnt(0)
	v_add_f32_e32 v1, v2, v1
	ds_bpermute_b32 v2, v3, v1
	s_waitcnt lgkmcnt(0)
	v_add_f32_e32 v1, v1, v2
	;; [unrolled: 3-line block ×5, first 2 shown]
.LBB95_8:
	s_or_b32 exec_lo, exec_lo, s0
	s_barrier
	buffer_gl0_inv
	s_mov_b32 s0, exec_lo
	v_cmpx_eq_u32_e32 0, v0
	s_cbranch_execz .LBB95_10
; %bb.9:
	s_load_dwordx2 s[0:1], s[4:5], 0x38
	s_mul_i32 s2, s22, s7
	s_mul_i32 s4, s18, s8
	s_ashr_i32 s3, s2, 31
	v_mov_b32_e32 v0, 0
	s_lshl_b64 s[2:3], s[2:3], 2
	s_waitcnt lgkmcnt(0)
	s_add_u32 s2, s0, s2
	s_addc_u32 s3, s1, s3
	s_ashr_i32 s5, s4, 31
	s_lshl_b64 s[0:1], s[4:5], 2
	s_add_u32 s2, s2, s0
	s_addc_u32 s3, s3, s1
	s_ashr_i32 s7, s6, 31
	s_lshl_b64 s[0:1], s[6:7], 2
	s_add_u32 s0, s2, s0
	s_addc_u32 s1, s3, s1
	global_store_dword v0, v2, s[0:1]
.LBB95_10:
	s_endpgm
	.section	.rodata,"a",@progbits
	.p2align	6, 0x0
	.amdhsa_kernel _ZL13mul_mat_vec_fI6__halfS0_Li1ELi128ELb0ELb1EEvPKT_PKfPKi31ggml_cuda_mm_fusion_args_devicePfi15HIP_vector_typeIjLj3EEiiiSB_iiiSB_iiii
		.amdhsa_group_segment_fixed_size 0
		.amdhsa_private_segment_fixed_size 0
		.amdhsa_kernarg_size 144
		.amdhsa_user_sgpr_count 6
		.amdhsa_user_sgpr_private_segment_buffer 1
		.amdhsa_user_sgpr_dispatch_ptr 0
		.amdhsa_user_sgpr_queue_ptr 0
		.amdhsa_user_sgpr_kernarg_segment_ptr 1
		.amdhsa_user_sgpr_dispatch_id 0
		.amdhsa_user_sgpr_flat_scratch_init 0
		.amdhsa_user_sgpr_private_segment_size 0
		.amdhsa_wavefront_size32 1
		.amdhsa_uses_dynamic_stack 0
		.amdhsa_system_sgpr_private_segment_wavefront_offset 0
		.amdhsa_system_sgpr_workgroup_id_x 1
		.amdhsa_system_sgpr_workgroup_id_y 1
		.amdhsa_system_sgpr_workgroup_id_z 1
		.amdhsa_system_sgpr_workgroup_info 0
		.amdhsa_system_vgpr_workitem_id 0
		.amdhsa_next_free_vgpr 11
		.amdhsa_next_free_sgpr 28
		.amdhsa_reserve_vcc 1
		.amdhsa_reserve_flat_scratch 0
		.amdhsa_float_round_mode_32 0
		.amdhsa_float_round_mode_16_64 0
		.amdhsa_float_denorm_mode_32 3
		.amdhsa_float_denorm_mode_16_64 3
		.amdhsa_dx10_clamp 1
		.amdhsa_ieee_mode 1
		.amdhsa_fp16_overflow 0
		.amdhsa_workgroup_processor_mode 1
		.amdhsa_memory_ordered 1
		.amdhsa_forward_progress 1
		.amdhsa_shared_vgpr_count 0
		.amdhsa_exception_fp_ieee_invalid_op 0
		.amdhsa_exception_fp_denorm_src 0
		.amdhsa_exception_fp_ieee_div_zero 0
		.amdhsa_exception_fp_ieee_overflow 0
		.amdhsa_exception_fp_ieee_underflow 0
		.amdhsa_exception_fp_ieee_inexact 0
		.amdhsa_exception_int_div_zero 0
	.end_amdhsa_kernel
	.section	.text._ZL13mul_mat_vec_fI6__halfS0_Li1ELi128ELb0ELb1EEvPKT_PKfPKi31ggml_cuda_mm_fusion_args_devicePfi15HIP_vector_typeIjLj3EEiiiSB_iiiSB_iiii,"axG",@progbits,_ZL13mul_mat_vec_fI6__halfS0_Li1ELi128ELb0ELb1EEvPKT_PKfPKi31ggml_cuda_mm_fusion_args_devicePfi15HIP_vector_typeIjLj3EEiiiSB_iiiSB_iiii,comdat
.Lfunc_end95:
	.size	_ZL13mul_mat_vec_fI6__halfS0_Li1ELi128ELb0ELb1EEvPKT_PKfPKi31ggml_cuda_mm_fusion_args_devicePfi15HIP_vector_typeIjLj3EEiiiSB_iiiSB_iiii, .Lfunc_end95-_ZL13mul_mat_vec_fI6__halfS0_Li1ELi128ELb0ELb1EEvPKT_PKfPKi31ggml_cuda_mm_fusion_args_devicePfi15HIP_vector_typeIjLj3EEiiiSB_iiiSB_iiii
                                        ; -- End function
	.set _ZL13mul_mat_vec_fI6__halfS0_Li1ELi128ELb0ELb1EEvPKT_PKfPKi31ggml_cuda_mm_fusion_args_devicePfi15HIP_vector_typeIjLj3EEiiiSB_iiiSB_iiii.num_vgpr, 11
	.set _ZL13mul_mat_vec_fI6__halfS0_Li1ELi128ELb0ELb1EEvPKT_PKfPKi31ggml_cuda_mm_fusion_args_devicePfi15HIP_vector_typeIjLj3EEiiiSB_iiiSB_iiii.num_agpr, 0
	.set _ZL13mul_mat_vec_fI6__halfS0_Li1ELi128ELb0ELb1EEvPKT_PKfPKi31ggml_cuda_mm_fusion_args_devicePfi15HIP_vector_typeIjLj3EEiiiSB_iiiSB_iiii.numbered_sgpr, 28
	.set _ZL13mul_mat_vec_fI6__halfS0_Li1ELi128ELb0ELb1EEvPKT_PKfPKi31ggml_cuda_mm_fusion_args_devicePfi15HIP_vector_typeIjLj3EEiiiSB_iiiSB_iiii.num_named_barrier, 0
	.set _ZL13mul_mat_vec_fI6__halfS0_Li1ELi128ELb0ELb1EEvPKT_PKfPKi31ggml_cuda_mm_fusion_args_devicePfi15HIP_vector_typeIjLj3EEiiiSB_iiiSB_iiii.private_seg_size, 0
	.set _ZL13mul_mat_vec_fI6__halfS0_Li1ELi128ELb0ELb1EEvPKT_PKfPKi31ggml_cuda_mm_fusion_args_devicePfi15HIP_vector_typeIjLj3EEiiiSB_iiiSB_iiii.uses_vcc, 1
	.set _ZL13mul_mat_vec_fI6__halfS0_Li1ELi128ELb0ELb1EEvPKT_PKfPKi31ggml_cuda_mm_fusion_args_devicePfi15HIP_vector_typeIjLj3EEiiiSB_iiiSB_iiii.uses_flat_scratch, 0
	.set _ZL13mul_mat_vec_fI6__halfS0_Li1ELi128ELb0ELb1EEvPKT_PKfPKi31ggml_cuda_mm_fusion_args_devicePfi15HIP_vector_typeIjLj3EEiiiSB_iiiSB_iiii.has_dyn_sized_stack, 0
	.set _ZL13mul_mat_vec_fI6__halfS0_Li1ELi128ELb0ELb1EEvPKT_PKfPKi31ggml_cuda_mm_fusion_args_devicePfi15HIP_vector_typeIjLj3EEiiiSB_iiiSB_iiii.has_recursion, 0
	.set _ZL13mul_mat_vec_fI6__halfS0_Li1ELi128ELb0ELb1EEvPKT_PKfPKi31ggml_cuda_mm_fusion_args_devicePfi15HIP_vector_typeIjLj3EEiiiSB_iiiSB_iiii.has_indirect_call, 0
	.section	.AMDGPU.csdata,"",@progbits
; Kernel info:
; codeLenInByte = 984
; TotalNumSgprs: 30
; NumVgprs: 11
; ScratchSize: 0
; MemoryBound: 0
; FloatMode: 240
; IeeeMode: 1
; LDSByteSize: 0 bytes/workgroup (compile time only)
; SGPRBlocks: 0
; VGPRBlocks: 1
; NumSGPRsForWavesPerEU: 30
; NumVGPRsForWavesPerEU: 11
; Occupancy: 16
; WaveLimiterHint : 1
; COMPUTE_PGM_RSRC2:SCRATCH_EN: 0
; COMPUTE_PGM_RSRC2:USER_SGPR: 6
; COMPUTE_PGM_RSRC2:TRAP_HANDLER: 0
; COMPUTE_PGM_RSRC2:TGID_X_EN: 1
; COMPUTE_PGM_RSRC2:TGID_Y_EN: 1
; COMPUTE_PGM_RSRC2:TGID_Z_EN: 1
; COMPUTE_PGM_RSRC2:TIDIG_COMP_CNT: 0
	.section	.text._ZL13mul_mat_vec_fI6__halfS0_Li1ELi160ELb1ELb1EEvPKT_PKfPKi31ggml_cuda_mm_fusion_args_devicePfi15HIP_vector_typeIjLj3EEiiiSB_iiiSB_iiii,"axG",@progbits,_ZL13mul_mat_vec_fI6__halfS0_Li1ELi160ELb1ELb1EEvPKT_PKfPKi31ggml_cuda_mm_fusion_args_devicePfi15HIP_vector_typeIjLj3EEiiiSB_iiiSB_iiii,comdat
	.globl	_ZL13mul_mat_vec_fI6__halfS0_Li1ELi160ELb1ELb1EEvPKT_PKfPKi31ggml_cuda_mm_fusion_args_devicePfi15HIP_vector_typeIjLj3EEiiiSB_iiiSB_iiii ; -- Begin function _ZL13mul_mat_vec_fI6__halfS0_Li1ELi160ELb1ELb1EEvPKT_PKfPKi31ggml_cuda_mm_fusion_args_devicePfi15HIP_vector_typeIjLj3EEiiiSB_iiiSB_iiii
	.p2align	8
	.type	_ZL13mul_mat_vec_fI6__halfS0_Li1ELi160ELb1ELb1EEvPKT_PKfPKi31ggml_cuda_mm_fusion_args_devicePfi15HIP_vector_typeIjLj3EEiiiSB_iiiSB_iiii,@function
_ZL13mul_mat_vec_fI6__halfS0_Li1ELi160ELb1ELb1EEvPKT_PKfPKi31ggml_cuda_mm_fusion_args_devicePfi15HIP_vector_typeIjLj3EEiiiSB_iiiSB_iiii: ; @_ZL13mul_mat_vec_fI6__halfS0_Li1ELi160ELb1ELb1EEvPKT_PKfPKi31ggml_cuda_mm_fusion_args_devicePfi15HIP_vector_typeIjLj3EEiiiSB_iiiSB_iiii
; %bb.0:
	s_clause 0x3
	s_load_dword s1, s[4:5], 0x8c
	s_load_dwordx8 s[20:27], s[4:5], 0x0
	s_load_dwordx4 s[36:39], s[4:5], 0x20
	s_load_dwordx8 s[12:19], s[4:5], 0x40
	v_lshl_add_u32 v7, v0, 2, 0
	s_mov_b32 s0, s7
	s_waitcnt lgkmcnt(0)
	s_mul_i32 s1, s1, s8
	s_add_i32 s2, s1, s7
	s_ashr_i32 s3, s2, 31
	s_lshl_b64 s[2:3], s[2:3], 2
	s_add_u32 s10, s24, s2
	s_addc_u32 s11, s25, s3
	s_cmp_lg_u64 s[36:37], 0
	v_cmp_gt_u32_e64 s2, 32, v0
	s_cselect_b32 s1, -1, 0
	s_cmp_eq_u64 s[36:37], 0
	s_cselect_b32 s19, -1, 0
	s_and_saveexec_b32 s3, s2
	s_cbranch_execz .LBB96_3
; %bb.1:
	v_mov_b32_e32 v1, 0
	s_andn2_b32 vcc_lo, exec_lo, s1
	ds_write_b32 v7, v1
	s_cbranch_vccnz .LBB96_3
; %bb.2:
	ds_write_b32 v7, v1 offset:128
.LBB96_3:
	s_or_b32 exec_lo, exec_lo, s3
	s_load_dword s7, s[10:11], 0x0
	s_load_dwordx4 s[28:31], s[4:5], 0x68
	v_mov_b32_e32 v8, 0
	v_mov_b32_e32 v4, 0
	;; [unrolled: 1-line block ×3, first 2 shown]
	s_mov_b32 s10, 0
	s_mov_b32 s9, exec_lo
	s_waitcnt lgkmcnt(0)
	s_barrier
	buffer_gl0_inv
	v_cmpx_gt_i32_e64 s12, v0
	s_cbranch_execz .LBB96_10
; %bb.4:
	s_mul_hi_u32 s3, s13, s0
	s_mul_i32 s11, s7, s28
	s_add_i32 s3, s0, s3
	s_mul_i32 s13, s16, s6
	s_lshr_b32 s3, s3, s14
	s_ashr_i32 s16, s11, 31
	s_mul_i32 s3, s3, s15
	s_ashr_i32 s15, s13, 31
	s_sub_i32 s3, s0, s3
	s_add_u32 s14, s11, s13
	s_mul_i32 s11, s8, s17
	s_addc_u32 s15, s16, s15
	s_mul_i32 s16, s3, s29
	s_lshl_b32 s28, s11, 1
	s_ashr_i32 s17, s16, 31
	s_ashr_i32 s29, s28, 31
	s_and_b32 s3, s1, exec_lo
	s_cselect_b32 s35, s15, 0
	s_cselect_b32 s34, s14, 0
	v_lshlrev_b32_e32 v5, 2, v0
	s_cselect_b32 s3, s37, 0
	s_cselect_b32 s11, s36, 0
	s_lshl_b64 s[34:35], s[34:35], 1
	v_lshlrev_b32_e32 v3, 3, v0
	s_add_u32 s11, s11, s34
	s_addc_u32 s3, s3, s35
	v_add_co_u32 v1, s11, s11, v5
	s_lshl_b64 s[16:17], s[16:17], 2
	s_lshl_b64 s[28:29], s[28:29], 2
	v_add_co_ci_u32_e64 v2, null, s3, 0, s11
	s_add_u32 s3, s22, s16
	s_addc_u32 s11, s23, s17
	s_add_u32 s3, s3, s28
	s_addc_u32 s11, s11, s29
	v_add_co_u32 v3, s3, s3, v3
	s_lshl_b64 s[14:15], s[14:15], 1
	v_add_co_ci_u32_e64 v4, null, s11, 0, s3
	s_add_u32 s3, s20, s14
	v_add_co_u32 v3, vcc_lo, v3, 4
	s_addc_u32 s11, s21, s15
	v_add_co_u32 v5, s3, s3, v5
	v_add_co_ci_u32_e64 v4, null, 0, v4, vcc_lo
	v_add_co_ci_u32_e64 v6, null, s11, 0, s3
	v_mov_b32_e32 v8, 0
	v_mov_b32_e32 v10, v0
	;; [unrolled: 1-line block ×3, first 2 shown]
	s_inst_prefetch 0x1
	s_branch .LBB96_7
	.p2align	6
.LBB96_5:                               ;   in Loop: Header=BB96_7 Depth=1
	global_load_dword v12, v[1:2], off
.LBB96_6:                               ;   in Loop: Header=BB96_7 Depth=1
	global_load_dwordx2 v[13:14], v[3:4], off offset:-4
	v_add_nc_u32_e32 v10, 0xa0, v10
	v_add_co_u32 v1, vcc_lo, 0x280, v1
	v_add_co_ci_u32_e64 v2, null, 0, v2, vcc_lo
	v_add_co_u32 v3, vcc_lo, 0x500, v3
	v_add_co_ci_u32_e64 v4, null, 0, v4, vcc_lo
	v_cmp_le_i32_e32 vcc_lo, s12, v10
	v_add_co_u32 v5, s3, 0x280, v5
	v_add_co_ci_u32_e64 v6, null, 0, v6, s3
	s_or_b32 s10, vcc_lo, s10
	s_waitcnt vmcnt(0)
	v_cvt_f16_f32_e32 v13, v13
	v_cvt_f16_f32_e32 v14, v14
	v_pack_b32_f16 v13, v13, v14
	v_pk_fma_f16 v12, v12, v13, v9
	v_pk_fma_f16 v8, v11, v13, v8
	v_cndmask_b32_e64 v9, v9, v12, s1
	s_andn2_b32 exec_lo, exec_lo, s10
	s_cbranch_execz .LBB96_9
.LBB96_7:                               ; =>This Inner Loop Header: Depth=1
	global_load_dword v11, v[5:6], off
	s_andn2_b32 vcc_lo, exec_lo, s1
	s_cbranch_vccz .LBB96_5
; %bb.8:                                ;   in Loop: Header=BB96_7 Depth=1
	v_mov_b32_e32 v12, 0
	s_branch .LBB96_6
.LBB96_9:
	s_inst_prefetch 0x2
	s_or_b32 exec_lo, exec_lo, s10
	v_cvt_f32_f16_sdwa v4, v9 dst_sel:DWORD dst_unused:UNUSED_PAD src0_sel:WORD_1
	v_cvt_f32_f16_e32 v5, v9
.LBB96_10:
	s_or_b32 exec_lo, exec_lo, s9
	v_mbcnt_lo_u32_b32 v1, -1, 0
	v_cvt_f32_f16_e32 v3, v8
	v_cvt_f32_f16_sdwa v6, v8 dst_sel:DWORD dst_unused:UNUSED_PAD src0_sel:WORD_1
	s_load_dword s9, s[4:5], 0x30
	s_mov_b32 s3, -1
	v_xor_b32_e32 v2, 16, v1
	v_add_f32_e32 v8, v3, v6
	v_xor_b32_e32 v6, 8, v1
	v_cmp_gt_i32_e32 vcc_lo, 32, v2
	v_cndmask_b32_e32 v2, v1, v2, vcc_lo
	v_cmp_gt_i32_e32 vcc_lo, 32, v6
	v_lshlrev_b32_e32 v3, 2, v2
	v_cndmask_b32_e32 v6, v1, v6, vcc_lo
	ds_bpermute_b32 v2, v3, v8
	v_lshlrev_b32_e32 v6, 2, v6
	s_waitcnt lgkmcnt(0)
	v_add_f32_e32 v2, v8, v2
	v_xor_b32_e32 v8, 4, v1
	ds_bpermute_b32 v9, v6, v2
	v_cmp_gt_i32_e32 vcc_lo, 32, v8
	v_cndmask_b32_e32 v8, v1, v8, vcc_lo
	v_lshlrev_b32_e32 v8, 2, v8
	s_waitcnt lgkmcnt(0)
	v_add_f32_e32 v2, v2, v9
	v_xor_b32_e32 v9, 2, v1
	ds_bpermute_b32 v10, v8, v2
	v_cmp_gt_i32_e32 vcc_lo, 32, v9
	v_cndmask_b32_e32 v9, v1, v9, vcc_lo
	;; [unrolled: 7-line block ×3, first 2 shown]
	s_and_b32 vcc_lo, exec_lo, s19
	v_lshlrev_b32_e32 v10, 2, v1
	s_waitcnt lgkmcnt(0)
	v_add_f32_e32 v1, v2, v11
	v_lshrrev_b32_e32 v11, 5, v0
	ds_bpermute_b32 v2, v10, v1
	v_lshl_add_u32 v11, v11, 2, 0
	s_waitcnt lgkmcnt(0)
	v_add_f32_e32 v1, v1, v2
	s_cbranch_vccz .LBB96_12
; %bb.11:
	s_mov_b32 s3, 0
	ds_write_b32 v11, v1
.LBB96_12:
	v_mov_b32_e32 v2, 0
	s_andn2_b32 vcc_lo, exec_lo, s3
	s_cbranch_vccnz .LBB96_14
; %bb.13:
	v_add_f32_e32 v2, v5, v4
	ds_bpermute_b32 v4, v3, v2
	s_waitcnt lgkmcnt(0)
	v_add_f32_e32 v2, v2, v4
	ds_bpermute_b32 v4, v6, v2
	s_waitcnt lgkmcnt(0)
	;; [unrolled: 3-line block ×5, first 2 shown]
	v_add_f32_e32 v2, v2, v4
	ds_write2_b32 v11, v1, v2 offset1:32
.LBB96_14:
	s_waitcnt lgkmcnt(0)
	s_barrier
	buffer_gl0_inv
	s_and_saveexec_b32 s3, s2
	s_cbranch_execz .LBB96_18
; %bb.15:
	ds_read_b32 v1, v7
	s_andn2_b32 vcc_lo, exec_lo, s1
	s_waitcnt lgkmcnt(0)
	ds_bpermute_b32 v4, v3, v1
	s_waitcnt lgkmcnt(0)
	v_add_f32_e32 v1, v1, v4
	ds_bpermute_b32 v4, v6, v1
	s_waitcnt lgkmcnt(0)
	v_add_f32_e32 v1, v1, v4
	;; [unrolled: 3-line block ×4, first 2 shown]
	ds_bpermute_b32 v4, v10, v1
	s_cbranch_vccnz .LBB96_17
; %bb.16:
	ds_read_b32 v2, v7 offset:128
	s_waitcnt lgkmcnt(0)
	ds_bpermute_b32 v3, v3, v2
	s_waitcnt lgkmcnt(0)
	v_add_f32_e32 v2, v2, v3
	ds_bpermute_b32 v3, v6, v2
	s_waitcnt lgkmcnt(0)
	v_add_f32_e32 v2, v2, v3
	;; [unrolled: 3-line block ×5, first 2 shown]
.LBB96_17:
	s_waitcnt lgkmcnt(0)
	v_add_f32_e32 v1, v1, v4
.LBB96_18:
	s_or_b32 exec_lo, exec_lo, s3
	s_barrier
	buffer_gl0_inv
	s_mov_b32 s2, exec_lo
	v_cmpx_eq_u32_e32 0, v0
	s_cbranch_execz .LBB96_42
; %bb.19:
	s_cmp_eq_u64 s[26:27], 0
	s_cselect_b32 s10, -1, 0
	s_cmp_eq_u64 s[24:25], 0
	s_cselect_b32 s2, s0, s7
	s_mul_i32 s2, s2, s30
	s_ashr_i32 s3, s2, 31
	s_and_b32 vcc_lo, exec_lo, s10
	s_cbranch_vccnz .LBB96_21
; %bb.20:
	s_cselect_b32 s7, 0, s27
	s_cselect_b32 s12, 0, s26
	s_lshl_b64 s[10:11], s[2:3], 2
	s_add_u32 s12, s12, s10
	s_addc_u32 s13, s7, s11
	s_ashr_i32 s7, s6, 31
	s_lshl_b64 s[10:11], s[6:7], 2
	s_add_u32 s10, s12, s10
	s_addc_u32 s11, s13, s11
	s_load_dword s7, s[10:11], 0x0
	s_waitcnt lgkmcnt(0)
	v_add_f32_e32 v1, s7, v1
.LBB96_21:
	s_andn2_b32 vcc_lo, exec_lo, s1
	s_cbranch_vccnz .LBB96_41
; %bb.22:
	s_cmp_lg_u64 s[38:39], 0
	s_cselect_b32 s7, -1, 0
	s_and_b32 s1, s7, s1
	s_andn2_b32 vcc_lo, exec_lo, s1
	s_cbranch_vccnz .LBB96_24
; %bb.23:
	s_and_b32 s7, s7, exec_lo
	s_cselect_b32 s7, s39, 0
	s_cselect_b32 s10, s38, 0
	s_and_b32 s1, s1, exec_lo
	s_cselect_b32 s3, s3, 0
	s_cselect_b32 s2, s2, 0
	s_lshl_b64 s[2:3], s[2:3], 2
	s_add_u32 s1, s10, s2
	s_addc_u32 s10, s7, s3
	s_ashr_i32 s7, s6, 31
	s_lshl_b64 s[2:3], s[6:7], 2
	s_add_u32 s2, s1, s2
	s_addc_u32 s3, s10, s3
	s_load_dword s1, s[2:3], 0x0
	s_waitcnt lgkmcnt(0)
	v_add_f32_e32 v2, s1, v2
.LBB96_24:
	s_cmp_lt_i32 s9, 2
	s_cbranch_scc1 .LBB96_29
; %bb.25:
	s_cmp_lt_i32 s9, 3
	s_cbranch_scc1 .LBB96_30
; %bb.26:
	v_mov_b32_e32 v0, v1
	s_cmp_eq_u32 s9, 3
	s_cbranch_scc0 .LBB96_28
; %bb.27:
	v_max_f32_e32 v0, v2, v2
	v_min_f32_e32 v0, 0x40e00000, v0
	v_mul_f32_e32 v3, 0xbfd9db23, v0
	v_mul_f32_e32 v4, 0x3fb8aa3b, v3
	v_cmp_ngt_f32_e32 vcc_lo, 0xc2ce8ed0, v3
	v_fma_f32 v5, 0x3fb8aa3b, v3, -v4
	v_rndne_f32_e32 v6, v4
	v_fmamk_f32 v5, v3, 0x32a5705f, v5
	v_sub_f32_e32 v4, v4, v6
	v_add_f32_e32 v4, v4, v5
	v_cvt_i32_f32_e32 v5, v6
	v_exp_f32_e32 v4, v4
	v_ldexp_f32 v4, v4, v5
	v_cndmask_b32_e32 v4, 0, v4, vcc_lo
	v_cmp_nlt_f32_e32 vcc_lo, 0x42b17218, v3
	v_cndmask_b32_e32 v3, 0x7f800000, v4, vcc_lo
	v_add_f32_e32 v3, 1.0, v3
	v_div_scale_f32 v4, null, v3, v3, v0
	v_div_scale_f32 v7, vcc_lo, v0, v3, v0
	v_rcp_f32_e32 v5, v4
	v_fma_f32 v6, -v4, v5, 1.0
	v_fmac_f32_e32 v5, v6, v5
	v_mul_f32_e32 v6, v7, v5
	v_fma_f32 v8, -v4, v6, v7
	v_fmac_f32_e32 v6, v8, v5
	v_max_f32_e32 v8, v1, v1
	v_fma_f32 v4, -v4, v6, v7
	v_min_f32_e32 v7, 0x40e00000, v8
	v_div_fmas_f32 v4, v4, v5, v6
	v_max_f32_e32 v5, 0xc0e00000, v7
	v_div_fixup_f32 v0, v4, v3, v0
	v_add_f32_e32 v3, 1.0, v5
	v_mul_f32_e32 v0, v3, v0
.LBB96_28:
	s_cbranch_execz .LBB96_31
	s_branch .LBB96_32
.LBB96_29:
                                        ; implicit-def: $vgpr0
	s_branch .LBB96_33
.LBB96_30:
                                        ; implicit-def: $vgpr0
.LBB96_31:
	v_mul_f32_e32 v0, 0xbfb8aa3b, v2
	v_cmp_nlt_f32_e32 vcc_lo, 0x42ce8ed0, v2
	v_rndne_f32_e32 v3, v0
	v_fma_f32 v4, 0xbfb8aa3b, v2, -v0
	v_sub_f32_e32 v0, v0, v3
	v_fmamk_f32 v4, v2, 0xb2a5705f, v4
	v_cvt_i32_f32_e32 v3, v3
	v_add_f32_e32 v0, v0, v4
	v_exp_f32_e32 v0, v0
	v_ldexp_f32 v0, v0, v3
	v_cndmask_b32_e32 v0, 0, v0, vcc_lo
	v_cmp_ngt_f32_e32 vcc_lo, 0xc2b17218, v2
	v_cndmask_b32_e32 v0, 0x7f800000, v0, vcc_lo
	v_add_f32_e32 v0, 1.0, v0
	v_div_scale_f32 v3, null, v0, v0, v2
	v_rcp_f32_e32 v4, v3
	v_fma_f32 v5, -v3, v4, 1.0
	v_fmac_f32_e32 v4, v5, v4
	v_div_scale_f32 v5, vcc_lo, v2, v0, v2
	v_mul_f32_e32 v6, v5, v4
	v_fma_f32 v7, -v3, v6, v5
	v_fmac_f32_e32 v6, v7, v4
	v_fma_f32 v3, -v3, v6, v5
	v_div_fmas_f32 v3, v3, v4, v6
	v_div_fixup_f32 v0, v3, v0, v2
	v_mul_f32_e32 v0, v1, v0
.LBB96_32:
	s_cbranch_execnz .LBB96_40
.LBB96_33:
	s_cmp_eq_u32 s9, 1
	s_cbranch_scc0 .LBB96_39
; %bb.34:
	v_mul_f32_e32 v0, 0x3d372713, v2
	v_mul_f32_e32 v3, 0x3f4c422a, v2
	v_fma_f32 v0, v2, v0, 1.0
	v_mul_f32_e32 v0, v3, v0
                                        ; implicit-def: $vgpr3
	v_cmp_ngt_f32_e64 s1, 0x3f200000, |v0|
	s_and_saveexec_b32 s2, s1
	s_xor_b32 s1, exec_lo, s2
	s_cbranch_execz .LBB96_36
; %bb.35:
	v_add_f32_e64 v3, |v0|, |v0|
	v_mul_f32_e32 v4, 0x3fb8aa3b, v3
	v_cmp_ngt_f32_e32 vcc_lo, 0xc2ce8ed0, v3
	v_rndne_f32_e32 v5, v4
	v_fma_f32 v6, 0x3fb8aa3b, v3, -v4
	v_sub_f32_e32 v4, v4, v5
	v_fmamk_f32 v6, v3, 0x32a5705f, v6
	v_cvt_i32_f32_e32 v5, v5
	v_add_f32_e32 v4, v4, v6
	v_exp_f32_e32 v4, v4
	v_ldexp_f32 v4, v4, v5
	v_cndmask_b32_e32 v4, 0, v4, vcc_lo
	v_cmp_nlt_f32_e32 vcc_lo, 0x42b17218, v3
	v_cndmask_b32_e32 v3, 0x7f800000, v4, vcc_lo
	v_add_f32_e32 v3, 1.0, v3
	v_rcp_f32_e32 v3, v3
	v_fma_f32 v3, v3, -2.0, 1.0
.LBB96_36:
	s_andn2_saveexec_b32 s1, s1
	s_cbranch_execz .LBB96_38
; %bb.37:
	v_mul_f32_e32 v3, v0, v0
	s_mov_b32 s2, 0xbbbac73d
	v_fmaak_f32 v4, s2, v3, 0x3ca908c9
	v_fmaak_f32 v4, v3, v4, 0xbd5c1c4e
	;; [unrolled: 1-line block ×4, first 2 shown]
	v_mul_f32_e64 v4, |v0|, v4
	v_fma_f32 v3, v3, v4, |v0|
.LBB96_38:
	s_or_b32 exec_lo, exec_lo, s1
	v_bfi_b32 v0, 0x7fffffff, v3, v0
	v_mul_f32_e32 v2, 0.5, v2
	v_add_f32_e32 v0, 1.0, v0
	v_mul_f32_e32 v0, v2, v0
	v_mul_f32_e32 v1, v1, v0
.LBB96_39:
	v_mov_b32_e32 v0, v1
.LBB96_40:
	v_mov_b32_e32 v1, v0
.LBB96_41:
	s_load_dwordx2 s[2:3], s[4:5], 0x38
	s_mul_i32 s0, s30, s0
	s_mul_i32 s4, s18, s8
	s_ashr_i32 s1, s0, 31
	v_mov_b32_e32 v0, 0
	s_lshl_b64 s[0:1], s[0:1], 2
	s_waitcnt lgkmcnt(0)
	s_add_u32 s2, s2, s0
	s_addc_u32 s3, s3, s1
	s_ashr_i32 s5, s4, 31
	s_lshl_b64 s[0:1], s[4:5], 2
	s_add_u32 s2, s2, s0
	s_addc_u32 s3, s3, s1
	s_ashr_i32 s7, s6, 31
	s_lshl_b64 s[0:1], s[6:7], 2
	s_add_u32 s0, s2, s0
	s_addc_u32 s1, s3, s1
	global_store_dword v0, v1, s[0:1]
.LBB96_42:
	s_endpgm
	.section	.rodata,"a",@progbits
	.p2align	6, 0x0
	.amdhsa_kernel _ZL13mul_mat_vec_fI6__halfS0_Li1ELi160ELb1ELb1EEvPKT_PKfPKi31ggml_cuda_mm_fusion_args_devicePfi15HIP_vector_typeIjLj3EEiiiSB_iiiSB_iiii
		.amdhsa_group_segment_fixed_size 0
		.amdhsa_private_segment_fixed_size 0
		.amdhsa_kernarg_size 144
		.amdhsa_user_sgpr_count 6
		.amdhsa_user_sgpr_private_segment_buffer 1
		.amdhsa_user_sgpr_dispatch_ptr 0
		.amdhsa_user_sgpr_queue_ptr 0
		.amdhsa_user_sgpr_kernarg_segment_ptr 1
		.amdhsa_user_sgpr_dispatch_id 0
		.amdhsa_user_sgpr_flat_scratch_init 0
		.amdhsa_user_sgpr_private_segment_size 0
		.amdhsa_wavefront_size32 1
		.amdhsa_uses_dynamic_stack 0
		.amdhsa_system_sgpr_private_segment_wavefront_offset 0
		.amdhsa_system_sgpr_workgroup_id_x 1
		.amdhsa_system_sgpr_workgroup_id_y 1
		.amdhsa_system_sgpr_workgroup_id_z 1
		.amdhsa_system_sgpr_workgroup_info 0
		.amdhsa_system_vgpr_workitem_id 0
		.amdhsa_next_free_vgpr 15
		.amdhsa_next_free_sgpr 40
		.amdhsa_reserve_vcc 1
		.amdhsa_reserve_flat_scratch 0
		.amdhsa_float_round_mode_32 0
		.amdhsa_float_round_mode_16_64 0
		.amdhsa_float_denorm_mode_32 3
		.amdhsa_float_denorm_mode_16_64 3
		.amdhsa_dx10_clamp 1
		.amdhsa_ieee_mode 1
		.amdhsa_fp16_overflow 0
		.amdhsa_workgroup_processor_mode 1
		.amdhsa_memory_ordered 1
		.amdhsa_forward_progress 1
		.amdhsa_shared_vgpr_count 0
		.amdhsa_exception_fp_ieee_invalid_op 0
		.amdhsa_exception_fp_denorm_src 0
		.amdhsa_exception_fp_ieee_div_zero 0
		.amdhsa_exception_fp_ieee_overflow 0
		.amdhsa_exception_fp_ieee_underflow 0
		.amdhsa_exception_fp_ieee_inexact 0
		.amdhsa_exception_int_div_zero 0
	.end_amdhsa_kernel
	.section	.text._ZL13mul_mat_vec_fI6__halfS0_Li1ELi160ELb1ELb1EEvPKT_PKfPKi31ggml_cuda_mm_fusion_args_devicePfi15HIP_vector_typeIjLj3EEiiiSB_iiiSB_iiii,"axG",@progbits,_ZL13mul_mat_vec_fI6__halfS0_Li1ELi160ELb1ELb1EEvPKT_PKfPKi31ggml_cuda_mm_fusion_args_devicePfi15HIP_vector_typeIjLj3EEiiiSB_iiiSB_iiii,comdat
.Lfunc_end96:
	.size	_ZL13mul_mat_vec_fI6__halfS0_Li1ELi160ELb1ELb1EEvPKT_PKfPKi31ggml_cuda_mm_fusion_args_devicePfi15HIP_vector_typeIjLj3EEiiiSB_iiiSB_iiii, .Lfunc_end96-_ZL13mul_mat_vec_fI6__halfS0_Li1ELi160ELb1ELb1EEvPKT_PKfPKi31ggml_cuda_mm_fusion_args_devicePfi15HIP_vector_typeIjLj3EEiiiSB_iiiSB_iiii
                                        ; -- End function
	.set _ZL13mul_mat_vec_fI6__halfS0_Li1ELi160ELb1ELb1EEvPKT_PKfPKi31ggml_cuda_mm_fusion_args_devicePfi15HIP_vector_typeIjLj3EEiiiSB_iiiSB_iiii.num_vgpr, 15
	.set _ZL13mul_mat_vec_fI6__halfS0_Li1ELi160ELb1ELb1EEvPKT_PKfPKi31ggml_cuda_mm_fusion_args_devicePfi15HIP_vector_typeIjLj3EEiiiSB_iiiSB_iiii.num_agpr, 0
	.set _ZL13mul_mat_vec_fI6__halfS0_Li1ELi160ELb1ELb1EEvPKT_PKfPKi31ggml_cuda_mm_fusion_args_devicePfi15HIP_vector_typeIjLj3EEiiiSB_iiiSB_iiii.numbered_sgpr, 40
	.set _ZL13mul_mat_vec_fI6__halfS0_Li1ELi160ELb1ELb1EEvPKT_PKfPKi31ggml_cuda_mm_fusion_args_devicePfi15HIP_vector_typeIjLj3EEiiiSB_iiiSB_iiii.num_named_barrier, 0
	.set _ZL13mul_mat_vec_fI6__halfS0_Li1ELi160ELb1ELb1EEvPKT_PKfPKi31ggml_cuda_mm_fusion_args_devicePfi15HIP_vector_typeIjLj3EEiiiSB_iiiSB_iiii.private_seg_size, 0
	.set _ZL13mul_mat_vec_fI6__halfS0_Li1ELi160ELb1ELb1EEvPKT_PKfPKi31ggml_cuda_mm_fusion_args_devicePfi15HIP_vector_typeIjLj3EEiiiSB_iiiSB_iiii.uses_vcc, 1
	.set _ZL13mul_mat_vec_fI6__halfS0_Li1ELi160ELb1ELb1EEvPKT_PKfPKi31ggml_cuda_mm_fusion_args_devicePfi15HIP_vector_typeIjLj3EEiiiSB_iiiSB_iiii.uses_flat_scratch, 0
	.set _ZL13mul_mat_vec_fI6__halfS0_Li1ELi160ELb1ELb1EEvPKT_PKfPKi31ggml_cuda_mm_fusion_args_devicePfi15HIP_vector_typeIjLj3EEiiiSB_iiiSB_iiii.has_dyn_sized_stack, 0
	.set _ZL13mul_mat_vec_fI6__halfS0_Li1ELi160ELb1ELb1EEvPKT_PKfPKi31ggml_cuda_mm_fusion_args_devicePfi15HIP_vector_typeIjLj3EEiiiSB_iiiSB_iiii.has_recursion, 0
	.set _ZL13mul_mat_vec_fI6__halfS0_Li1ELi160ELb1ELb1EEvPKT_PKfPKi31ggml_cuda_mm_fusion_args_devicePfi15HIP_vector_typeIjLj3EEiiiSB_iiiSB_iiii.has_indirect_call, 0
	.section	.AMDGPU.csdata,"",@progbits
; Kernel info:
; codeLenInByte = 2172
; TotalNumSgprs: 42
; NumVgprs: 15
; ScratchSize: 0
; MemoryBound: 0
; FloatMode: 240
; IeeeMode: 1
; LDSByteSize: 0 bytes/workgroup (compile time only)
; SGPRBlocks: 0
; VGPRBlocks: 1
; NumSGPRsForWavesPerEU: 42
; NumVGPRsForWavesPerEU: 15
; Occupancy: 16
; WaveLimiterHint : 1
; COMPUTE_PGM_RSRC2:SCRATCH_EN: 0
; COMPUTE_PGM_RSRC2:USER_SGPR: 6
; COMPUTE_PGM_RSRC2:TRAP_HANDLER: 0
; COMPUTE_PGM_RSRC2:TGID_X_EN: 1
; COMPUTE_PGM_RSRC2:TGID_Y_EN: 1
; COMPUTE_PGM_RSRC2:TGID_Z_EN: 1
; COMPUTE_PGM_RSRC2:TIDIG_COMP_CNT: 0
	.section	.text._ZL13mul_mat_vec_fI6__halfS0_Li1ELi160ELb0ELb1EEvPKT_PKfPKi31ggml_cuda_mm_fusion_args_devicePfi15HIP_vector_typeIjLj3EEiiiSB_iiiSB_iiii,"axG",@progbits,_ZL13mul_mat_vec_fI6__halfS0_Li1ELi160ELb0ELb1EEvPKT_PKfPKi31ggml_cuda_mm_fusion_args_devicePfi15HIP_vector_typeIjLj3EEiiiSB_iiiSB_iiii,comdat
	.globl	_ZL13mul_mat_vec_fI6__halfS0_Li1ELi160ELb0ELb1EEvPKT_PKfPKi31ggml_cuda_mm_fusion_args_devicePfi15HIP_vector_typeIjLj3EEiiiSB_iiiSB_iiii ; -- Begin function _ZL13mul_mat_vec_fI6__halfS0_Li1ELi160ELb0ELb1EEvPKT_PKfPKi31ggml_cuda_mm_fusion_args_devicePfi15HIP_vector_typeIjLj3EEiiiSB_iiiSB_iiii
	.p2align	8
	.type	_ZL13mul_mat_vec_fI6__halfS0_Li1ELi160ELb0ELb1EEvPKT_PKfPKi31ggml_cuda_mm_fusion_args_devicePfi15HIP_vector_typeIjLj3EEiiiSB_iiiSB_iiii,@function
_ZL13mul_mat_vec_fI6__halfS0_Li1ELi160ELb0ELb1EEvPKT_PKfPKi31ggml_cuda_mm_fusion_args_devicePfi15HIP_vector_typeIjLj3EEiiiSB_iiiSB_iiii: ; @_ZL13mul_mat_vec_fI6__halfS0_Li1ELi160ELb0ELb1EEvPKT_PKfPKi31ggml_cuda_mm_fusion_args_devicePfi15HIP_vector_typeIjLj3EEiiiSB_iiiSB_iiii
; %bb.0:
	s_clause 0x2
	s_load_dword s2, s[4:5], 0x8c
	s_load_dwordx2 s[0:1], s[4:5], 0x10
	s_load_dwordx8 s[12:19], s[4:5], 0x40
	v_cmp_gt_u32_e32 vcc_lo, 32, v0
	v_lshl_add_u32 v5, v0, 2, 0
	s_waitcnt lgkmcnt(0)
	s_mul_i32 s2, s2, s8
	s_add_i32 s2, s2, s7
	s_ashr_i32 s3, s2, 31
	s_lshl_b64 s[2:3], s[2:3], 2
	s_add_u32 s2, s0, s2
	s_addc_u32 s3, s1, s3
	s_and_saveexec_b32 s0, vcc_lo
; %bb.1:
	v_mov_b32_e32 v1, 0
	ds_write_b32 v5, v1
; %bb.2:
	s_or_b32 exec_lo, exec_lo, s0
	s_load_dwordx4 s[20:23], s[4:5], 0x68
	v_mov_b32_e32 v1, 0
	v_mov_b32_e32 v2, 0
	s_mov_b32 s9, exec_lo
	s_waitcnt lgkmcnt(0)
	s_barrier
	buffer_gl0_inv
	v_cmpx_gt_i32_e64 s12, v0
	s_cbranch_execz .LBB97_6
; %bb.3:
	s_load_dword s19, s[2:3], 0x0
	s_load_dwordx4 s[24:27], s[4:5], 0x0
	s_mul_hi_u32 s1, s13, s7
	s_mul_i32 s2, s8, s17
	s_add_i32 s1, s7, s1
	s_lshl_b32 s2, s2, 1
	s_lshr_b32 s3, s1, s14
	s_mul_i32 s0, s16, s6
	s_mul_i32 s3, s3, s15
	v_lshlrev_b32_e32 v1, 3, v0
	s_sub_i32 s10, s7, s3
	s_ashr_i32 s3, s2, 31
	s_mul_i32 s10, s10, s21
	s_ashr_i32 s1, s0, 31
	s_ashr_i32 s11, s10, 31
	s_lshl_b64 s[2:3], s[2:3], 2
	s_lshl_b64 s[10:11], s[10:11], 2
	v_lshlrev_b32_e32 v3, 2, v0
	v_mov_b32_e32 v6, 0
	v_mov_b32_e32 v7, v0
	s_waitcnt lgkmcnt(0)
	s_mul_i32 s14, s19, s20
	s_ashr_i32 s15, s14, 31
	s_add_u32 s10, s26, s10
	s_addc_u32 s11, s27, s11
	s_add_u32 s10, s10, s2
	s_addc_u32 s11, s11, s3
	s_lshl_b64 s[2:3], s[0:1], 1
	v_add_co_u32 v1, s0, s10, v1
	v_add_co_ci_u32_e64 v2, null, s11, 0, s0
	s_lshl_b64 s[10:11], s[14:15], 1
	v_add_co_u32 v1, s0, v1, 4
	v_add_co_ci_u32_e64 v2, null, 0, v2, s0
	s_add_u32 s0, s24, s10
	s_addc_u32 s1, s25, s11
	s_add_u32 s0, s0, s2
	s_addc_u32 s1, s1, s3
	v_add_co_u32 v3, s0, s0, v3
	v_add_co_ci_u32_e64 v4, null, s1, 0, s0
	s_mov_b32 s2, 0
	.p2align	6
.LBB97_4:                               ; =>This Inner Loop Header: Depth=1
	global_load_dwordx2 v[8:9], v[1:2], off offset:-4
	global_load_dword v10, v[3:4], off
	v_add_nc_u32_e32 v7, 0xa0, v7
	v_add_co_u32 v1, s0, 0x500, v1
	v_add_co_ci_u32_e64 v2, null, 0, v2, s0
	v_add_co_u32 v3, s0, 0x280, v3
	v_cmp_le_i32_e64 s1, s12, v7
	v_add_co_ci_u32_e64 v4, null, 0, v4, s0
	s_or_b32 s2, s1, s2
	s_waitcnt vmcnt(1)
	v_cvt_f16_f32_e32 v8, v8
	v_cvt_f16_f32_e32 v9, v9
	v_pack_b32_f16 v8, v8, v9
	s_waitcnt vmcnt(0)
	v_pk_fma_f16 v6, v10, v8, v6
	s_andn2_b32 exec_lo, exec_lo, s2
	s_cbranch_execnz .LBB97_4
; %bb.5:
	s_or_b32 exec_lo, exec_lo, s2
	v_cvt_f32_f16_sdwa v1, v6 dst_sel:DWORD dst_unused:UNUSED_PAD src0_sel:WORD_1
	v_cvt_f32_f16_e32 v2, v6
.LBB97_6:
	s_or_b32 exec_lo, exec_lo, s9
	v_mbcnt_lo_u32_b32 v7, -1, 0
	v_add_f32_e32 v2, v2, v1
	v_xor_b32_e32 v3, 16, v7
	v_xor_b32_e32 v9, 1, v7
	v_cmp_gt_i32_e64 s0, 32, v3
	v_cndmask_b32_e64 v3, v7, v3, s0
	v_lshlrev_b32_e32 v1, 2, v3
	v_xor_b32_e32 v3, 8, v7
	ds_bpermute_b32 v4, v1, v2
	v_cmp_gt_i32_e64 s0, 32, v3
	v_cndmask_b32_e64 v3, v7, v3, s0
	v_lshlrev_b32_e32 v3, 2, v3
	s_waitcnt lgkmcnt(0)
	v_add_f32_e32 v2, v2, v4
	v_xor_b32_e32 v4, 4, v7
	ds_bpermute_b32 v6, v3, v2
	v_cmp_gt_i32_e64 s0, 32, v4
	v_cndmask_b32_e64 v4, v7, v4, s0
	v_lshlrev_b32_e32 v4, 2, v4
	s_waitcnt lgkmcnt(0)
	v_add_f32_e32 v2, v2, v6
	v_xor_b32_e32 v6, 2, v7
	ds_bpermute_b32 v8, v4, v2
	v_cmp_gt_i32_e64 s0, 32, v6
	v_cndmask_b32_e64 v6, v7, v6, s0
	v_cmp_gt_i32_e64 s0, 32, v9
	v_lshlrev_b32_e32 v6, 2, v6
	v_cndmask_b32_e64 v7, v7, v9, s0
	v_lshrrev_b32_e32 v9, 3, v0
	v_lshlrev_b32_e32 v7, 2, v7
	v_and_b32_e32 v9, 0x7c, v9
	s_waitcnt lgkmcnt(0)
	v_add_f32_e32 v2, v2, v8
	v_add_nc_u32_e32 v9, 0, v9
	ds_bpermute_b32 v8, v6, v2
	s_waitcnt lgkmcnt(0)
	v_add_f32_e32 v2, v2, v8
	ds_bpermute_b32 v8, v7, v2
	s_waitcnt lgkmcnt(0)
	v_add_f32_e32 v2, v2, v8
	ds_write_b32 v9, v2
	s_waitcnt lgkmcnt(0)
	s_barrier
	buffer_gl0_inv
	s_and_saveexec_b32 s0, vcc_lo
	s_cbranch_execz .LBB97_8
; %bb.7:
	ds_read_b32 v2, v5
	s_waitcnt lgkmcnt(0)
	ds_bpermute_b32 v1, v1, v2
	s_waitcnt lgkmcnt(0)
	v_add_f32_e32 v1, v2, v1
	ds_bpermute_b32 v2, v3, v1
	s_waitcnt lgkmcnt(0)
	v_add_f32_e32 v1, v1, v2
	ds_bpermute_b32 v2, v4, v1
	s_waitcnt lgkmcnt(0)
	v_add_f32_e32 v1, v1, v2
	ds_bpermute_b32 v2, v6, v1
	s_waitcnt lgkmcnt(0)
	v_add_f32_e32 v1, v1, v2
	ds_bpermute_b32 v2, v7, v1
	s_waitcnt lgkmcnt(0)
	v_add_f32_e32 v2, v1, v2
.LBB97_8:
	s_or_b32 exec_lo, exec_lo, s0
	s_barrier
	buffer_gl0_inv
	s_mov_b32 s0, exec_lo
	v_cmpx_eq_u32_e32 0, v0
	s_cbranch_execz .LBB97_10
; %bb.9:
	s_load_dwordx2 s[0:1], s[4:5], 0x38
	s_mul_i32 s2, s22, s7
	s_mul_i32 s4, s18, s8
	s_ashr_i32 s3, s2, 31
	v_mov_b32_e32 v0, 0
	s_lshl_b64 s[2:3], s[2:3], 2
	s_waitcnt lgkmcnt(0)
	s_add_u32 s2, s0, s2
	s_addc_u32 s3, s1, s3
	s_ashr_i32 s5, s4, 31
	s_lshl_b64 s[0:1], s[4:5], 2
	s_add_u32 s2, s2, s0
	s_addc_u32 s3, s3, s1
	s_ashr_i32 s7, s6, 31
	s_lshl_b64 s[0:1], s[6:7], 2
	s_add_u32 s0, s2, s0
	s_addc_u32 s1, s3, s1
	global_store_dword v0, v2, s[0:1]
.LBB97_10:
	s_endpgm
	.section	.rodata,"a",@progbits
	.p2align	6, 0x0
	.amdhsa_kernel _ZL13mul_mat_vec_fI6__halfS0_Li1ELi160ELb0ELb1EEvPKT_PKfPKi31ggml_cuda_mm_fusion_args_devicePfi15HIP_vector_typeIjLj3EEiiiSB_iiiSB_iiii
		.amdhsa_group_segment_fixed_size 0
		.amdhsa_private_segment_fixed_size 0
		.amdhsa_kernarg_size 144
		.amdhsa_user_sgpr_count 6
		.amdhsa_user_sgpr_private_segment_buffer 1
		.amdhsa_user_sgpr_dispatch_ptr 0
		.amdhsa_user_sgpr_queue_ptr 0
		.amdhsa_user_sgpr_kernarg_segment_ptr 1
		.amdhsa_user_sgpr_dispatch_id 0
		.amdhsa_user_sgpr_flat_scratch_init 0
		.amdhsa_user_sgpr_private_segment_size 0
		.amdhsa_wavefront_size32 1
		.amdhsa_uses_dynamic_stack 0
		.amdhsa_system_sgpr_private_segment_wavefront_offset 0
		.amdhsa_system_sgpr_workgroup_id_x 1
		.amdhsa_system_sgpr_workgroup_id_y 1
		.amdhsa_system_sgpr_workgroup_id_z 1
		.amdhsa_system_sgpr_workgroup_info 0
		.amdhsa_system_vgpr_workitem_id 0
		.amdhsa_next_free_vgpr 11
		.amdhsa_next_free_sgpr 28
		.amdhsa_reserve_vcc 1
		.amdhsa_reserve_flat_scratch 0
		.amdhsa_float_round_mode_32 0
		.amdhsa_float_round_mode_16_64 0
		.amdhsa_float_denorm_mode_32 3
		.amdhsa_float_denorm_mode_16_64 3
		.amdhsa_dx10_clamp 1
		.amdhsa_ieee_mode 1
		.amdhsa_fp16_overflow 0
		.amdhsa_workgroup_processor_mode 1
		.amdhsa_memory_ordered 1
		.amdhsa_forward_progress 1
		.amdhsa_shared_vgpr_count 0
		.amdhsa_exception_fp_ieee_invalid_op 0
		.amdhsa_exception_fp_denorm_src 0
		.amdhsa_exception_fp_ieee_div_zero 0
		.amdhsa_exception_fp_ieee_overflow 0
		.amdhsa_exception_fp_ieee_underflow 0
		.amdhsa_exception_fp_ieee_inexact 0
		.amdhsa_exception_int_div_zero 0
	.end_amdhsa_kernel
	.section	.text._ZL13mul_mat_vec_fI6__halfS0_Li1ELi160ELb0ELb1EEvPKT_PKfPKi31ggml_cuda_mm_fusion_args_devicePfi15HIP_vector_typeIjLj3EEiiiSB_iiiSB_iiii,"axG",@progbits,_ZL13mul_mat_vec_fI6__halfS0_Li1ELi160ELb0ELb1EEvPKT_PKfPKi31ggml_cuda_mm_fusion_args_devicePfi15HIP_vector_typeIjLj3EEiiiSB_iiiSB_iiii,comdat
.Lfunc_end97:
	.size	_ZL13mul_mat_vec_fI6__halfS0_Li1ELi160ELb0ELb1EEvPKT_PKfPKi31ggml_cuda_mm_fusion_args_devicePfi15HIP_vector_typeIjLj3EEiiiSB_iiiSB_iiii, .Lfunc_end97-_ZL13mul_mat_vec_fI6__halfS0_Li1ELi160ELb0ELb1EEvPKT_PKfPKi31ggml_cuda_mm_fusion_args_devicePfi15HIP_vector_typeIjLj3EEiiiSB_iiiSB_iiii
                                        ; -- End function
	.set _ZL13mul_mat_vec_fI6__halfS0_Li1ELi160ELb0ELb1EEvPKT_PKfPKi31ggml_cuda_mm_fusion_args_devicePfi15HIP_vector_typeIjLj3EEiiiSB_iiiSB_iiii.num_vgpr, 11
	.set _ZL13mul_mat_vec_fI6__halfS0_Li1ELi160ELb0ELb1EEvPKT_PKfPKi31ggml_cuda_mm_fusion_args_devicePfi15HIP_vector_typeIjLj3EEiiiSB_iiiSB_iiii.num_agpr, 0
	.set _ZL13mul_mat_vec_fI6__halfS0_Li1ELi160ELb0ELb1EEvPKT_PKfPKi31ggml_cuda_mm_fusion_args_devicePfi15HIP_vector_typeIjLj3EEiiiSB_iiiSB_iiii.numbered_sgpr, 28
	.set _ZL13mul_mat_vec_fI6__halfS0_Li1ELi160ELb0ELb1EEvPKT_PKfPKi31ggml_cuda_mm_fusion_args_devicePfi15HIP_vector_typeIjLj3EEiiiSB_iiiSB_iiii.num_named_barrier, 0
	.set _ZL13mul_mat_vec_fI6__halfS0_Li1ELi160ELb0ELb1EEvPKT_PKfPKi31ggml_cuda_mm_fusion_args_devicePfi15HIP_vector_typeIjLj3EEiiiSB_iiiSB_iiii.private_seg_size, 0
	.set _ZL13mul_mat_vec_fI6__halfS0_Li1ELi160ELb0ELb1EEvPKT_PKfPKi31ggml_cuda_mm_fusion_args_devicePfi15HIP_vector_typeIjLj3EEiiiSB_iiiSB_iiii.uses_vcc, 1
	.set _ZL13mul_mat_vec_fI6__halfS0_Li1ELi160ELb0ELb1EEvPKT_PKfPKi31ggml_cuda_mm_fusion_args_devicePfi15HIP_vector_typeIjLj3EEiiiSB_iiiSB_iiii.uses_flat_scratch, 0
	.set _ZL13mul_mat_vec_fI6__halfS0_Li1ELi160ELb0ELb1EEvPKT_PKfPKi31ggml_cuda_mm_fusion_args_devicePfi15HIP_vector_typeIjLj3EEiiiSB_iiiSB_iiii.has_dyn_sized_stack, 0
	.set _ZL13mul_mat_vec_fI6__halfS0_Li1ELi160ELb0ELb1EEvPKT_PKfPKi31ggml_cuda_mm_fusion_args_devicePfi15HIP_vector_typeIjLj3EEiiiSB_iiiSB_iiii.has_recursion, 0
	.set _ZL13mul_mat_vec_fI6__halfS0_Li1ELi160ELb0ELb1EEvPKT_PKfPKi31ggml_cuda_mm_fusion_args_devicePfi15HIP_vector_typeIjLj3EEiiiSB_iiiSB_iiii.has_indirect_call, 0
	.section	.AMDGPU.csdata,"",@progbits
; Kernel info:
; codeLenInByte = 984
; TotalNumSgprs: 30
; NumVgprs: 11
; ScratchSize: 0
; MemoryBound: 0
; FloatMode: 240
; IeeeMode: 1
; LDSByteSize: 0 bytes/workgroup (compile time only)
; SGPRBlocks: 0
; VGPRBlocks: 1
; NumSGPRsForWavesPerEU: 30
; NumVGPRsForWavesPerEU: 11
; Occupancy: 16
; WaveLimiterHint : 1
; COMPUTE_PGM_RSRC2:SCRATCH_EN: 0
; COMPUTE_PGM_RSRC2:USER_SGPR: 6
; COMPUTE_PGM_RSRC2:TRAP_HANDLER: 0
; COMPUTE_PGM_RSRC2:TGID_X_EN: 1
; COMPUTE_PGM_RSRC2:TGID_Y_EN: 1
; COMPUTE_PGM_RSRC2:TGID_Z_EN: 1
; COMPUTE_PGM_RSRC2:TIDIG_COMP_CNT: 0
	.section	.text._ZL13mul_mat_vec_fI6__halfS0_Li1ELi192ELb1ELb1EEvPKT_PKfPKi31ggml_cuda_mm_fusion_args_devicePfi15HIP_vector_typeIjLj3EEiiiSB_iiiSB_iiii,"axG",@progbits,_ZL13mul_mat_vec_fI6__halfS0_Li1ELi192ELb1ELb1EEvPKT_PKfPKi31ggml_cuda_mm_fusion_args_devicePfi15HIP_vector_typeIjLj3EEiiiSB_iiiSB_iiii,comdat
	.globl	_ZL13mul_mat_vec_fI6__halfS0_Li1ELi192ELb1ELb1EEvPKT_PKfPKi31ggml_cuda_mm_fusion_args_devicePfi15HIP_vector_typeIjLj3EEiiiSB_iiiSB_iiii ; -- Begin function _ZL13mul_mat_vec_fI6__halfS0_Li1ELi192ELb1ELb1EEvPKT_PKfPKi31ggml_cuda_mm_fusion_args_devicePfi15HIP_vector_typeIjLj3EEiiiSB_iiiSB_iiii
	.p2align	8
	.type	_ZL13mul_mat_vec_fI6__halfS0_Li1ELi192ELb1ELb1EEvPKT_PKfPKi31ggml_cuda_mm_fusion_args_devicePfi15HIP_vector_typeIjLj3EEiiiSB_iiiSB_iiii,@function
_ZL13mul_mat_vec_fI6__halfS0_Li1ELi192ELb1ELb1EEvPKT_PKfPKi31ggml_cuda_mm_fusion_args_devicePfi15HIP_vector_typeIjLj3EEiiiSB_iiiSB_iiii: ; @_ZL13mul_mat_vec_fI6__halfS0_Li1ELi192ELb1ELb1EEvPKT_PKfPKi31ggml_cuda_mm_fusion_args_devicePfi15HIP_vector_typeIjLj3EEiiiSB_iiiSB_iiii
; %bb.0:
	s_clause 0x3
	s_load_dword s1, s[4:5], 0x8c
	s_load_dwordx8 s[20:27], s[4:5], 0x0
	s_load_dwordx4 s[36:39], s[4:5], 0x20
	s_load_dwordx8 s[12:19], s[4:5], 0x40
	v_lshl_add_u32 v7, v0, 2, 0
	s_mov_b32 s0, s7
	s_waitcnt lgkmcnt(0)
	s_mul_i32 s1, s1, s8
	s_add_i32 s2, s1, s7
	s_ashr_i32 s3, s2, 31
	s_lshl_b64 s[2:3], s[2:3], 2
	s_add_u32 s10, s24, s2
	s_addc_u32 s11, s25, s3
	s_cmp_lg_u64 s[36:37], 0
	v_cmp_gt_u32_e64 s2, 32, v0
	s_cselect_b32 s1, -1, 0
	s_cmp_eq_u64 s[36:37], 0
	s_cselect_b32 s19, -1, 0
	s_and_saveexec_b32 s3, s2
	s_cbranch_execz .LBB98_3
; %bb.1:
	v_mov_b32_e32 v1, 0
	s_andn2_b32 vcc_lo, exec_lo, s1
	ds_write_b32 v7, v1
	s_cbranch_vccnz .LBB98_3
; %bb.2:
	ds_write_b32 v7, v1 offset:128
.LBB98_3:
	s_or_b32 exec_lo, exec_lo, s3
	s_load_dword s7, s[10:11], 0x0
	s_load_dwordx4 s[28:31], s[4:5], 0x68
	v_mov_b32_e32 v8, 0
	v_mov_b32_e32 v4, 0
	;; [unrolled: 1-line block ×3, first 2 shown]
	s_mov_b32 s10, 0
	s_mov_b32 s9, exec_lo
	s_waitcnt lgkmcnt(0)
	s_barrier
	buffer_gl0_inv
	v_cmpx_gt_i32_e64 s12, v0
	s_cbranch_execz .LBB98_10
; %bb.4:
	s_mul_hi_u32 s3, s13, s0
	s_mul_i32 s11, s7, s28
	s_add_i32 s3, s0, s3
	s_mul_i32 s13, s16, s6
	s_lshr_b32 s3, s3, s14
	s_ashr_i32 s16, s11, 31
	s_mul_i32 s3, s3, s15
	s_ashr_i32 s15, s13, 31
	s_sub_i32 s3, s0, s3
	s_add_u32 s14, s11, s13
	s_mul_i32 s11, s8, s17
	s_addc_u32 s15, s16, s15
	s_mul_i32 s16, s3, s29
	s_lshl_b32 s28, s11, 1
	s_ashr_i32 s17, s16, 31
	s_ashr_i32 s29, s28, 31
	s_and_b32 s3, s1, exec_lo
	s_cselect_b32 s35, s15, 0
	s_cselect_b32 s34, s14, 0
	v_lshlrev_b32_e32 v5, 2, v0
	s_cselect_b32 s3, s37, 0
	s_cselect_b32 s11, s36, 0
	s_lshl_b64 s[34:35], s[34:35], 1
	v_lshlrev_b32_e32 v3, 3, v0
	s_add_u32 s11, s11, s34
	s_addc_u32 s3, s3, s35
	v_add_co_u32 v1, s11, s11, v5
	s_lshl_b64 s[16:17], s[16:17], 2
	s_lshl_b64 s[28:29], s[28:29], 2
	v_add_co_ci_u32_e64 v2, null, s3, 0, s11
	s_add_u32 s3, s22, s16
	s_addc_u32 s11, s23, s17
	s_add_u32 s3, s3, s28
	s_addc_u32 s11, s11, s29
	v_add_co_u32 v3, s3, s3, v3
	s_lshl_b64 s[14:15], s[14:15], 1
	v_add_co_ci_u32_e64 v4, null, s11, 0, s3
	s_add_u32 s3, s20, s14
	v_add_co_u32 v3, vcc_lo, v3, 4
	s_addc_u32 s11, s21, s15
	v_add_co_u32 v5, s3, s3, v5
	v_add_co_ci_u32_e64 v4, null, 0, v4, vcc_lo
	v_add_co_ci_u32_e64 v6, null, s11, 0, s3
	v_mov_b32_e32 v8, 0
	v_mov_b32_e32 v10, v0
	;; [unrolled: 1-line block ×3, first 2 shown]
	s_inst_prefetch 0x1
	s_branch .LBB98_7
	.p2align	6
.LBB98_5:                               ;   in Loop: Header=BB98_7 Depth=1
	global_load_dword v12, v[1:2], off
.LBB98_6:                               ;   in Loop: Header=BB98_7 Depth=1
	global_load_dwordx2 v[13:14], v[3:4], off offset:-4
	v_add_nc_u32_e32 v10, 0xc0, v10
	v_add_co_u32 v1, vcc_lo, 0x300, v1
	v_add_co_ci_u32_e64 v2, null, 0, v2, vcc_lo
	v_add_co_u32 v3, vcc_lo, 0x600, v3
	v_add_co_ci_u32_e64 v4, null, 0, v4, vcc_lo
	v_cmp_le_i32_e32 vcc_lo, s12, v10
	v_add_co_u32 v5, s3, 0x300, v5
	v_add_co_ci_u32_e64 v6, null, 0, v6, s3
	s_or_b32 s10, vcc_lo, s10
	s_waitcnt vmcnt(0)
	v_cvt_f16_f32_e32 v13, v13
	v_cvt_f16_f32_e32 v14, v14
	v_pack_b32_f16 v13, v13, v14
	v_pk_fma_f16 v12, v12, v13, v9
	v_pk_fma_f16 v8, v11, v13, v8
	v_cndmask_b32_e64 v9, v9, v12, s1
	s_andn2_b32 exec_lo, exec_lo, s10
	s_cbranch_execz .LBB98_9
.LBB98_7:                               ; =>This Inner Loop Header: Depth=1
	global_load_dword v11, v[5:6], off
	s_andn2_b32 vcc_lo, exec_lo, s1
	s_cbranch_vccz .LBB98_5
; %bb.8:                                ;   in Loop: Header=BB98_7 Depth=1
	v_mov_b32_e32 v12, 0
	s_branch .LBB98_6
.LBB98_9:
	s_inst_prefetch 0x2
	s_or_b32 exec_lo, exec_lo, s10
	v_cvt_f32_f16_sdwa v4, v9 dst_sel:DWORD dst_unused:UNUSED_PAD src0_sel:WORD_1
	v_cvt_f32_f16_e32 v5, v9
.LBB98_10:
	s_or_b32 exec_lo, exec_lo, s9
	v_mbcnt_lo_u32_b32 v1, -1, 0
	v_cvt_f32_f16_e32 v3, v8
	v_cvt_f32_f16_sdwa v6, v8 dst_sel:DWORD dst_unused:UNUSED_PAD src0_sel:WORD_1
	s_load_dword s9, s[4:5], 0x30
	s_mov_b32 s3, -1
	v_xor_b32_e32 v2, 16, v1
	v_add_f32_e32 v8, v3, v6
	v_xor_b32_e32 v6, 8, v1
	v_cmp_gt_i32_e32 vcc_lo, 32, v2
	v_cndmask_b32_e32 v2, v1, v2, vcc_lo
	v_cmp_gt_i32_e32 vcc_lo, 32, v6
	v_lshlrev_b32_e32 v3, 2, v2
	v_cndmask_b32_e32 v6, v1, v6, vcc_lo
	ds_bpermute_b32 v2, v3, v8
	v_lshlrev_b32_e32 v6, 2, v6
	s_waitcnt lgkmcnt(0)
	v_add_f32_e32 v2, v8, v2
	v_xor_b32_e32 v8, 4, v1
	ds_bpermute_b32 v9, v6, v2
	v_cmp_gt_i32_e32 vcc_lo, 32, v8
	v_cndmask_b32_e32 v8, v1, v8, vcc_lo
	v_lshlrev_b32_e32 v8, 2, v8
	s_waitcnt lgkmcnt(0)
	v_add_f32_e32 v2, v2, v9
	v_xor_b32_e32 v9, 2, v1
	ds_bpermute_b32 v10, v8, v2
	v_cmp_gt_i32_e32 vcc_lo, 32, v9
	v_cndmask_b32_e32 v9, v1, v9, vcc_lo
	;; [unrolled: 7-line block ×3, first 2 shown]
	s_and_b32 vcc_lo, exec_lo, s19
	v_lshlrev_b32_e32 v10, 2, v1
	s_waitcnt lgkmcnt(0)
	v_add_f32_e32 v1, v2, v11
	v_lshrrev_b32_e32 v11, 5, v0
	ds_bpermute_b32 v2, v10, v1
	v_lshl_add_u32 v11, v11, 2, 0
	s_waitcnt lgkmcnt(0)
	v_add_f32_e32 v1, v1, v2
	s_cbranch_vccz .LBB98_12
; %bb.11:
	s_mov_b32 s3, 0
	ds_write_b32 v11, v1
.LBB98_12:
	v_mov_b32_e32 v2, 0
	s_andn2_b32 vcc_lo, exec_lo, s3
	s_cbranch_vccnz .LBB98_14
; %bb.13:
	v_add_f32_e32 v2, v5, v4
	ds_bpermute_b32 v4, v3, v2
	s_waitcnt lgkmcnt(0)
	v_add_f32_e32 v2, v2, v4
	ds_bpermute_b32 v4, v6, v2
	s_waitcnt lgkmcnt(0)
	;; [unrolled: 3-line block ×5, first 2 shown]
	v_add_f32_e32 v2, v2, v4
	ds_write2_b32 v11, v1, v2 offset1:32
.LBB98_14:
	s_waitcnt lgkmcnt(0)
	s_barrier
	buffer_gl0_inv
	s_and_saveexec_b32 s3, s2
	s_cbranch_execz .LBB98_18
; %bb.15:
	ds_read_b32 v1, v7
	s_andn2_b32 vcc_lo, exec_lo, s1
	s_waitcnt lgkmcnt(0)
	ds_bpermute_b32 v4, v3, v1
	s_waitcnt lgkmcnt(0)
	v_add_f32_e32 v1, v1, v4
	ds_bpermute_b32 v4, v6, v1
	s_waitcnt lgkmcnt(0)
	v_add_f32_e32 v1, v1, v4
	;; [unrolled: 3-line block ×4, first 2 shown]
	ds_bpermute_b32 v4, v10, v1
	s_cbranch_vccnz .LBB98_17
; %bb.16:
	ds_read_b32 v2, v7 offset:128
	s_waitcnt lgkmcnt(0)
	ds_bpermute_b32 v3, v3, v2
	s_waitcnt lgkmcnt(0)
	v_add_f32_e32 v2, v2, v3
	ds_bpermute_b32 v3, v6, v2
	s_waitcnt lgkmcnt(0)
	v_add_f32_e32 v2, v2, v3
	;; [unrolled: 3-line block ×5, first 2 shown]
.LBB98_17:
	s_waitcnt lgkmcnt(0)
	v_add_f32_e32 v1, v1, v4
.LBB98_18:
	s_or_b32 exec_lo, exec_lo, s3
	s_barrier
	buffer_gl0_inv
	s_mov_b32 s2, exec_lo
	v_cmpx_eq_u32_e32 0, v0
	s_cbranch_execz .LBB98_42
; %bb.19:
	s_cmp_eq_u64 s[26:27], 0
	s_cselect_b32 s10, -1, 0
	s_cmp_eq_u64 s[24:25], 0
	s_cselect_b32 s2, s0, s7
	s_mul_i32 s2, s2, s30
	s_ashr_i32 s3, s2, 31
	s_and_b32 vcc_lo, exec_lo, s10
	s_cbranch_vccnz .LBB98_21
; %bb.20:
	s_cselect_b32 s7, 0, s27
	s_cselect_b32 s12, 0, s26
	s_lshl_b64 s[10:11], s[2:3], 2
	s_add_u32 s12, s12, s10
	s_addc_u32 s13, s7, s11
	s_ashr_i32 s7, s6, 31
	s_lshl_b64 s[10:11], s[6:7], 2
	s_add_u32 s10, s12, s10
	s_addc_u32 s11, s13, s11
	s_load_dword s7, s[10:11], 0x0
	s_waitcnt lgkmcnt(0)
	v_add_f32_e32 v1, s7, v1
.LBB98_21:
	s_andn2_b32 vcc_lo, exec_lo, s1
	s_cbranch_vccnz .LBB98_41
; %bb.22:
	s_cmp_lg_u64 s[38:39], 0
	s_cselect_b32 s7, -1, 0
	s_and_b32 s1, s7, s1
	s_andn2_b32 vcc_lo, exec_lo, s1
	s_cbranch_vccnz .LBB98_24
; %bb.23:
	s_and_b32 s7, s7, exec_lo
	s_cselect_b32 s7, s39, 0
	s_cselect_b32 s10, s38, 0
	s_and_b32 s1, s1, exec_lo
	s_cselect_b32 s3, s3, 0
	s_cselect_b32 s2, s2, 0
	s_lshl_b64 s[2:3], s[2:3], 2
	s_add_u32 s1, s10, s2
	s_addc_u32 s10, s7, s3
	s_ashr_i32 s7, s6, 31
	s_lshl_b64 s[2:3], s[6:7], 2
	s_add_u32 s2, s1, s2
	s_addc_u32 s3, s10, s3
	s_load_dword s1, s[2:3], 0x0
	s_waitcnt lgkmcnt(0)
	v_add_f32_e32 v2, s1, v2
.LBB98_24:
	s_cmp_lt_i32 s9, 2
	s_cbranch_scc1 .LBB98_29
; %bb.25:
	s_cmp_lt_i32 s9, 3
	s_cbranch_scc1 .LBB98_30
; %bb.26:
	v_mov_b32_e32 v0, v1
	s_cmp_eq_u32 s9, 3
	s_cbranch_scc0 .LBB98_28
; %bb.27:
	v_max_f32_e32 v0, v2, v2
	v_min_f32_e32 v0, 0x40e00000, v0
	v_mul_f32_e32 v3, 0xbfd9db23, v0
	v_mul_f32_e32 v4, 0x3fb8aa3b, v3
	v_cmp_ngt_f32_e32 vcc_lo, 0xc2ce8ed0, v3
	v_fma_f32 v5, 0x3fb8aa3b, v3, -v4
	v_rndne_f32_e32 v6, v4
	v_fmamk_f32 v5, v3, 0x32a5705f, v5
	v_sub_f32_e32 v4, v4, v6
	v_add_f32_e32 v4, v4, v5
	v_cvt_i32_f32_e32 v5, v6
	v_exp_f32_e32 v4, v4
	v_ldexp_f32 v4, v4, v5
	v_cndmask_b32_e32 v4, 0, v4, vcc_lo
	v_cmp_nlt_f32_e32 vcc_lo, 0x42b17218, v3
	v_cndmask_b32_e32 v3, 0x7f800000, v4, vcc_lo
	v_add_f32_e32 v3, 1.0, v3
	v_div_scale_f32 v4, null, v3, v3, v0
	v_div_scale_f32 v7, vcc_lo, v0, v3, v0
	v_rcp_f32_e32 v5, v4
	v_fma_f32 v6, -v4, v5, 1.0
	v_fmac_f32_e32 v5, v6, v5
	v_mul_f32_e32 v6, v7, v5
	v_fma_f32 v8, -v4, v6, v7
	v_fmac_f32_e32 v6, v8, v5
	v_max_f32_e32 v8, v1, v1
	v_fma_f32 v4, -v4, v6, v7
	v_min_f32_e32 v7, 0x40e00000, v8
	v_div_fmas_f32 v4, v4, v5, v6
	v_max_f32_e32 v5, 0xc0e00000, v7
	v_div_fixup_f32 v0, v4, v3, v0
	v_add_f32_e32 v3, 1.0, v5
	v_mul_f32_e32 v0, v3, v0
.LBB98_28:
	s_cbranch_execz .LBB98_31
	s_branch .LBB98_32
.LBB98_29:
                                        ; implicit-def: $vgpr0
	s_branch .LBB98_33
.LBB98_30:
                                        ; implicit-def: $vgpr0
.LBB98_31:
	v_mul_f32_e32 v0, 0xbfb8aa3b, v2
	v_cmp_nlt_f32_e32 vcc_lo, 0x42ce8ed0, v2
	v_rndne_f32_e32 v3, v0
	v_fma_f32 v4, 0xbfb8aa3b, v2, -v0
	v_sub_f32_e32 v0, v0, v3
	v_fmamk_f32 v4, v2, 0xb2a5705f, v4
	v_cvt_i32_f32_e32 v3, v3
	v_add_f32_e32 v0, v0, v4
	v_exp_f32_e32 v0, v0
	v_ldexp_f32 v0, v0, v3
	v_cndmask_b32_e32 v0, 0, v0, vcc_lo
	v_cmp_ngt_f32_e32 vcc_lo, 0xc2b17218, v2
	v_cndmask_b32_e32 v0, 0x7f800000, v0, vcc_lo
	v_add_f32_e32 v0, 1.0, v0
	v_div_scale_f32 v3, null, v0, v0, v2
	v_rcp_f32_e32 v4, v3
	v_fma_f32 v5, -v3, v4, 1.0
	v_fmac_f32_e32 v4, v5, v4
	v_div_scale_f32 v5, vcc_lo, v2, v0, v2
	v_mul_f32_e32 v6, v5, v4
	v_fma_f32 v7, -v3, v6, v5
	v_fmac_f32_e32 v6, v7, v4
	v_fma_f32 v3, -v3, v6, v5
	v_div_fmas_f32 v3, v3, v4, v6
	v_div_fixup_f32 v0, v3, v0, v2
	v_mul_f32_e32 v0, v1, v0
.LBB98_32:
	s_cbranch_execnz .LBB98_40
.LBB98_33:
	s_cmp_eq_u32 s9, 1
	s_cbranch_scc0 .LBB98_39
; %bb.34:
	v_mul_f32_e32 v0, 0x3d372713, v2
	v_mul_f32_e32 v3, 0x3f4c422a, v2
	v_fma_f32 v0, v2, v0, 1.0
	v_mul_f32_e32 v0, v3, v0
                                        ; implicit-def: $vgpr3
	v_cmp_ngt_f32_e64 s1, 0x3f200000, |v0|
	s_and_saveexec_b32 s2, s1
	s_xor_b32 s1, exec_lo, s2
	s_cbranch_execz .LBB98_36
; %bb.35:
	v_add_f32_e64 v3, |v0|, |v0|
	v_mul_f32_e32 v4, 0x3fb8aa3b, v3
	v_cmp_ngt_f32_e32 vcc_lo, 0xc2ce8ed0, v3
	v_rndne_f32_e32 v5, v4
	v_fma_f32 v6, 0x3fb8aa3b, v3, -v4
	v_sub_f32_e32 v4, v4, v5
	v_fmamk_f32 v6, v3, 0x32a5705f, v6
	v_cvt_i32_f32_e32 v5, v5
	v_add_f32_e32 v4, v4, v6
	v_exp_f32_e32 v4, v4
	v_ldexp_f32 v4, v4, v5
	v_cndmask_b32_e32 v4, 0, v4, vcc_lo
	v_cmp_nlt_f32_e32 vcc_lo, 0x42b17218, v3
	v_cndmask_b32_e32 v3, 0x7f800000, v4, vcc_lo
	v_add_f32_e32 v3, 1.0, v3
	v_rcp_f32_e32 v3, v3
	v_fma_f32 v3, v3, -2.0, 1.0
.LBB98_36:
	s_andn2_saveexec_b32 s1, s1
	s_cbranch_execz .LBB98_38
; %bb.37:
	v_mul_f32_e32 v3, v0, v0
	s_mov_b32 s2, 0xbbbac73d
	v_fmaak_f32 v4, s2, v3, 0x3ca908c9
	v_fmaak_f32 v4, v3, v4, 0xbd5c1c4e
	;; [unrolled: 1-line block ×4, first 2 shown]
	v_mul_f32_e64 v4, |v0|, v4
	v_fma_f32 v3, v3, v4, |v0|
.LBB98_38:
	s_or_b32 exec_lo, exec_lo, s1
	v_bfi_b32 v0, 0x7fffffff, v3, v0
	v_mul_f32_e32 v2, 0.5, v2
	v_add_f32_e32 v0, 1.0, v0
	v_mul_f32_e32 v0, v2, v0
	v_mul_f32_e32 v1, v1, v0
.LBB98_39:
	v_mov_b32_e32 v0, v1
.LBB98_40:
	v_mov_b32_e32 v1, v0
.LBB98_41:
	s_load_dwordx2 s[2:3], s[4:5], 0x38
	s_mul_i32 s0, s30, s0
	s_mul_i32 s4, s18, s8
	s_ashr_i32 s1, s0, 31
	v_mov_b32_e32 v0, 0
	s_lshl_b64 s[0:1], s[0:1], 2
	s_waitcnt lgkmcnt(0)
	s_add_u32 s2, s2, s0
	s_addc_u32 s3, s3, s1
	s_ashr_i32 s5, s4, 31
	s_lshl_b64 s[0:1], s[4:5], 2
	s_add_u32 s2, s2, s0
	s_addc_u32 s3, s3, s1
	s_ashr_i32 s7, s6, 31
	s_lshl_b64 s[0:1], s[6:7], 2
	s_add_u32 s0, s2, s0
	s_addc_u32 s1, s3, s1
	global_store_dword v0, v1, s[0:1]
.LBB98_42:
	s_endpgm
	.section	.rodata,"a",@progbits
	.p2align	6, 0x0
	.amdhsa_kernel _ZL13mul_mat_vec_fI6__halfS0_Li1ELi192ELb1ELb1EEvPKT_PKfPKi31ggml_cuda_mm_fusion_args_devicePfi15HIP_vector_typeIjLj3EEiiiSB_iiiSB_iiii
		.amdhsa_group_segment_fixed_size 0
		.amdhsa_private_segment_fixed_size 0
		.amdhsa_kernarg_size 144
		.amdhsa_user_sgpr_count 6
		.amdhsa_user_sgpr_private_segment_buffer 1
		.amdhsa_user_sgpr_dispatch_ptr 0
		.amdhsa_user_sgpr_queue_ptr 0
		.amdhsa_user_sgpr_kernarg_segment_ptr 1
		.amdhsa_user_sgpr_dispatch_id 0
		.amdhsa_user_sgpr_flat_scratch_init 0
		.amdhsa_user_sgpr_private_segment_size 0
		.amdhsa_wavefront_size32 1
		.amdhsa_uses_dynamic_stack 0
		.amdhsa_system_sgpr_private_segment_wavefront_offset 0
		.amdhsa_system_sgpr_workgroup_id_x 1
		.amdhsa_system_sgpr_workgroup_id_y 1
		.amdhsa_system_sgpr_workgroup_id_z 1
		.amdhsa_system_sgpr_workgroup_info 0
		.amdhsa_system_vgpr_workitem_id 0
		.amdhsa_next_free_vgpr 15
		.amdhsa_next_free_sgpr 40
		.amdhsa_reserve_vcc 1
		.amdhsa_reserve_flat_scratch 0
		.amdhsa_float_round_mode_32 0
		.amdhsa_float_round_mode_16_64 0
		.amdhsa_float_denorm_mode_32 3
		.amdhsa_float_denorm_mode_16_64 3
		.amdhsa_dx10_clamp 1
		.amdhsa_ieee_mode 1
		.amdhsa_fp16_overflow 0
		.amdhsa_workgroup_processor_mode 1
		.amdhsa_memory_ordered 1
		.amdhsa_forward_progress 1
		.amdhsa_shared_vgpr_count 0
		.amdhsa_exception_fp_ieee_invalid_op 0
		.amdhsa_exception_fp_denorm_src 0
		.amdhsa_exception_fp_ieee_div_zero 0
		.amdhsa_exception_fp_ieee_overflow 0
		.amdhsa_exception_fp_ieee_underflow 0
		.amdhsa_exception_fp_ieee_inexact 0
		.amdhsa_exception_int_div_zero 0
	.end_amdhsa_kernel
	.section	.text._ZL13mul_mat_vec_fI6__halfS0_Li1ELi192ELb1ELb1EEvPKT_PKfPKi31ggml_cuda_mm_fusion_args_devicePfi15HIP_vector_typeIjLj3EEiiiSB_iiiSB_iiii,"axG",@progbits,_ZL13mul_mat_vec_fI6__halfS0_Li1ELi192ELb1ELb1EEvPKT_PKfPKi31ggml_cuda_mm_fusion_args_devicePfi15HIP_vector_typeIjLj3EEiiiSB_iiiSB_iiii,comdat
.Lfunc_end98:
	.size	_ZL13mul_mat_vec_fI6__halfS0_Li1ELi192ELb1ELb1EEvPKT_PKfPKi31ggml_cuda_mm_fusion_args_devicePfi15HIP_vector_typeIjLj3EEiiiSB_iiiSB_iiii, .Lfunc_end98-_ZL13mul_mat_vec_fI6__halfS0_Li1ELi192ELb1ELb1EEvPKT_PKfPKi31ggml_cuda_mm_fusion_args_devicePfi15HIP_vector_typeIjLj3EEiiiSB_iiiSB_iiii
                                        ; -- End function
	.set _ZL13mul_mat_vec_fI6__halfS0_Li1ELi192ELb1ELb1EEvPKT_PKfPKi31ggml_cuda_mm_fusion_args_devicePfi15HIP_vector_typeIjLj3EEiiiSB_iiiSB_iiii.num_vgpr, 15
	.set _ZL13mul_mat_vec_fI6__halfS0_Li1ELi192ELb1ELb1EEvPKT_PKfPKi31ggml_cuda_mm_fusion_args_devicePfi15HIP_vector_typeIjLj3EEiiiSB_iiiSB_iiii.num_agpr, 0
	.set _ZL13mul_mat_vec_fI6__halfS0_Li1ELi192ELb1ELb1EEvPKT_PKfPKi31ggml_cuda_mm_fusion_args_devicePfi15HIP_vector_typeIjLj3EEiiiSB_iiiSB_iiii.numbered_sgpr, 40
	.set _ZL13mul_mat_vec_fI6__halfS0_Li1ELi192ELb1ELb1EEvPKT_PKfPKi31ggml_cuda_mm_fusion_args_devicePfi15HIP_vector_typeIjLj3EEiiiSB_iiiSB_iiii.num_named_barrier, 0
	.set _ZL13mul_mat_vec_fI6__halfS0_Li1ELi192ELb1ELb1EEvPKT_PKfPKi31ggml_cuda_mm_fusion_args_devicePfi15HIP_vector_typeIjLj3EEiiiSB_iiiSB_iiii.private_seg_size, 0
	.set _ZL13mul_mat_vec_fI6__halfS0_Li1ELi192ELb1ELb1EEvPKT_PKfPKi31ggml_cuda_mm_fusion_args_devicePfi15HIP_vector_typeIjLj3EEiiiSB_iiiSB_iiii.uses_vcc, 1
	.set _ZL13mul_mat_vec_fI6__halfS0_Li1ELi192ELb1ELb1EEvPKT_PKfPKi31ggml_cuda_mm_fusion_args_devicePfi15HIP_vector_typeIjLj3EEiiiSB_iiiSB_iiii.uses_flat_scratch, 0
	.set _ZL13mul_mat_vec_fI6__halfS0_Li1ELi192ELb1ELb1EEvPKT_PKfPKi31ggml_cuda_mm_fusion_args_devicePfi15HIP_vector_typeIjLj3EEiiiSB_iiiSB_iiii.has_dyn_sized_stack, 0
	.set _ZL13mul_mat_vec_fI6__halfS0_Li1ELi192ELb1ELb1EEvPKT_PKfPKi31ggml_cuda_mm_fusion_args_devicePfi15HIP_vector_typeIjLj3EEiiiSB_iiiSB_iiii.has_recursion, 0
	.set _ZL13mul_mat_vec_fI6__halfS0_Li1ELi192ELb1ELb1EEvPKT_PKfPKi31ggml_cuda_mm_fusion_args_devicePfi15HIP_vector_typeIjLj3EEiiiSB_iiiSB_iiii.has_indirect_call, 0
	.section	.AMDGPU.csdata,"",@progbits
; Kernel info:
; codeLenInByte = 2172
; TotalNumSgprs: 42
; NumVgprs: 15
; ScratchSize: 0
; MemoryBound: 0
; FloatMode: 240
; IeeeMode: 1
; LDSByteSize: 0 bytes/workgroup (compile time only)
; SGPRBlocks: 0
; VGPRBlocks: 1
; NumSGPRsForWavesPerEU: 42
; NumVGPRsForWavesPerEU: 15
; Occupancy: 16
; WaveLimiterHint : 1
; COMPUTE_PGM_RSRC2:SCRATCH_EN: 0
; COMPUTE_PGM_RSRC2:USER_SGPR: 6
; COMPUTE_PGM_RSRC2:TRAP_HANDLER: 0
; COMPUTE_PGM_RSRC2:TGID_X_EN: 1
; COMPUTE_PGM_RSRC2:TGID_Y_EN: 1
; COMPUTE_PGM_RSRC2:TGID_Z_EN: 1
; COMPUTE_PGM_RSRC2:TIDIG_COMP_CNT: 0
	.section	.text._ZL13mul_mat_vec_fI6__halfS0_Li1ELi192ELb0ELb1EEvPKT_PKfPKi31ggml_cuda_mm_fusion_args_devicePfi15HIP_vector_typeIjLj3EEiiiSB_iiiSB_iiii,"axG",@progbits,_ZL13mul_mat_vec_fI6__halfS0_Li1ELi192ELb0ELb1EEvPKT_PKfPKi31ggml_cuda_mm_fusion_args_devicePfi15HIP_vector_typeIjLj3EEiiiSB_iiiSB_iiii,comdat
	.globl	_ZL13mul_mat_vec_fI6__halfS0_Li1ELi192ELb0ELb1EEvPKT_PKfPKi31ggml_cuda_mm_fusion_args_devicePfi15HIP_vector_typeIjLj3EEiiiSB_iiiSB_iiii ; -- Begin function _ZL13mul_mat_vec_fI6__halfS0_Li1ELi192ELb0ELb1EEvPKT_PKfPKi31ggml_cuda_mm_fusion_args_devicePfi15HIP_vector_typeIjLj3EEiiiSB_iiiSB_iiii
	.p2align	8
	.type	_ZL13mul_mat_vec_fI6__halfS0_Li1ELi192ELb0ELb1EEvPKT_PKfPKi31ggml_cuda_mm_fusion_args_devicePfi15HIP_vector_typeIjLj3EEiiiSB_iiiSB_iiii,@function
_ZL13mul_mat_vec_fI6__halfS0_Li1ELi192ELb0ELb1EEvPKT_PKfPKi31ggml_cuda_mm_fusion_args_devicePfi15HIP_vector_typeIjLj3EEiiiSB_iiiSB_iiii: ; @_ZL13mul_mat_vec_fI6__halfS0_Li1ELi192ELb0ELb1EEvPKT_PKfPKi31ggml_cuda_mm_fusion_args_devicePfi15HIP_vector_typeIjLj3EEiiiSB_iiiSB_iiii
; %bb.0:
	s_clause 0x2
	s_load_dword s2, s[4:5], 0x8c
	s_load_dwordx2 s[0:1], s[4:5], 0x10
	s_load_dwordx8 s[12:19], s[4:5], 0x40
	v_cmp_gt_u32_e32 vcc_lo, 32, v0
	v_lshl_add_u32 v5, v0, 2, 0
	s_waitcnt lgkmcnt(0)
	s_mul_i32 s2, s2, s8
	s_add_i32 s2, s2, s7
	s_ashr_i32 s3, s2, 31
	s_lshl_b64 s[2:3], s[2:3], 2
	s_add_u32 s2, s0, s2
	s_addc_u32 s3, s1, s3
	s_and_saveexec_b32 s0, vcc_lo
; %bb.1:
	v_mov_b32_e32 v1, 0
	ds_write_b32 v5, v1
; %bb.2:
	s_or_b32 exec_lo, exec_lo, s0
	s_load_dwordx4 s[20:23], s[4:5], 0x68
	v_mov_b32_e32 v1, 0
	v_mov_b32_e32 v2, 0
	s_mov_b32 s9, exec_lo
	s_waitcnt lgkmcnt(0)
	s_barrier
	buffer_gl0_inv
	v_cmpx_gt_i32_e64 s12, v0
	s_cbranch_execz .LBB99_6
; %bb.3:
	s_load_dword s19, s[2:3], 0x0
	s_load_dwordx4 s[24:27], s[4:5], 0x0
	s_mul_hi_u32 s1, s13, s7
	s_mul_i32 s2, s8, s17
	s_add_i32 s1, s7, s1
	s_lshl_b32 s2, s2, 1
	s_lshr_b32 s3, s1, s14
	s_mul_i32 s0, s16, s6
	s_mul_i32 s3, s3, s15
	v_lshlrev_b32_e32 v1, 3, v0
	s_sub_i32 s10, s7, s3
	s_ashr_i32 s3, s2, 31
	s_mul_i32 s10, s10, s21
	s_ashr_i32 s1, s0, 31
	s_ashr_i32 s11, s10, 31
	s_lshl_b64 s[2:3], s[2:3], 2
	s_lshl_b64 s[10:11], s[10:11], 2
	v_lshlrev_b32_e32 v3, 2, v0
	v_mov_b32_e32 v6, 0
	v_mov_b32_e32 v7, v0
	s_waitcnt lgkmcnt(0)
	s_mul_i32 s14, s19, s20
	s_ashr_i32 s15, s14, 31
	s_add_u32 s10, s26, s10
	s_addc_u32 s11, s27, s11
	s_add_u32 s10, s10, s2
	s_addc_u32 s11, s11, s3
	s_lshl_b64 s[2:3], s[0:1], 1
	v_add_co_u32 v1, s0, s10, v1
	v_add_co_ci_u32_e64 v2, null, s11, 0, s0
	s_lshl_b64 s[10:11], s[14:15], 1
	v_add_co_u32 v1, s0, v1, 4
	v_add_co_ci_u32_e64 v2, null, 0, v2, s0
	s_add_u32 s0, s24, s10
	s_addc_u32 s1, s25, s11
	s_add_u32 s0, s0, s2
	s_addc_u32 s1, s1, s3
	v_add_co_u32 v3, s0, s0, v3
	v_add_co_ci_u32_e64 v4, null, s1, 0, s0
	s_mov_b32 s2, 0
	.p2align	6
.LBB99_4:                               ; =>This Inner Loop Header: Depth=1
	global_load_dwordx2 v[8:9], v[1:2], off offset:-4
	global_load_dword v10, v[3:4], off
	v_add_nc_u32_e32 v7, 0xc0, v7
	v_add_co_u32 v1, s0, 0x600, v1
	v_add_co_ci_u32_e64 v2, null, 0, v2, s0
	v_add_co_u32 v3, s0, 0x300, v3
	v_cmp_le_i32_e64 s1, s12, v7
	v_add_co_ci_u32_e64 v4, null, 0, v4, s0
	s_or_b32 s2, s1, s2
	s_waitcnt vmcnt(1)
	v_cvt_f16_f32_e32 v8, v8
	v_cvt_f16_f32_e32 v9, v9
	v_pack_b32_f16 v8, v8, v9
	s_waitcnt vmcnt(0)
	v_pk_fma_f16 v6, v10, v8, v6
	s_andn2_b32 exec_lo, exec_lo, s2
	s_cbranch_execnz .LBB99_4
; %bb.5:
	s_or_b32 exec_lo, exec_lo, s2
	v_cvt_f32_f16_sdwa v1, v6 dst_sel:DWORD dst_unused:UNUSED_PAD src0_sel:WORD_1
	v_cvt_f32_f16_e32 v2, v6
.LBB99_6:
	s_or_b32 exec_lo, exec_lo, s9
	v_mbcnt_lo_u32_b32 v7, -1, 0
	v_add_f32_e32 v2, v2, v1
	v_xor_b32_e32 v3, 16, v7
	v_xor_b32_e32 v9, 1, v7
	v_cmp_gt_i32_e64 s0, 32, v3
	v_cndmask_b32_e64 v3, v7, v3, s0
	v_lshlrev_b32_e32 v1, 2, v3
	v_xor_b32_e32 v3, 8, v7
	ds_bpermute_b32 v4, v1, v2
	v_cmp_gt_i32_e64 s0, 32, v3
	v_cndmask_b32_e64 v3, v7, v3, s0
	v_lshlrev_b32_e32 v3, 2, v3
	s_waitcnt lgkmcnt(0)
	v_add_f32_e32 v2, v2, v4
	v_xor_b32_e32 v4, 4, v7
	ds_bpermute_b32 v6, v3, v2
	v_cmp_gt_i32_e64 s0, 32, v4
	v_cndmask_b32_e64 v4, v7, v4, s0
	v_lshlrev_b32_e32 v4, 2, v4
	s_waitcnt lgkmcnt(0)
	v_add_f32_e32 v2, v2, v6
	v_xor_b32_e32 v6, 2, v7
	ds_bpermute_b32 v8, v4, v2
	v_cmp_gt_i32_e64 s0, 32, v6
	v_cndmask_b32_e64 v6, v7, v6, s0
	v_cmp_gt_i32_e64 s0, 32, v9
	v_lshlrev_b32_e32 v6, 2, v6
	v_cndmask_b32_e64 v7, v7, v9, s0
	v_lshrrev_b32_e32 v9, 3, v0
	v_lshlrev_b32_e32 v7, 2, v7
	v_and_b32_e32 v9, 0x7c, v9
	s_waitcnt lgkmcnt(0)
	v_add_f32_e32 v2, v2, v8
	v_add_nc_u32_e32 v9, 0, v9
	ds_bpermute_b32 v8, v6, v2
	s_waitcnt lgkmcnt(0)
	v_add_f32_e32 v2, v2, v8
	ds_bpermute_b32 v8, v7, v2
	s_waitcnt lgkmcnt(0)
	v_add_f32_e32 v2, v2, v8
	ds_write_b32 v9, v2
	s_waitcnt lgkmcnt(0)
	s_barrier
	buffer_gl0_inv
	s_and_saveexec_b32 s0, vcc_lo
	s_cbranch_execz .LBB99_8
; %bb.7:
	ds_read_b32 v2, v5
	s_waitcnt lgkmcnt(0)
	ds_bpermute_b32 v1, v1, v2
	s_waitcnt lgkmcnt(0)
	v_add_f32_e32 v1, v2, v1
	ds_bpermute_b32 v2, v3, v1
	s_waitcnt lgkmcnt(0)
	v_add_f32_e32 v1, v1, v2
	;; [unrolled: 3-line block ×5, first 2 shown]
.LBB99_8:
	s_or_b32 exec_lo, exec_lo, s0
	s_barrier
	buffer_gl0_inv
	s_mov_b32 s0, exec_lo
	v_cmpx_eq_u32_e32 0, v0
	s_cbranch_execz .LBB99_10
; %bb.9:
	s_load_dwordx2 s[0:1], s[4:5], 0x38
	s_mul_i32 s2, s22, s7
	s_mul_i32 s4, s18, s8
	s_ashr_i32 s3, s2, 31
	v_mov_b32_e32 v0, 0
	s_lshl_b64 s[2:3], s[2:3], 2
	s_waitcnt lgkmcnt(0)
	s_add_u32 s2, s0, s2
	s_addc_u32 s3, s1, s3
	s_ashr_i32 s5, s4, 31
	s_lshl_b64 s[0:1], s[4:5], 2
	s_add_u32 s2, s2, s0
	s_addc_u32 s3, s3, s1
	s_ashr_i32 s7, s6, 31
	s_lshl_b64 s[0:1], s[6:7], 2
	s_add_u32 s0, s2, s0
	s_addc_u32 s1, s3, s1
	global_store_dword v0, v2, s[0:1]
.LBB99_10:
	s_endpgm
	.section	.rodata,"a",@progbits
	.p2align	6, 0x0
	.amdhsa_kernel _ZL13mul_mat_vec_fI6__halfS0_Li1ELi192ELb0ELb1EEvPKT_PKfPKi31ggml_cuda_mm_fusion_args_devicePfi15HIP_vector_typeIjLj3EEiiiSB_iiiSB_iiii
		.amdhsa_group_segment_fixed_size 0
		.amdhsa_private_segment_fixed_size 0
		.amdhsa_kernarg_size 144
		.amdhsa_user_sgpr_count 6
		.amdhsa_user_sgpr_private_segment_buffer 1
		.amdhsa_user_sgpr_dispatch_ptr 0
		.amdhsa_user_sgpr_queue_ptr 0
		.amdhsa_user_sgpr_kernarg_segment_ptr 1
		.amdhsa_user_sgpr_dispatch_id 0
		.amdhsa_user_sgpr_flat_scratch_init 0
		.amdhsa_user_sgpr_private_segment_size 0
		.amdhsa_wavefront_size32 1
		.amdhsa_uses_dynamic_stack 0
		.amdhsa_system_sgpr_private_segment_wavefront_offset 0
		.amdhsa_system_sgpr_workgroup_id_x 1
		.amdhsa_system_sgpr_workgroup_id_y 1
		.amdhsa_system_sgpr_workgroup_id_z 1
		.amdhsa_system_sgpr_workgroup_info 0
		.amdhsa_system_vgpr_workitem_id 0
		.amdhsa_next_free_vgpr 11
		.amdhsa_next_free_sgpr 28
		.amdhsa_reserve_vcc 1
		.amdhsa_reserve_flat_scratch 0
		.amdhsa_float_round_mode_32 0
		.amdhsa_float_round_mode_16_64 0
		.amdhsa_float_denorm_mode_32 3
		.amdhsa_float_denorm_mode_16_64 3
		.amdhsa_dx10_clamp 1
		.amdhsa_ieee_mode 1
		.amdhsa_fp16_overflow 0
		.amdhsa_workgroup_processor_mode 1
		.amdhsa_memory_ordered 1
		.amdhsa_forward_progress 1
		.amdhsa_shared_vgpr_count 0
		.amdhsa_exception_fp_ieee_invalid_op 0
		.amdhsa_exception_fp_denorm_src 0
		.amdhsa_exception_fp_ieee_div_zero 0
		.amdhsa_exception_fp_ieee_overflow 0
		.amdhsa_exception_fp_ieee_underflow 0
		.amdhsa_exception_fp_ieee_inexact 0
		.amdhsa_exception_int_div_zero 0
	.end_amdhsa_kernel
	.section	.text._ZL13mul_mat_vec_fI6__halfS0_Li1ELi192ELb0ELb1EEvPKT_PKfPKi31ggml_cuda_mm_fusion_args_devicePfi15HIP_vector_typeIjLj3EEiiiSB_iiiSB_iiii,"axG",@progbits,_ZL13mul_mat_vec_fI6__halfS0_Li1ELi192ELb0ELb1EEvPKT_PKfPKi31ggml_cuda_mm_fusion_args_devicePfi15HIP_vector_typeIjLj3EEiiiSB_iiiSB_iiii,comdat
.Lfunc_end99:
	.size	_ZL13mul_mat_vec_fI6__halfS0_Li1ELi192ELb0ELb1EEvPKT_PKfPKi31ggml_cuda_mm_fusion_args_devicePfi15HIP_vector_typeIjLj3EEiiiSB_iiiSB_iiii, .Lfunc_end99-_ZL13mul_mat_vec_fI6__halfS0_Li1ELi192ELb0ELb1EEvPKT_PKfPKi31ggml_cuda_mm_fusion_args_devicePfi15HIP_vector_typeIjLj3EEiiiSB_iiiSB_iiii
                                        ; -- End function
	.set _ZL13mul_mat_vec_fI6__halfS0_Li1ELi192ELb0ELb1EEvPKT_PKfPKi31ggml_cuda_mm_fusion_args_devicePfi15HIP_vector_typeIjLj3EEiiiSB_iiiSB_iiii.num_vgpr, 11
	.set _ZL13mul_mat_vec_fI6__halfS0_Li1ELi192ELb0ELb1EEvPKT_PKfPKi31ggml_cuda_mm_fusion_args_devicePfi15HIP_vector_typeIjLj3EEiiiSB_iiiSB_iiii.num_agpr, 0
	.set _ZL13mul_mat_vec_fI6__halfS0_Li1ELi192ELb0ELb1EEvPKT_PKfPKi31ggml_cuda_mm_fusion_args_devicePfi15HIP_vector_typeIjLj3EEiiiSB_iiiSB_iiii.numbered_sgpr, 28
	.set _ZL13mul_mat_vec_fI6__halfS0_Li1ELi192ELb0ELb1EEvPKT_PKfPKi31ggml_cuda_mm_fusion_args_devicePfi15HIP_vector_typeIjLj3EEiiiSB_iiiSB_iiii.num_named_barrier, 0
	.set _ZL13mul_mat_vec_fI6__halfS0_Li1ELi192ELb0ELb1EEvPKT_PKfPKi31ggml_cuda_mm_fusion_args_devicePfi15HIP_vector_typeIjLj3EEiiiSB_iiiSB_iiii.private_seg_size, 0
	.set _ZL13mul_mat_vec_fI6__halfS0_Li1ELi192ELb0ELb1EEvPKT_PKfPKi31ggml_cuda_mm_fusion_args_devicePfi15HIP_vector_typeIjLj3EEiiiSB_iiiSB_iiii.uses_vcc, 1
	.set _ZL13mul_mat_vec_fI6__halfS0_Li1ELi192ELb0ELb1EEvPKT_PKfPKi31ggml_cuda_mm_fusion_args_devicePfi15HIP_vector_typeIjLj3EEiiiSB_iiiSB_iiii.uses_flat_scratch, 0
	.set _ZL13mul_mat_vec_fI6__halfS0_Li1ELi192ELb0ELb1EEvPKT_PKfPKi31ggml_cuda_mm_fusion_args_devicePfi15HIP_vector_typeIjLj3EEiiiSB_iiiSB_iiii.has_dyn_sized_stack, 0
	.set _ZL13mul_mat_vec_fI6__halfS0_Li1ELi192ELb0ELb1EEvPKT_PKfPKi31ggml_cuda_mm_fusion_args_devicePfi15HIP_vector_typeIjLj3EEiiiSB_iiiSB_iiii.has_recursion, 0
	.set _ZL13mul_mat_vec_fI6__halfS0_Li1ELi192ELb0ELb1EEvPKT_PKfPKi31ggml_cuda_mm_fusion_args_devicePfi15HIP_vector_typeIjLj3EEiiiSB_iiiSB_iiii.has_indirect_call, 0
	.section	.AMDGPU.csdata,"",@progbits
; Kernel info:
; codeLenInByte = 984
; TotalNumSgprs: 30
; NumVgprs: 11
; ScratchSize: 0
; MemoryBound: 0
; FloatMode: 240
; IeeeMode: 1
; LDSByteSize: 0 bytes/workgroup (compile time only)
; SGPRBlocks: 0
; VGPRBlocks: 1
; NumSGPRsForWavesPerEU: 30
; NumVGPRsForWavesPerEU: 11
; Occupancy: 16
; WaveLimiterHint : 1
; COMPUTE_PGM_RSRC2:SCRATCH_EN: 0
; COMPUTE_PGM_RSRC2:USER_SGPR: 6
; COMPUTE_PGM_RSRC2:TRAP_HANDLER: 0
; COMPUTE_PGM_RSRC2:TGID_X_EN: 1
; COMPUTE_PGM_RSRC2:TGID_Y_EN: 1
; COMPUTE_PGM_RSRC2:TGID_Z_EN: 1
; COMPUTE_PGM_RSRC2:TIDIG_COMP_CNT: 0
	.section	.text._ZL13mul_mat_vec_fI6__halfS0_Li1ELi224ELb1ELb1EEvPKT_PKfPKi31ggml_cuda_mm_fusion_args_devicePfi15HIP_vector_typeIjLj3EEiiiSB_iiiSB_iiii,"axG",@progbits,_ZL13mul_mat_vec_fI6__halfS0_Li1ELi224ELb1ELb1EEvPKT_PKfPKi31ggml_cuda_mm_fusion_args_devicePfi15HIP_vector_typeIjLj3EEiiiSB_iiiSB_iiii,comdat
	.globl	_ZL13mul_mat_vec_fI6__halfS0_Li1ELi224ELb1ELb1EEvPKT_PKfPKi31ggml_cuda_mm_fusion_args_devicePfi15HIP_vector_typeIjLj3EEiiiSB_iiiSB_iiii ; -- Begin function _ZL13mul_mat_vec_fI6__halfS0_Li1ELi224ELb1ELb1EEvPKT_PKfPKi31ggml_cuda_mm_fusion_args_devicePfi15HIP_vector_typeIjLj3EEiiiSB_iiiSB_iiii
	.p2align	8
	.type	_ZL13mul_mat_vec_fI6__halfS0_Li1ELi224ELb1ELb1EEvPKT_PKfPKi31ggml_cuda_mm_fusion_args_devicePfi15HIP_vector_typeIjLj3EEiiiSB_iiiSB_iiii,@function
_ZL13mul_mat_vec_fI6__halfS0_Li1ELi224ELb1ELb1EEvPKT_PKfPKi31ggml_cuda_mm_fusion_args_devicePfi15HIP_vector_typeIjLj3EEiiiSB_iiiSB_iiii: ; @_ZL13mul_mat_vec_fI6__halfS0_Li1ELi224ELb1ELb1EEvPKT_PKfPKi31ggml_cuda_mm_fusion_args_devicePfi15HIP_vector_typeIjLj3EEiiiSB_iiiSB_iiii
; %bb.0:
	s_clause 0x3
	s_load_dword s1, s[4:5], 0x8c
	s_load_dwordx8 s[20:27], s[4:5], 0x0
	s_load_dwordx4 s[36:39], s[4:5], 0x20
	s_load_dwordx8 s[12:19], s[4:5], 0x40
	v_lshl_add_u32 v7, v0, 2, 0
	s_mov_b32 s0, s7
	s_waitcnt lgkmcnt(0)
	s_mul_i32 s1, s1, s8
	s_add_i32 s2, s1, s7
	s_ashr_i32 s3, s2, 31
	s_lshl_b64 s[2:3], s[2:3], 2
	s_add_u32 s10, s24, s2
	s_addc_u32 s11, s25, s3
	s_cmp_lg_u64 s[36:37], 0
	v_cmp_gt_u32_e64 s2, 32, v0
	s_cselect_b32 s1, -1, 0
	s_cmp_eq_u64 s[36:37], 0
	s_cselect_b32 s19, -1, 0
	s_and_saveexec_b32 s3, s2
	s_cbranch_execz .LBB100_3
; %bb.1:
	v_mov_b32_e32 v1, 0
	s_andn2_b32 vcc_lo, exec_lo, s1
	ds_write_b32 v7, v1
	s_cbranch_vccnz .LBB100_3
; %bb.2:
	ds_write_b32 v7, v1 offset:128
.LBB100_3:
	s_or_b32 exec_lo, exec_lo, s3
	s_load_dword s7, s[10:11], 0x0
	s_load_dwordx4 s[28:31], s[4:5], 0x68
	v_mov_b32_e32 v8, 0
	v_mov_b32_e32 v4, 0
	;; [unrolled: 1-line block ×3, first 2 shown]
	s_mov_b32 s10, 0
	s_mov_b32 s9, exec_lo
	s_waitcnt lgkmcnt(0)
	s_barrier
	buffer_gl0_inv
	v_cmpx_gt_i32_e64 s12, v0
	s_cbranch_execz .LBB100_10
; %bb.4:
	s_mul_hi_u32 s3, s13, s0
	s_mul_i32 s11, s7, s28
	s_add_i32 s3, s0, s3
	s_mul_i32 s13, s16, s6
	s_lshr_b32 s3, s3, s14
	s_ashr_i32 s16, s11, 31
	s_mul_i32 s3, s3, s15
	s_ashr_i32 s15, s13, 31
	s_sub_i32 s3, s0, s3
	s_add_u32 s14, s11, s13
	s_mul_i32 s11, s8, s17
	s_addc_u32 s15, s16, s15
	s_mul_i32 s16, s3, s29
	s_lshl_b32 s28, s11, 1
	s_ashr_i32 s17, s16, 31
	s_ashr_i32 s29, s28, 31
	s_and_b32 s3, s1, exec_lo
	s_cselect_b32 s35, s15, 0
	s_cselect_b32 s34, s14, 0
	v_lshlrev_b32_e32 v5, 2, v0
	s_cselect_b32 s3, s37, 0
	s_cselect_b32 s11, s36, 0
	s_lshl_b64 s[34:35], s[34:35], 1
	v_lshlrev_b32_e32 v3, 3, v0
	s_add_u32 s11, s11, s34
	s_addc_u32 s3, s3, s35
	v_add_co_u32 v1, s11, s11, v5
	s_lshl_b64 s[16:17], s[16:17], 2
	s_lshl_b64 s[28:29], s[28:29], 2
	v_add_co_ci_u32_e64 v2, null, s3, 0, s11
	s_add_u32 s3, s22, s16
	s_addc_u32 s11, s23, s17
	s_add_u32 s3, s3, s28
	s_addc_u32 s11, s11, s29
	v_add_co_u32 v3, s3, s3, v3
	s_lshl_b64 s[14:15], s[14:15], 1
	v_add_co_ci_u32_e64 v4, null, s11, 0, s3
	s_add_u32 s3, s20, s14
	v_add_co_u32 v3, vcc_lo, v3, 4
	s_addc_u32 s11, s21, s15
	v_add_co_u32 v5, s3, s3, v5
	v_add_co_ci_u32_e64 v4, null, 0, v4, vcc_lo
	v_add_co_ci_u32_e64 v6, null, s11, 0, s3
	v_mov_b32_e32 v8, 0
	v_mov_b32_e32 v10, v0
	;; [unrolled: 1-line block ×3, first 2 shown]
	s_inst_prefetch 0x1
	s_branch .LBB100_7
	.p2align	6
.LBB100_5:                              ;   in Loop: Header=BB100_7 Depth=1
	global_load_dword v12, v[1:2], off
.LBB100_6:                              ;   in Loop: Header=BB100_7 Depth=1
	global_load_dwordx2 v[13:14], v[3:4], off offset:-4
	v_add_nc_u32_e32 v10, 0xe0, v10
	v_add_co_u32 v1, vcc_lo, 0x380, v1
	v_add_co_ci_u32_e64 v2, null, 0, v2, vcc_lo
	v_add_co_u32 v3, vcc_lo, 0x700, v3
	v_add_co_ci_u32_e64 v4, null, 0, v4, vcc_lo
	v_cmp_le_i32_e32 vcc_lo, s12, v10
	v_add_co_u32 v5, s3, 0x380, v5
	v_add_co_ci_u32_e64 v6, null, 0, v6, s3
	s_or_b32 s10, vcc_lo, s10
	s_waitcnt vmcnt(0)
	v_cvt_f16_f32_e32 v13, v13
	v_cvt_f16_f32_e32 v14, v14
	v_pack_b32_f16 v13, v13, v14
	v_pk_fma_f16 v12, v12, v13, v9
	v_pk_fma_f16 v8, v11, v13, v8
	v_cndmask_b32_e64 v9, v9, v12, s1
	s_andn2_b32 exec_lo, exec_lo, s10
	s_cbranch_execz .LBB100_9
.LBB100_7:                              ; =>This Inner Loop Header: Depth=1
	global_load_dword v11, v[5:6], off
	s_andn2_b32 vcc_lo, exec_lo, s1
	s_cbranch_vccz .LBB100_5
; %bb.8:                                ;   in Loop: Header=BB100_7 Depth=1
	v_mov_b32_e32 v12, 0
	s_branch .LBB100_6
.LBB100_9:
	s_inst_prefetch 0x2
	s_or_b32 exec_lo, exec_lo, s10
	v_cvt_f32_f16_sdwa v4, v9 dst_sel:DWORD dst_unused:UNUSED_PAD src0_sel:WORD_1
	v_cvt_f32_f16_e32 v5, v9
.LBB100_10:
	s_or_b32 exec_lo, exec_lo, s9
	v_mbcnt_lo_u32_b32 v1, -1, 0
	v_cvt_f32_f16_e32 v3, v8
	v_cvt_f32_f16_sdwa v6, v8 dst_sel:DWORD dst_unused:UNUSED_PAD src0_sel:WORD_1
	s_load_dword s9, s[4:5], 0x30
	s_mov_b32 s3, -1
	v_xor_b32_e32 v2, 16, v1
	v_add_f32_e32 v8, v3, v6
	v_xor_b32_e32 v6, 8, v1
	v_cmp_gt_i32_e32 vcc_lo, 32, v2
	v_cndmask_b32_e32 v2, v1, v2, vcc_lo
	v_cmp_gt_i32_e32 vcc_lo, 32, v6
	v_lshlrev_b32_e32 v3, 2, v2
	v_cndmask_b32_e32 v6, v1, v6, vcc_lo
	ds_bpermute_b32 v2, v3, v8
	v_lshlrev_b32_e32 v6, 2, v6
	s_waitcnt lgkmcnt(0)
	v_add_f32_e32 v2, v8, v2
	v_xor_b32_e32 v8, 4, v1
	ds_bpermute_b32 v9, v6, v2
	v_cmp_gt_i32_e32 vcc_lo, 32, v8
	v_cndmask_b32_e32 v8, v1, v8, vcc_lo
	v_lshlrev_b32_e32 v8, 2, v8
	s_waitcnt lgkmcnt(0)
	v_add_f32_e32 v2, v2, v9
	v_xor_b32_e32 v9, 2, v1
	ds_bpermute_b32 v10, v8, v2
	v_cmp_gt_i32_e32 vcc_lo, 32, v9
	v_cndmask_b32_e32 v9, v1, v9, vcc_lo
	;; [unrolled: 7-line block ×3, first 2 shown]
	s_and_b32 vcc_lo, exec_lo, s19
	v_lshlrev_b32_e32 v10, 2, v1
	s_waitcnt lgkmcnt(0)
	v_add_f32_e32 v1, v2, v11
	v_lshrrev_b32_e32 v11, 5, v0
	ds_bpermute_b32 v2, v10, v1
	v_lshl_add_u32 v11, v11, 2, 0
	s_waitcnt lgkmcnt(0)
	v_add_f32_e32 v1, v1, v2
	s_cbranch_vccz .LBB100_12
; %bb.11:
	s_mov_b32 s3, 0
	ds_write_b32 v11, v1
.LBB100_12:
	v_mov_b32_e32 v2, 0
	s_andn2_b32 vcc_lo, exec_lo, s3
	s_cbranch_vccnz .LBB100_14
; %bb.13:
	v_add_f32_e32 v2, v5, v4
	ds_bpermute_b32 v4, v3, v2
	s_waitcnt lgkmcnt(0)
	v_add_f32_e32 v2, v2, v4
	ds_bpermute_b32 v4, v6, v2
	s_waitcnt lgkmcnt(0)
	;; [unrolled: 3-line block ×5, first 2 shown]
	v_add_f32_e32 v2, v2, v4
	ds_write2_b32 v11, v1, v2 offset1:32
.LBB100_14:
	s_waitcnt lgkmcnt(0)
	s_barrier
	buffer_gl0_inv
	s_and_saveexec_b32 s3, s2
	s_cbranch_execz .LBB100_18
; %bb.15:
	ds_read_b32 v1, v7
	s_andn2_b32 vcc_lo, exec_lo, s1
	s_waitcnt lgkmcnt(0)
	ds_bpermute_b32 v4, v3, v1
	s_waitcnt lgkmcnt(0)
	v_add_f32_e32 v1, v1, v4
	ds_bpermute_b32 v4, v6, v1
	s_waitcnt lgkmcnt(0)
	v_add_f32_e32 v1, v1, v4
	ds_bpermute_b32 v4, v8, v1
	s_waitcnt lgkmcnt(0)
	v_add_f32_e32 v1, v1, v4
	ds_bpermute_b32 v4, v9, v1
	s_waitcnt lgkmcnt(0)
	v_add_f32_e32 v1, v1, v4
	ds_bpermute_b32 v4, v10, v1
	s_cbranch_vccnz .LBB100_17
; %bb.16:
	ds_read_b32 v2, v7 offset:128
	s_waitcnt lgkmcnt(0)
	ds_bpermute_b32 v3, v3, v2
	s_waitcnt lgkmcnt(0)
	v_add_f32_e32 v2, v2, v3
	ds_bpermute_b32 v3, v6, v2
	s_waitcnt lgkmcnt(0)
	v_add_f32_e32 v2, v2, v3
	;; [unrolled: 3-line block ×5, first 2 shown]
.LBB100_17:
	s_waitcnt lgkmcnt(0)
	v_add_f32_e32 v1, v1, v4
.LBB100_18:
	s_or_b32 exec_lo, exec_lo, s3
	s_barrier
	buffer_gl0_inv
	s_mov_b32 s2, exec_lo
	v_cmpx_eq_u32_e32 0, v0
	s_cbranch_execz .LBB100_42
; %bb.19:
	s_cmp_eq_u64 s[26:27], 0
	s_cselect_b32 s10, -1, 0
	s_cmp_eq_u64 s[24:25], 0
	s_cselect_b32 s2, s0, s7
	s_mul_i32 s2, s2, s30
	s_ashr_i32 s3, s2, 31
	s_and_b32 vcc_lo, exec_lo, s10
	s_cbranch_vccnz .LBB100_21
; %bb.20:
	s_cselect_b32 s7, 0, s27
	s_cselect_b32 s12, 0, s26
	s_lshl_b64 s[10:11], s[2:3], 2
	s_add_u32 s12, s12, s10
	s_addc_u32 s13, s7, s11
	s_ashr_i32 s7, s6, 31
	s_lshl_b64 s[10:11], s[6:7], 2
	s_add_u32 s10, s12, s10
	s_addc_u32 s11, s13, s11
	s_load_dword s7, s[10:11], 0x0
	s_waitcnt lgkmcnt(0)
	v_add_f32_e32 v1, s7, v1
.LBB100_21:
	s_andn2_b32 vcc_lo, exec_lo, s1
	s_cbranch_vccnz .LBB100_41
; %bb.22:
	s_cmp_lg_u64 s[38:39], 0
	s_cselect_b32 s7, -1, 0
	s_and_b32 s1, s7, s1
	s_andn2_b32 vcc_lo, exec_lo, s1
	s_cbranch_vccnz .LBB100_24
; %bb.23:
	s_and_b32 s7, s7, exec_lo
	s_cselect_b32 s7, s39, 0
	s_cselect_b32 s10, s38, 0
	s_and_b32 s1, s1, exec_lo
	s_cselect_b32 s3, s3, 0
	s_cselect_b32 s2, s2, 0
	s_lshl_b64 s[2:3], s[2:3], 2
	s_add_u32 s1, s10, s2
	s_addc_u32 s10, s7, s3
	s_ashr_i32 s7, s6, 31
	s_lshl_b64 s[2:3], s[6:7], 2
	s_add_u32 s2, s1, s2
	s_addc_u32 s3, s10, s3
	s_load_dword s1, s[2:3], 0x0
	s_waitcnt lgkmcnt(0)
	v_add_f32_e32 v2, s1, v2
.LBB100_24:
	s_cmp_lt_i32 s9, 2
	s_cbranch_scc1 .LBB100_29
; %bb.25:
	s_cmp_lt_i32 s9, 3
	s_cbranch_scc1 .LBB100_30
; %bb.26:
	v_mov_b32_e32 v0, v1
	s_cmp_eq_u32 s9, 3
	s_cbranch_scc0 .LBB100_28
; %bb.27:
	v_max_f32_e32 v0, v2, v2
	v_min_f32_e32 v0, 0x40e00000, v0
	v_mul_f32_e32 v3, 0xbfd9db23, v0
	v_mul_f32_e32 v4, 0x3fb8aa3b, v3
	v_cmp_ngt_f32_e32 vcc_lo, 0xc2ce8ed0, v3
	v_fma_f32 v5, 0x3fb8aa3b, v3, -v4
	v_rndne_f32_e32 v6, v4
	v_fmamk_f32 v5, v3, 0x32a5705f, v5
	v_sub_f32_e32 v4, v4, v6
	v_add_f32_e32 v4, v4, v5
	v_cvt_i32_f32_e32 v5, v6
	v_exp_f32_e32 v4, v4
	v_ldexp_f32 v4, v4, v5
	v_cndmask_b32_e32 v4, 0, v4, vcc_lo
	v_cmp_nlt_f32_e32 vcc_lo, 0x42b17218, v3
	v_cndmask_b32_e32 v3, 0x7f800000, v4, vcc_lo
	v_add_f32_e32 v3, 1.0, v3
	v_div_scale_f32 v4, null, v3, v3, v0
	v_div_scale_f32 v7, vcc_lo, v0, v3, v0
	v_rcp_f32_e32 v5, v4
	v_fma_f32 v6, -v4, v5, 1.0
	v_fmac_f32_e32 v5, v6, v5
	v_mul_f32_e32 v6, v7, v5
	v_fma_f32 v8, -v4, v6, v7
	v_fmac_f32_e32 v6, v8, v5
	v_max_f32_e32 v8, v1, v1
	v_fma_f32 v4, -v4, v6, v7
	v_min_f32_e32 v7, 0x40e00000, v8
	v_div_fmas_f32 v4, v4, v5, v6
	v_max_f32_e32 v5, 0xc0e00000, v7
	v_div_fixup_f32 v0, v4, v3, v0
	v_add_f32_e32 v3, 1.0, v5
	v_mul_f32_e32 v0, v3, v0
.LBB100_28:
	s_cbranch_execz .LBB100_31
	s_branch .LBB100_32
.LBB100_29:
                                        ; implicit-def: $vgpr0
	s_branch .LBB100_33
.LBB100_30:
                                        ; implicit-def: $vgpr0
.LBB100_31:
	v_mul_f32_e32 v0, 0xbfb8aa3b, v2
	v_cmp_nlt_f32_e32 vcc_lo, 0x42ce8ed0, v2
	v_rndne_f32_e32 v3, v0
	v_fma_f32 v4, 0xbfb8aa3b, v2, -v0
	v_sub_f32_e32 v0, v0, v3
	v_fmamk_f32 v4, v2, 0xb2a5705f, v4
	v_cvt_i32_f32_e32 v3, v3
	v_add_f32_e32 v0, v0, v4
	v_exp_f32_e32 v0, v0
	v_ldexp_f32 v0, v0, v3
	v_cndmask_b32_e32 v0, 0, v0, vcc_lo
	v_cmp_ngt_f32_e32 vcc_lo, 0xc2b17218, v2
	v_cndmask_b32_e32 v0, 0x7f800000, v0, vcc_lo
	v_add_f32_e32 v0, 1.0, v0
	v_div_scale_f32 v3, null, v0, v0, v2
	v_rcp_f32_e32 v4, v3
	v_fma_f32 v5, -v3, v4, 1.0
	v_fmac_f32_e32 v4, v5, v4
	v_div_scale_f32 v5, vcc_lo, v2, v0, v2
	v_mul_f32_e32 v6, v5, v4
	v_fma_f32 v7, -v3, v6, v5
	v_fmac_f32_e32 v6, v7, v4
	v_fma_f32 v3, -v3, v6, v5
	v_div_fmas_f32 v3, v3, v4, v6
	v_div_fixup_f32 v0, v3, v0, v2
	v_mul_f32_e32 v0, v1, v0
.LBB100_32:
	s_cbranch_execnz .LBB100_40
.LBB100_33:
	s_cmp_eq_u32 s9, 1
	s_cbranch_scc0 .LBB100_39
; %bb.34:
	v_mul_f32_e32 v0, 0x3d372713, v2
	v_mul_f32_e32 v3, 0x3f4c422a, v2
	v_fma_f32 v0, v2, v0, 1.0
	v_mul_f32_e32 v0, v3, v0
                                        ; implicit-def: $vgpr3
	v_cmp_ngt_f32_e64 s1, 0x3f200000, |v0|
	s_and_saveexec_b32 s2, s1
	s_xor_b32 s1, exec_lo, s2
	s_cbranch_execz .LBB100_36
; %bb.35:
	v_add_f32_e64 v3, |v0|, |v0|
	v_mul_f32_e32 v4, 0x3fb8aa3b, v3
	v_cmp_ngt_f32_e32 vcc_lo, 0xc2ce8ed0, v3
	v_rndne_f32_e32 v5, v4
	v_fma_f32 v6, 0x3fb8aa3b, v3, -v4
	v_sub_f32_e32 v4, v4, v5
	v_fmamk_f32 v6, v3, 0x32a5705f, v6
	v_cvt_i32_f32_e32 v5, v5
	v_add_f32_e32 v4, v4, v6
	v_exp_f32_e32 v4, v4
	v_ldexp_f32 v4, v4, v5
	v_cndmask_b32_e32 v4, 0, v4, vcc_lo
	v_cmp_nlt_f32_e32 vcc_lo, 0x42b17218, v3
	v_cndmask_b32_e32 v3, 0x7f800000, v4, vcc_lo
	v_add_f32_e32 v3, 1.0, v3
	v_rcp_f32_e32 v3, v3
	v_fma_f32 v3, v3, -2.0, 1.0
.LBB100_36:
	s_andn2_saveexec_b32 s1, s1
	s_cbranch_execz .LBB100_38
; %bb.37:
	v_mul_f32_e32 v3, v0, v0
	s_mov_b32 s2, 0xbbbac73d
	v_fmaak_f32 v4, s2, v3, 0x3ca908c9
	v_fmaak_f32 v4, v3, v4, 0xbd5c1c4e
	;; [unrolled: 1-line block ×4, first 2 shown]
	v_mul_f32_e64 v4, |v0|, v4
	v_fma_f32 v3, v3, v4, |v0|
.LBB100_38:
	s_or_b32 exec_lo, exec_lo, s1
	v_bfi_b32 v0, 0x7fffffff, v3, v0
	v_mul_f32_e32 v2, 0.5, v2
	v_add_f32_e32 v0, 1.0, v0
	v_mul_f32_e32 v0, v2, v0
	v_mul_f32_e32 v1, v1, v0
.LBB100_39:
	v_mov_b32_e32 v0, v1
.LBB100_40:
	v_mov_b32_e32 v1, v0
.LBB100_41:
	s_load_dwordx2 s[2:3], s[4:5], 0x38
	s_mul_i32 s0, s30, s0
	s_mul_i32 s4, s18, s8
	s_ashr_i32 s1, s0, 31
	v_mov_b32_e32 v0, 0
	s_lshl_b64 s[0:1], s[0:1], 2
	s_waitcnt lgkmcnt(0)
	s_add_u32 s2, s2, s0
	s_addc_u32 s3, s3, s1
	s_ashr_i32 s5, s4, 31
	s_lshl_b64 s[0:1], s[4:5], 2
	s_add_u32 s2, s2, s0
	s_addc_u32 s3, s3, s1
	s_ashr_i32 s7, s6, 31
	s_lshl_b64 s[0:1], s[6:7], 2
	s_add_u32 s0, s2, s0
	s_addc_u32 s1, s3, s1
	global_store_dword v0, v1, s[0:1]
.LBB100_42:
	s_endpgm
	.section	.rodata,"a",@progbits
	.p2align	6, 0x0
	.amdhsa_kernel _ZL13mul_mat_vec_fI6__halfS0_Li1ELi224ELb1ELb1EEvPKT_PKfPKi31ggml_cuda_mm_fusion_args_devicePfi15HIP_vector_typeIjLj3EEiiiSB_iiiSB_iiii
		.amdhsa_group_segment_fixed_size 0
		.amdhsa_private_segment_fixed_size 0
		.amdhsa_kernarg_size 144
		.amdhsa_user_sgpr_count 6
		.amdhsa_user_sgpr_private_segment_buffer 1
		.amdhsa_user_sgpr_dispatch_ptr 0
		.amdhsa_user_sgpr_queue_ptr 0
		.amdhsa_user_sgpr_kernarg_segment_ptr 1
		.amdhsa_user_sgpr_dispatch_id 0
		.amdhsa_user_sgpr_flat_scratch_init 0
		.amdhsa_user_sgpr_private_segment_size 0
		.amdhsa_wavefront_size32 1
		.amdhsa_uses_dynamic_stack 0
		.amdhsa_system_sgpr_private_segment_wavefront_offset 0
		.amdhsa_system_sgpr_workgroup_id_x 1
		.amdhsa_system_sgpr_workgroup_id_y 1
		.amdhsa_system_sgpr_workgroup_id_z 1
		.amdhsa_system_sgpr_workgroup_info 0
		.amdhsa_system_vgpr_workitem_id 0
		.amdhsa_next_free_vgpr 15
		.amdhsa_next_free_sgpr 40
		.amdhsa_reserve_vcc 1
		.amdhsa_reserve_flat_scratch 0
		.amdhsa_float_round_mode_32 0
		.amdhsa_float_round_mode_16_64 0
		.amdhsa_float_denorm_mode_32 3
		.amdhsa_float_denorm_mode_16_64 3
		.amdhsa_dx10_clamp 1
		.amdhsa_ieee_mode 1
		.amdhsa_fp16_overflow 0
		.amdhsa_workgroup_processor_mode 1
		.amdhsa_memory_ordered 1
		.amdhsa_forward_progress 1
		.amdhsa_shared_vgpr_count 0
		.amdhsa_exception_fp_ieee_invalid_op 0
		.amdhsa_exception_fp_denorm_src 0
		.amdhsa_exception_fp_ieee_div_zero 0
		.amdhsa_exception_fp_ieee_overflow 0
		.amdhsa_exception_fp_ieee_underflow 0
		.amdhsa_exception_fp_ieee_inexact 0
		.amdhsa_exception_int_div_zero 0
	.end_amdhsa_kernel
	.section	.text._ZL13mul_mat_vec_fI6__halfS0_Li1ELi224ELb1ELb1EEvPKT_PKfPKi31ggml_cuda_mm_fusion_args_devicePfi15HIP_vector_typeIjLj3EEiiiSB_iiiSB_iiii,"axG",@progbits,_ZL13mul_mat_vec_fI6__halfS0_Li1ELi224ELb1ELb1EEvPKT_PKfPKi31ggml_cuda_mm_fusion_args_devicePfi15HIP_vector_typeIjLj3EEiiiSB_iiiSB_iiii,comdat
.Lfunc_end100:
	.size	_ZL13mul_mat_vec_fI6__halfS0_Li1ELi224ELb1ELb1EEvPKT_PKfPKi31ggml_cuda_mm_fusion_args_devicePfi15HIP_vector_typeIjLj3EEiiiSB_iiiSB_iiii, .Lfunc_end100-_ZL13mul_mat_vec_fI6__halfS0_Li1ELi224ELb1ELb1EEvPKT_PKfPKi31ggml_cuda_mm_fusion_args_devicePfi15HIP_vector_typeIjLj3EEiiiSB_iiiSB_iiii
                                        ; -- End function
	.set _ZL13mul_mat_vec_fI6__halfS0_Li1ELi224ELb1ELb1EEvPKT_PKfPKi31ggml_cuda_mm_fusion_args_devicePfi15HIP_vector_typeIjLj3EEiiiSB_iiiSB_iiii.num_vgpr, 15
	.set _ZL13mul_mat_vec_fI6__halfS0_Li1ELi224ELb1ELb1EEvPKT_PKfPKi31ggml_cuda_mm_fusion_args_devicePfi15HIP_vector_typeIjLj3EEiiiSB_iiiSB_iiii.num_agpr, 0
	.set _ZL13mul_mat_vec_fI6__halfS0_Li1ELi224ELb1ELb1EEvPKT_PKfPKi31ggml_cuda_mm_fusion_args_devicePfi15HIP_vector_typeIjLj3EEiiiSB_iiiSB_iiii.numbered_sgpr, 40
	.set _ZL13mul_mat_vec_fI6__halfS0_Li1ELi224ELb1ELb1EEvPKT_PKfPKi31ggml_cuda_mm_fusion_args_devicePfi15HIP_vector_typeIjLj3EEiiiSB_iiiSB_iiii.num_named_barrier, 0
	.set _ZL13mul_mat_vec_fI6__halfS0_Li1ELi224ELb1ELb1EEvPKT_PKfPKi31ggml_cuda_mm_fusion_args_devicePfi15HIP_vector_typeIjLj3EEiiiSB_iiiSB_iiii.private_seg_size, 0
	.set _ZL13mul_mat_vec_fI6__halfS0_Li1ELi224ELb1ELb1EEvPKT_PKfPKi31ggml_cuda_mm_fusion_args_devicePfi15HIP_vector_typeIjLj3EEiiiSB_iiiSB_iiii.uses_vcc, 1
	.set _ZL13mul_mat_vec_fI6__halfS0_Li1ELi224ELb1ELb1EEvPKT_PKfPKi31ggml_cuda_mm_fusion_args_devicePfi15HIP_vector_typeIjLj3EEiiiSB_iiiSB_iiii.uses_flat_scratch, 0
	.set _ZL13mul_mat_vec_fI6__halfS0_Li1ELi224ELb1ELb1EEvPKT_PKfPKi31ggml_cuda_mm_fusion_args_devicePfi15HIP_vector_typeIjLj3EEiiiSB_iiiSB_iiii.has_dyn_sized_stack, 0
	.set _ZL13mul_mat_vec_fI6__halfS0_Li1ELi224ELb1ELb1EEvPKT_PKfPKi31ggml_cuda_mm_fusion_args_devicePfi15HIP_vector_typeIjLj3EEiiiSB_iiiSB_iiii.has_recursion, 0
	.set _ZL13mul_mat_vec_fI6__halfS0_Li1ELi224ELb1ELb1EEvPKT_PKfPKi31ggml_cuda_mm_fusion_args_devicePfi15HIP_vector_typeIjLj3EEiiiSB_iiiSB_iiii.has_indirect_call, 0
	.section	.AMDGPU.csdata,"",@progbits
; Kernel info:
; codeLenInByte = 2172
; TotalNumSgprs: 42
; NumVgprs: 15
; ScratchSize: 0
; MemoryBound: 0
; FloatMode: 240
; IeeeMode: 1
; LDSByteSize: 0 bytes/workgroup (compile time only)
; SGPRBlocks: 0
; VGPRBlocks: 1
; NumSGPRsForWavesPerEU: 42
; NumVGPRsForWavesPerEU: 15
; Occupancy: 16
; WaveLimiterHint : 1
; COMPUTE_PGM_RSRC2:SCRATCH_EN: 0
; COMPUTE_PGM_RSRC2:USER_SGPR: 6
; COMPUTE_PGM_RSRC2:TRAP_HANDLER: 0
; COMPUTE_PGM_RSRC2:TGID_X_EN: 1
; COMPUTE_PGM_RSRC2:TGID_Y_EN: 1
; COMPUTE_PGM_RSRC2:TGID_Z_EN: 1
; COMPUTE_PGM_RSRC2:TIDIG_COMP_CNT: 0
	.section	.text._ZL13mul_mat_vec_fI6__halfS0_Li1ELi224ELb0ELb1EEvPKT_PKfPKi31ggml_cuda_mm_fusion_args_devicePfi15HIP_vector_typeIjLj3EEiiiSB_iiiSB_iiii,"axG",@progbits,_ZL13mul_mat_vec_fI6__halfS0_Li1ELi224ELb0ELb1EEvPKT_PKfPKi31ggml_cuda_mm_fusion_args_devicePfi15HIP_vector_typeIjLj3EEiiiSB_iiiSB_iiii,comdat
	.globl	_ZL13mul_mat_vec_fI6__halfS0_Li1ELi224ELb0ELb1EEvPKT_PKfPKi31ggml_cuda_mm_fusion_args_devicePfi15HIP_vector_typeIjLj3EEiiiSB_iiiSB_iiii ; -- Begin function _ZL13mul_mat_vec_fI6__halfS0_Li1ELi224ELb0ELb1EEvPKT_PKfPKi31ggml_cuda_mm_fusion_args_devicePfi15HIP_vector_typeIjLj3EEiiiSB_iiiSB_iiii
	.p2align	8
	.type	_ZL13mul_mat_vec_fI6__halfS0_Li1ELi224ELb0ELb1EEvPKT_PKfPKi31ggml_cuda_mm_fusion_args_devicePfi15HIP_vector_typeIjLj3EEiiiSB_iiiSB_iiii,@function
_ZL13mul_mat_vec_fI6__halfS0_Li1ELi224ELb0ELb1EEvPKT_PKfPKi31ggml_cuda_mm_fusion_args_devicePfi15HIP_vector_typeIjLj3EEiiiSB_iiiSB_iiii: ; @_ZL13mul_mat_vec_fI6__halfS0_Li1ELi224ELb0ELb1EEvPKT_PKfPKi31ggml_cuda_mm_fusion_args_devicePfi15HIP_vector_typeIjLj3EEiiiSB_iiiSB_iiii
; %bb.0:
	s_clause 0x2
	s_load_dword s2, s[4:5], 0x8c
	s_load_dwordx2 s[0:1], s[4:5], 0x10
	s_load_dwordx8 s[12:19], s[4:5], 0x40
	v_cmp_gt_u32_e32 vcc_lo, 32, v0
	v_lshl_add_u32 v5, v0, 2, 0
	s_waitcnt lgkmcnt(0)
	s_mul_i32 s2, s2, s8
	s_add_i32 s2, s2, s7
	s_ashr_i32 s3, s2, 31
	s_lshl_b64 s[2:3], s[2:3], 2
	s_add_u32 s2, s0, s2
	s_addc_u32 s3, s1, s3
	s_and_saveexec_b32 s0, vcc_lo
; %bb.1:
	v_mov_b32_e32 v1, 0
	ds_write_b32 v5, v1
; %bb.2:
	s_or_b32 exec_lo, exec_lo, s0
	s_load_dwordx4 s[20:23], s[4:5], 0x68
	v_mov_b32_e32 v1, 0
	v_mov_b32_e32 v2, 0
	s_mov_b32 s9, exec_lo
	s_waitcnt lgkmcnt(0)
	s_barrier
	buffer_gl0_inv
	v_cmpx_gt_i32_e64 s12, v0
	s_cbranch_execz .LBB101_6
; %bb.3:
	s_load_dword s19, s[2:3], 0x0
	s_load_dwordx4 s[24:27], s[4:5], 0x0
	s_mul_hi_u32 s1, s13, s7
	s_mul_i32 s2, s8, s17
	s_add_i32 s1, s7, s1
	s_lshl_b32 s2, s2, 1
	s_lshr_b32 s3, s1, s14
	s_mul_i32 s0, s16, s6
	s_mul_i32 s3, s3, s15
	v_lshlrev_b32_e32 v1, 3, v0
	s_sub_i32 s10, s7, s3
	s_ashr_i32 s3, s2, 31
	s_mul_i32 s10, s10, s21
	s_ashr_i32 s1, s0, 31
	s_ashr_i32 s11, s10, 31
	s_lshl_b64 s[2:3], s[2:3], 2
	s_lshl_b64 s[10:11], s[10:11], 2
	v_lshlrev_b32_e32 v3, 2, v0
	v_mov_b32_e32 v6, 0
	v_mov_b32_e32 v7, v0
	s_waitcnt lgkmcnt(0)
	s_mul_i32 s14, s19, s20
	s_ashr_i32 s15, s14, 31
	s_add_u32 s10, s26, s10
	s_addc_u32 s11, s27, s11
	s_add_u32 s10, s10, s2
	s_addc_u32 s11, s11, s3
	s_lshl_b64 s[2:3], s[0:1], 1
	v_add_co_u32 v1, s0, s10, v1
	v_add_co_ci_u32_e64 v2, null, s11, 0, s0
	s_lshl_b64 s[10:11], s[14:15], 1
	v_add_co_u32 v1, s0, v1, 4
	v_add_co_ci_u32_e64 v2, null, 0, v2, s0
	s_add_u32 s0, s24, s10
	s_addc_u32 s1, s25, s11
	s_add_u32 s0, s0, s2
	s_addc_u32 s1, s1, s3
	v_add_co_u32 v3, s0, s0, v3
	v_add_co_ci_u32_e64 v4, null, s1, 0, s0
	s_mov_b32 s2, 0
	.p2align	6
.LBB101_4:                              ; =>This Inner Loop Header: Depth=1
	global_load_dwordx2 v[8:9], v[1:2], off offset:-4
	global_load_dword v10, v[3:4], off
	v_add_nc_u32_e32 v7, 0xe0, v7
	v_add_co_u32 v1, s0, 0x700, v1
	v_add_co_ci_u32_e64 v2, null, 0, v2, s0
	v_add_co_u32 v3, s0, 0x380, v3
	v_cmp_le_i32_e64 s1, s12, v7
	v_add_co_ci_u32_e64 v4, null, 0, v4, s0
	s_or_b32 s2, s1, s2
	s_waitcnt vmcnt(1)
	v_cvt_f16_f32_e32 v8, v8
	v_cvt_f16_f32_e32 v9, v9
	v_pack_b32_f16 v8, v8, v9
	s_waitcnt vmcnt(0)
	v_pk_fma_f16 v6, v10, v8, v6
	s_andn2_b32 exec_lo, exec_lo, s2
	s_cbranch_execnz .LBB101_4
; %bb.5:
	s_or_b32 exec_lo, exec_lo, s2
	v_cvt_f32_f16_sdwa v1, v6 dst_sel:DWORD dst_unused:UNUSED_PAD src0_sel:WORD_1
	v_cvt_f32_f16_e32 v2, v6
.LBB101_6:
	s_or_b32 exec_lo, exec_lo, s9
	v_mbcnt_lo_u32_b32 v7, -1, 0
	v_add_f32_e32 v2, v2, v1
	v_xor_b32_e32 v3, 16, v7
	v_xor_b32_e32 v9, 1, v7
	v_cmp_gt_i32_e64 s0, 32, v3
	v_cndmask_b32_e64 v3, v7, v3, s0
	v_lshlrev_b32_e32 v1, 2, v3
	v_xor_b32_e32 v3, 8, v7
	ds_bpermute_b32 v4, v1, v2
	v_cmp_gt_i32_e64 s0, 32, v3
	v_cndmask_b32_e64 v3, v7, v3, s0
	v_lshlrev_b32_e32 v3, 2, v3
	s_waitcnt lgkmcnt(0)
	v_add_f32_e32 v2, v2, v4
	v_xor_b32_e32 v4, 4, v7
	ds_bpermute_b32 v6, v3, v2
	v_cmp_gt_i32_e64 s0, 32, v4
	v_cndmask_b32_e64 v4, v7, v4, s0
	v_lshlrev_b32_e32 v4, 2, v4
	s_waitcnt lgkmcnt(0)
	v_add_f32_e32 v2, v2, v6
	v_xor_b32_e32 v6, 2, v7
	ds_bpermute_b32 v8, v4, v2
	v_cmp_gt_i32_e64 s0, 32, v6
	v_cndmask_b32_e64 v6, v7, v6, s0
	v_cmp_gt_i32_e64 s0, 32, v9
	v_lshlrev_b32_e32 v6, 2, v6
	v_cndmask_b32_e64 v7, v7, v9, s0
	v_lshrrev_b32_e32 v9, 3, v0
	v_lshlrev_b32_e32 v7, 2, v7
	v_and_b32_e32 v9, 0x7c, v9
	s_waitcnt lgkmcnt(0)
	v_add_f32_e32 v2, v2, v8
	v_add_nc_u32_e32 v9, 0, v9
	ds_bpermute_b32 v8, v6, v2
	s_waitcnt lgkmcnt(0)
	v_add_f32_e32 v2, v2, v8
	ds_bpermute_b32 v8, v7, v2
	s_waitcnt lgkmcnt(0)
	v_add_f32_e32 v2, v2, v8
	ds_write_b32 v9, v2
	s_waitcnt lgkmcnt(0)
	s_barrier
	buffer_gl0_inv
	s_and_saveexec_b32 s0, vcc_lo
	s_cbranch_execz .LBB101_8
; %bb.7:
	ds_read_b32 v2, v5
	s_waitcnt lgkmcnt(0)
	ds_bpermute_b32 v1, v1, v2
	s_waitcnt lgkmcnt(0)
	v_add_f32_e32 v1, v2, v1
	ds_bpermute_b32 v2, v3, v1
	s_waitcnt lgkmcnt(0)
	v_add_f32_e32 v1, v1, v2
	;; [unrolled: 3-line block ×5, first 2 shown]
.LBB101_8:
	s_or_b32 exec_lo, exec_lo, s0
	s_barrier
	buffer_gl0_inv
	s_mov_b32 s0, exec_lo
	v_cmpx_eq_u32_e32 0, v0
	s_cbranch_execz .LBB101_10
; %bb.9:
	s_load_dwordx2 s[0:1], s[4:5], 0x38
	s_mul_i32 s2, s22, s7
	s_mul_i32 s4, s18, s8
	s_ashr_i32 s3, s2, 31
	v_mov_b32_e32 v0, 0
	s_lshl_b64 s[2:3], s[2:3], 2
	s_waitcnt lgkmcnt(0)
	s_add_u32 s2, s0, s2
	s_addc_u32 s3, s1, s3
	s_ashr_i32 s5, s4, 31
	s_lshl_b64 s[0:1], s[4:5], 2
	s_add_u32 s2, s2, s0
	s_addc_u32 s3, s3, s1
	s_ashr_i32 s7, s6, 31
	s_lshl_b64 s[0:1], s[6:7], 2
	s_add_u32 s0, s2, s0
	s_addc_u32 s1, s3, s1
	global_store_dword v0, v2, s[0:1]
.LBB101_10:
	s_endpgm
	.section	.rodata,"a",@progbits
	.p2align	6, 0x0
	.amdhsa_kernel _ZL13mul_mat_vec_fI6__halfS0_Li1ELi224ELb0ELb1EEvPKT_PKfPKi31ggml_cuda_mm_fusion_args_devicePfi15HIP_vector_typeIjLj3EEiiiSB_iiiSB_iiii
		.amdhsa_group_segment_fixed_size 0
		.amdhsa_private_segment_fixed_size 0
		.amdhsa_kernarg_size 144
		.amdhsa_user_sgpr_count 6
		.amdhsa_user_sgpr_private_segment_buffer 1
		.amdhsa_user_sgpr_dispatch_ptr 0
		.amdhsa_user_sgpr_queue_ptr 0
		.amdhsa_user_sgpr_kernarg_segment_ptr 1
		.amdhsa_user_sgpr_dispatch_id 0
		.amdhsa_user_sgpr_flat_scratch_init 0
		.amdhsa_user_sgpr_private_segment_size 0
		.amdhsa_wavefront_size32 1
		.amdhsa_uses_dynamic_stack 0
		.amdhsa_system_sgpr_private_segment_wavefront_offset 0
		.amdhsa_system_sgpr_workgroup_id_x 1
		.amdhsa_system_sgpr_workgroup_id_y 1
		.amdhsa_system_sgpr_workgroup_id_z 1
		.amdhsa_system_sgpr_workgroup_info 0
		.amdhsa_system_vgpr_workitem_id 0
		.amdhsa_next_free_vgpr 11
		.amdhsa_next_free_sgpr 28
		.amdhsa_reserve_vcc 1
		.amdhsa_reserve_flat_scratch 0
		.amdhsa_float_round_mode_32 0
		.amdhsa_float_round_mode_16_64 0
		.amdhsa_float_denorm_mode_32 3
		.amdhsa_float_denorm_mode_16_64 3
		.amdhsa_dx10_clamp 1
		.amdhsa_ieee_mode 1
		.amdhsa_fp16_overflow 0
		.amdhsa_workgroup_processor_mode 1
		.amdhsa_memory_ordered 1
		.amdhsa_forward_progress 1
		.amdhsa_shared_vgpr_count 0
		.amdhsa_exception_fp_ieee_invalid_op 0
		.amdhsa_exception_fp_denorm_src 0
		.amdhsa_exception_fp_ieee_div_zero 0
		.amdhsa_exception_fp_ieee_overflow 0
		.amdhsa_exception_fp_ieee_underflow 0
		.amdhsa_exception_fp_ieee_inexact 0
		.amdhsa_exception_int_div_zero 0
	.end_amdhsa_kernel
	.section	.text._ZL13mul_mat_vec_fI6__halfS0_Li1ELi224ELb0ELb1EEvPKT_PKfPKi31ggml_cuda_mm_fusion_args_devicePfi15HIP_vector_typeIjLj3EEiiiSB_iiiSB_iiii,"axG",@progbits,_ZL13mul_mat_vec_fI6__halfS0_Li1ELi224ELb0ELb1EEvPKT_PKfPKi31ggml_cuda_mm_fusion_args_devicePfi15HIP_vector_typeIjLj3EEiiiSB_iiiSB_iiii,comdat
.Lfunc_end101:
	.size	_ZL13mul_mat_vec_fI6__halfS0_Li1ELi224ELb0ELb1EEvPKT_PKfPKi31ggml_cuda_mm_fusion_args_devicePfi15HIP_vector_typeIjLj3EEiiiSB_iiiSB_iiii, .Lfunc_end101-_ZL13mul_mat_vec_fI6__halfS0_Li1ELi224ELb0ELb1EEvPKT_PKfPKi31ggml_cuda_mm_fusion_args_devicePfi15HIP_vector_typeIjLj3EEiiiSB_iiiSB_iiii
                                        ; -- End function
	.set _ZL13mul_mat_vec_fI6__halfS0_Li1ELi224ELb0ELb1EEvPKT_PKfPKi31ggml_cuda_mm_fusion_args_devicePfi15HIP_vector_typeIjLj3EEiiiSB_iiiSB_iiii.num_vgpr, 11
	.set _ZL13mul_mat_vec_fI6__halfS0_Li1ELi224ELb0ELb1EEvPKT_PKfPKi31ggml_cuda_mm_fusion_args_devicePfi15HIP_vector_typeIjLj3EEiiiSB_iiiSB_iiii.num_agpr, 0
	.set _ZL13mul_mat_vec_fI6__halfS0_Li1ELi224ELb0ELb1EEvPKT_PKfPKi31ggml_cuda_mm_fusion_args_devicePfi15HIP_vector_typeIjLj3EEiiiSB_iiiSB_iiii.numbered_sgpr, 28
	.set _ZL13mul_mat_vec_fI6__halfS0_Li1ELi224ELb0ELb1EEvPKT_PKfPKi31ggml_cuda_mm_fusion_args_devicePfi15HIP_vector_typeIjLj3EEiiiSB_iiiSB_iiii.num_named_barrier, 0
	.set _ZL13mul_mat_vec_fI6__halfS0_Li1ELi224ELb0ELb1EEvPKT_PKfPKi31ggml_cuda_mm_fusion_args_devicePfi15HIP_vector_typeIjLj3EEiiiSB_iiiSB_iiii.private_seg_size, 0
	.set _ZL13mul_mat_vec_fI6__halfS0_Li1ELi224ELb0ELb1EEvPKT_PKfPKi31ggml_cuda_mm_fusion_args_devicePfi15HIP_vector_typeIjLj3EEiiiSB_iiiSB_iiii.uses_vcc, 1
	.set _ZL13mul_mat_vec_fI6__halfS0_Li1ELi224ELb0ELb1EEvPKT_PKfPKi31ggml_cuda_mm_fusion_args_devicePfi15HIP_vector_typeIjLj3EEiiiSB_iiiSB_iiii.uses_flat_scratch, 0
	.set _ZL13mul_mat_vec_fI6__halfS0_Li1ELi224ELb0ELb1EEvPKT_PKfPKi31ggml_cuda_mm_fusion_args_devicePfi15HIP_vector_typeIjLj3EEiiiSB_iiiSB_iiii.has_dyn_sized_stack, 0
	.set _ZL13mul_mat_vec_fI6__halfS0_Li1ELi224ELb0ELb1EEvPKT_PKfPKi31ggml_cuda_mm_fusion_args_devicePfi15HIP_vector_typeIjLj3EEiiiSB_iiiSB_iiii.has_recursion, 0
	.set _ZL13mul_mat_vec_fI6__halfS0_Li1ELi224ELb0ELb1EEvPKT_PKfPKi31ggml_cuda_mm_fusion_args_devicePfi15HIP_vector_typeIjLj3EEiiiSB_iiiSB_iiii.has_indirect_call, 0
	.section	.AMDGPU.csdata,"",@progbits
; Kernel info:
; codeLenInByte = 984
; TotalNumSgprs: 30
; NumVgprs: 11
; ScratchSize: 0
; MemoryBound: 0
; FloatMode: 240
; IeeeMode: 1
; LDSByteSize: 0 bytes/workgroup (compile time only)
; SGPRBlocks: 0
; VGPRBlocks: 1
; NumSGPRsForWavesPerEU: 30
; NumVGPRsForWavesPerEU: 11
; Occupancy: 16
; WaveLimiterHint : 1
; COMPUTE_PGM_RSRC2:SCRATCH_EN: 0
; COMPUTE_PGM_RSRC2:USER_SGPR: 6
; COMPUTE_PGM_RSRC2:TRAP_HANDLER: 0
; COMPUTE_PGM_RSRC2:TGID_X_EN: 1
; COMPUTE_PGM_RSRC2:TGID_Y_EN: 1
; COMPUTE_PGM_RSRC2:TGID_Z_EN: 1
; COMPUTE_PGM_RSRC2:TIDIG_COMP_CNT: 0
	.section	.text._ZL13mul_mat_vec_fI6__halfS0_Li1ELi256ELb1ELb1EEvPKT_PKfPKi31ggml_cuda_mm_fusion_args_devicePfi15HIP_vector_typeIjLj3EEiiiSB_iiiSB_iiii,"axG",@progbits,_ZL13mul_mat_vec_fI6__halfS0_Li1ELi256ELb1ELb1EEvPKT_PKfPKi31ggml_cuda_mm_fusion_args_devicePfi15HIP_vector_typeIjLj3EEiiiSB_iiiSB_iiii,comdat
	.globl	_ZL13mul_mat_vec_fI6__halfS0_Li1ELi256ELb1ELb1EEvPKT_PKfPKi31ggml_cuda_mm_fusion_args_devicePfi15HIP_vector_typeIjLj3EEiiiSB_iiiSB_iiii ; -- Begin function _ZL13mul_mat_vec_fI6__halfS0_Li1ELi256ELb1ELb1EEvPKT_PKfPKi31ggml_cuda_mm_fusion_args_devicePfi15HIP_vector_typeIjLj3EEiiiSB_iiiSB_iiii
	.p2align	8
	.type	_ZL13mul_mat_vec_fI6__halfS0_Li1ELi256ELb1ELb1EEvPKT_PKfPKi31ggml_cuda_mm_fusion_args_devicePfi15HIP_vector_typeIjLj3EEiiiSB_iiiSB_iiii,@function
_ZL13mul_mat_vec_fI6__halfS0_Li1ELi256ELb1ELb1EEvPKT_PKfPKi31ggml_cuda_mm_fusion_args_devicePfi15HIP_vector_typeIjLj3EEiiiSB_iiiSB_iiii: ; @_ZL13mul_mat_vec_fI6__halfS0_Li1ELi256ELb1ELb1EEvPKT_PKfPKi31ggml_cuda_mm_fusion_args_devicePfi15HIP_vector_typeIjLj3EEiiiSB_iiiSB_iiii
; %bb.0:
	s_clause 0x3
	s_load_dword s1, s[4:5], 0x8c
	s_load_dwordx8 s[20:27], s[4:5], 0x0
	s_load_dwordx4 s[36:39], s[4:5], 0x20
	s_load_dwordx8 s[12:19], s[4:5], 0x40
	v_lshl_add_u32 v7, v0, 2, 0
	s_mov_b32 s0, s7
	s_waitcnt lgkmcnt(0)
	s_mul_i32 s1, s1, s8
	s_add_i32 s2, s1, s7
	s_ashr_i32 s3, s2, 31
	s_lshl_b64 s[2:3], s[2:3], 2
	s_add_u32 s10, s24, s2
	s_addc_u32 s11, s25, s3
	s_cmp_lg_u64 s[36:37], 0
	v_cmp_gt_u32_e64 s2, 32, v0
	s_cselect_b32 s1, -1, 0
	s_cmp_eq_u64 s[36:37], 0
	s_cselect_b32 s19, -1, 0
	s_and_saveexec_b32 s3, s2
	s_cbranch_execz .LBB102_3
; %bb.1:
	v_mov_b32_e32 v1, 0
	s_andn2_b32 vcc_lo, exec_lo, s1
	ds_write_b32 v7, v1
	s_cbranch_vccnz .LBB102_3
; %bb.2:
	ds_write_b32 v7, v1 offset:128
.LBB102_3:
	s_or_b32 exec_lo, exec_lo, s3
	s_load_dword s7, s[10:11], 0x0
	s_load_dwordx4 s[28:31], s[4:5], 0x68
	v_mov_b32_e32 v8, 0
	v_mov_b32_e32 v4, 0
	;; [unrolled: 1-line block ×3, first 2 shown]
	s_mov_b32 s10, 0
	s_mov_b32 s9, exec_lo
	s_waitcnt lgkmcnt(0)
	s_barrier
	buffer_gl0_inv
	v_cmpx_gt_i32_e64 s12, v0
	s_cbranch_execz .LBB102_10
; %bb.4:
	s_mul_hi_u32 s3, s13, s0
	s_mul_i32 s11, s7, s28
	s_add_i32 s3, s0, s3
	s_mul_i32 s13, s16, s6
	s_lshr_b32 s3, s3, s14
	s_ashr_i32 s16, s11, 31
	s_mul_i32 s3, s3, s15
	s_ashr_i32 s15, s13, 31
	s_sub_i32 s3, s0, s3
	s_add_u32 s14, s11, s13
	s_mul_i32 s11, s8, s17
	s_addc_u32 s15, s16, s15
	s_mul_i32 s16, s3, s29
	s_lshl_b32 s28, s11, 1
	s_ashr_i32 s17, s16, 31
	s_ashr_i32 s29, s28, 31
	s_and_b32 s3, s1, exec_lo
	s_cselect_b32 s35, s15, 0
	s_cselect_b32 s34, s14, 0
	v_lshlrev_b32_e32 v5, 2, v0
	s_cselect_b32 s3, s37, 0
	s_cselect_b32 s11, s36, 0
	s_lshl_b64 s[34:35], s[34:35], 1
	v_lshlrev_b32_e32 v3, 3, v0
	s_add_u32 s11, s11, s34
	s_addc_u32 s3, s3, s35
	v_add_co_u32 v1, s11, s11, v5
	s_lshl_b64 s[16:17], s[16:17], 2
	s_lshl_b64 s[28:29], s[28:29], 2
	v_add_co_ci_u32_e64 v2, null, s3, 0, s11
	s_add_u32 s3, s22, s16
	s_addc_u32 s11, s23, s17
	s_add_u32 s3, s3, s28
	s_addc_u32 s11, s11, s29
	v_add_co_u32 v3, s3, s3, v3
	s_lshl_b64 s[14:15], s[14:15], 1
	v_add_co_ci_u32_e64 v4, null, s11, 0, s3
	s_add_u32 s3, s20, s14
	v_add_co_u32 v3, vcc_lo, v3, 4
	s_addc_u32 s11, s21, s15
	v_add_co_u32 v5, s3, s3, v5
	v_add_co_ci_u32_e64 v4, null, 0, v4, vcc_lo
	v_add_co_ci_u32_e64 v6, null, s11, 0, s3
	v_mov_b32_e32 v8, 0
	v_mov_b32_e32 v10, v0
	v_mov_b32_e32 v9, 0
	s_inst_prefetch 0x1
	s_branch .LBB102_7
	.p2align	6
.LBB102_5:                              ;   in Loop: Header=BB102_7 Depth=1
	global_load_dword v12, v[1:2], off
.LBB102_6:                              ;   in Loop: Header=BB102_7 Depth=1
	global_load_dwordx2 v[13:14], v[3:4], off offset:-4
	v_add_nc_u32_e32 v10, 0x100, v10
	v_add_co_u32 v1, vcc_lo, 0x400, v1
	v_add_co_ci_u32_e64 v2, null, 0, v2, vcc_lo
	v_add_co_u32 v3, vcc_lo, 0x800, v3
	v_add_co_ci_u32_e64 v4, null, 0, v4, vcc_lo
	v_cmp_le_i32_e32 vcc_lo, s12, v10
	v_add_co_u32 v5, s3, 0x400, v5
	v_add_co_ci_u32_e64 v6, null, 0, v6, s3
	s_or_b32 s10, vcc_lo, s10
	s_waitcnt vmcnt(0)
	v_cvt_f16_f32_e32 v13, v13
	v_cvt_f16_f32_e32 v14, v14
	v_pack_b32_f16 v13, v13, v14
	v_pk_fma_f16 v12, v12, v13, v9
	v_pk_fma_f16 v8, v11, v13, v8
	v_cndmask_b32_e64 v9, v9, v12, s1
	s_andn2_b32 exec_lo, exec_lo, s10
	s_cbranch_execz .LBB102_9
.LBB102_7:                              ; =>This Inner Loop Header: Depth=1
	global_load_dword v11, v[5:6], off
	s_andn2_b32 vcc_lo, exec_lo, s1
	s_cbranch_vccz .LBB102_5
; %bb.8:                                ;   in Loop: Header=BB102_7 Depth=1
	v_mov_b32_e32 v12, 0
	s_branch .LBB102_6
.LBB102_9:
	s_inst_prefetch 0x2
	s_or_b32 exec_lo, exec_lo, s10
	v_cvt_f32_f16_sdwa v4, v9 dst_sel:DWORD dst_unused:UNUSED_PAD src0_sel:WORD_1
	v_cvt_f32_f16_e32 v5, v9
.LBB102_10:
	s_or_b32 exec_lo, exec_lo, s9
	v_mbcnt_lo_u32_b32 v1, -1, 0
	v_cvt_f32_f16_e32 v3, v8
	v_cvt_f32_f16_sdwa v6, v8 dst_sel:DWORD dst_unused:UNUSED_PAD src0_sel:WORD_1
	s_load_dword s9, s[4:5], 0x30
	s_mov_b32 s3, -1
	v_xor_b32_e32 v2, 16, v1
	v_add_f32_e32 v8, v3, v6
	v_xor_b32_e32 v6, 8, v1
	v_cmp_gt_i32_e32 vcc_lo, 32, v2
	v_cndmask_b32_e32 v2, v1, v2, vcc_lo
	v_cmp_gt_i32_e32 vcc_lo, 32, v6
	v_lshlrev_b32_e32 v3, 2, v2
	v_cndmask_b32_e32 v6, v1, v6, vcc_lo
	ds_bpermute_b32 v2, v3, v8
	v_lshlrev_b32_e32 v6, 2, v6
	s_waitcnt lgkmcnt(0)
	v_add_f32_e32 v2, v8, v2
	v_xor_b32_e32 v8, 4, v1
	ds_bpermute_b32 v9, v6, v2
	v_cmp_gt_i32_e32 vcc_lo, 32, v8
	v_cndmask_b32_e32 v8, v1, v8, vcc_lo
	v_lshlrev_b32_e32 v8, 2, v8
	s_waitcnt lgkmcnt(0)
	v_add_f32_e32 v2, v2, v9
	v_xor_b32_e32 v9, 2, v1
	ds_bpermute_b32 v10, v8, v2
	v_cmp_gt_i32_e32 vcc_lo, 32, v9
	v_cndmask_b32_e32 v9, v1, v9, vcc_lo
	;; [unrolled: 7-line block ×3, first 2 shown]
	s_and_b32 vcc_lo, exec_lo, s19
	v_lshlrev_b32_e32 v10, 2, v1
	s_waitcnt lgkmcnt(0)
	v_add_f32_e32 v1, v2, v11
	v_lshrrev_b32_e32 v11, 5, v0
	ds_bpermute_b32 v2, v10, v1
	v_lshl_add_u32 v11, v11, 2, 0
	s_waitcnt lgkmcnt(0)
	v_add_f32_e32 v1, v1, v2
	s_cbranch_vccz .LBB102_12
; %bb.11:
	s_mov_b32 s3, 0
	ds_write_b32 v11, v1
.LBB102_12:
	v_mov_b32_e32 v2, 0
	s_andn2_b32 vcc_lo, exec_lo, s3
	s_cbranch_vccnz .LBB102_14
; %bb.13:
	v_add_f32_e32 v2, v5, v4
	ds_bpermute_b32 v4, v3, v2
	s_waitcnt lgkmcnt(0)
	v_add_f32_e32 v2, v2, v4
	ds_bpermute_b32 v4, v6, v2
	s_waitcnt lgkmcnt(0)
	;; [unrolled: 3-line block ×5, first 2 shown]
	v_add_f32_e32 v2, v2, v4
	ds_write2_b32 v11, v1, v2 offset1:32
.LBB102_14:
	s_waitcnt lgkmcnt(0)
	s_barrier
	buffer_gl0_inv
	s_and_saveexec_b32 s3, s2
	s_cbranch_execz .LBB102_18
; %bb.15:
	ds_read_b32 v1, v7
	s_andn2_b32 vcc_lo, exec_lo, s1
	s_waitcnt lgkmcnt(0)
	ds_bpermute_b32 v4, v3, v1
	s_waitcnt lgkmcnt(0)
	v_add_f32_e32 v1, v1, v4
	ds_bpermute_b32 v4, v6, v1
	s_waitcnt lgkmcnt(0)
	v_add_f32_e32 v1, v1, v4
	ds_bpermute_b32 v4, v8, v1
	s_waitcnt lgkmcnt(0)
	v_add_f32_e32 v1, v1, v4
	ds_bpermute_b32 v4, v9, v1
	s_waitcnt lgkmcnt(0)
	v_add_f32_e32 v1, v1, v4
	ds_bpermute_b32 v4, v10, v1
	s_cbranch_vccnz .LBB102_17
; %bb.16:
	ds_read_b32 v2, v7 offset:128
	s_waitcnt lgkmcnt(0)
	ds_bpermute_b32 v3, v3, v2
	s_waitcnt lgkmcnt(0)
	v_add_f32_e32 v2, v2, v3
	ds_bpermute_b32 v3, v6, v2
	s_waitcnt lgkmcnt(0)
	v_add_f32_e32 v2, v2, v3
	ds_bpermute_b32 v3, v8, v2
	s_waitcnt lgkmcnt(0)
	v_add_f32_e32 v2, v2, v3
	ds_bpermute_b32 v3, v9, v2
	s_waitcnt lgkmcnt(0)
	v_add_f32_e32 v2, v2, v3
	ds_bpermute_b32 v3, v10, v2
	s_waitcnt lgkmcnt(0)
	v_add_f32_e32 v2, v2, v3
.LBB102_17:
	s_waitcnt lgkmcnt(0)
	v_add_f32_e32 v1, v1, v4
.LBB102_18:
	s_or_b32 exec_lo, exec_lo, s3
	s_barrier
	buffer_gl0_inv
	s_mov_b32 s2, exec_lo
	v_cmpx_eq_u32_e32 0, v0
	s_cbranch_execz .LBB102_42
; %bb.19:
	s_cmp_eq_u64 s[26:27], 0
	s_cselect_b32 s10, -1, 0
	s_cmp_eq_u64 s[24:25], 0
	s_cselect_b32 s2, s0, s7
	s_mul_i32 s2, s2, s30
	s_ashr_i32 s3, s2, 31
	s_and_b32 vcc_lo, exec_lo, s10
	s_cbranch_vccnz .LBB102_21
; %bb.20:
	s_cselect_b32 s7, 0, s27
	s_cselect_b32 s12, 0, s26
	s_lshl_b64 s[10:11], s[2:3], 2
	s_add_u32 s12, s12, s10
	s_addc_u32 s13, s7, s11
	s_ashr_i32 s7, s6, 31
	s_lshl_b64 s[10:11], s[6:7], 2
	s_add_u32 s10, s12, s10
	s_addc_u32 s11, s13, s11
	s_load_dword s7, s[10:11], 0x0
	s_waitcnt lgkmcnt(0)
	v_add_f32_e32 v1, s7, v1
.LBB102_21:
	s_andn2_b32 vcc_lo, exec_lo, s1
	s_cbranch_vccnz .LBB102_41
; %bb.22:
	s_cmp_lg_u64 s[38:39], 0
	s_cselect_b32 s7, -1, 0
	s_and_b32 s1, s7, s1
	s_andn2_b32 vcc_lo, exec_lo, s1
	s_cbranch_vccnz .LBB102_24
; %bb.23:
	s_and_b32 s7, s7, exec_lo
	s_cselect_b32 s7, s39, 0
	s_cselect_b32 s10, s38, 0
	s_and_b32 s1, s1, exec_lo
	s_cselect_b32 s3, s3, 0
	s_cselect_b32 s2, s2, 0
	s_lshl_b64 s[2:3], s[2:3], 2
	s_add_u32 s1, s10, s2
	s_addc_u32 s10, s7, s3
	s_ashr_i32 s7, s6, 31
	s_lshl_b64 s[2:3], s[6:7], 2
	s_add_u32 s2, s1, s2
	s_addc_u32 s3, s10, s3
	s_load_dword s1, s[2:3], 0x0
	s_waitcnt lgkmcnt(0)
	v_add_f32_e32 v2, s1, v2
.LBB102_24:
	s_cmp_lt_i32 s9, 2
	s_cbranch_scc1 .LBB102_29
; %bb.25:
	s_cmp_lt_i32 s9, 3
	s_cbranch_scc1 .LBB102_30
; %bb.26:
	v_mov_b32_e32 v0, v1
	s_cmp_eq_u32 s9, 3
	s_cbranch_scc0 .LBB102_28
; %bb.27:
	v_max_f32_e32 v0, v2, v2
	v_min_f32_e32 v0, 0x40e00000, v0
	v_mul_f32_e32 v3, 0xbfd9db23, v0
	v_mul_f32_e32 v4, 0x3fb8aa3b, v3
	v_cmp_ngt_f32_e32 vcc_lo, 0xc2ce8ed0, v3
	v_fma_f32 v5, 0x3fb8aa3b, v3, -v4
	v_rndne_f32_e32 v6, v4
	v_fmamk_f32 v5, v3, 0x32a5705f, v5
	v_sub_f32_e32 v4, v4, v6
	v_add_f32_e32 v4, v4, v5
	v_cvt_i32_f32_e32 v5, v6
	v_exp_f32_e32 v4, v4
	v_ldexp_f32 v4, v4, v5
	v_cndmask_b32_e32 v4, 0, v4, vcc_lo
	v_cmp_nlt_f32_e32 vcc_lo, 0x42b17218, v3
	v_cndmask_b32_e32 v3, 0x7f800000, v4, vcc_lo
	v_add_f32_e32 v3, 1.0, v3
	v_div_scale_f32 v4, null, v3, v3, v0
	v_div_scale_f32 v7, vcc_lo, v0, v3, v0
	v_rcp_f32_e32 v5, v4
	v_fma_f32 v6, -v4, v5, 1.0
	v_fmac_f32_e32 v5, v6, v5
	v_mul_f32_e32 v6, v7, v5
	v_fma_f32 v8, -v4, v6, v7
	v_fmac_f32_e32 v6, v8, v5
	v_max_f32_e32 v8, v1, v1
	v_fma_f32 v4, -v4, v6, v7
	v_min_f32_e32 v7, 0x40e00000, v8
	v_div_fmas_f32 v4, v4, v5, v6
	v_max_f32_e32 v5, 0xc0e00000, v7
	v_div_fixup_f32 v0, v4, v3, v0
	v_add_f32_e32 v3, 1.0, v5
	v_mul_f32_e32 v0, v3, v0
.LBB102_28:
	s_cbranch_execz .LBB102_31
	s_branch .LBB102_32
.LBB102_29:
                                        ; implicit-def: $vgpr0
	s_branch .LBB102_33
.LBB102_30:
                                        ; implicit-def: $vgpr0
.LBB102_31:
	v_mul_f32_e32 v0, 0xbfb8aa3b, v2
	v_cmp_nlt_f32_e32 vcc_lo, 0x42ce8ed0, v2
	v_rndne_f32_e32 v3, v0
	v_fma_f32 v4, 0xbfb8aa3b, v2, -v0
	v_sub_f32_e32 v0, v0, v3
	v_fmamk_f32 v4, v2, 0xb2a5705f, v4
	v_cvt_i32_f32_e32 v3, v3
	v_add_f32_e32 v0, v0, v4
	v_exp_f32_e32 v0, v0
	v_ldexp_f32 v0, v0, v3
	v_cndmask_b32_e32 v0, 0, v0, vcc_lo
	v_cmp_ngt_f32_e32 vcc_lo, 0xc2b17218, v2
	v_cndmask_b32_e32 v0, 0x7f800000, v0, vcc_lo
	v_add_f32_e32 v0, 1.0, v0
	v_div_scale_f32 v3, null, v0, v0, v2
	v_rcp_f32_e32 v4, v3
	v_fma_f32 v5, -v3, v4, 1.0
	v_fmac_f32_e32 v4, v5, v4
	v_div_scale_f32 v5, vcc_lo, v2, v0, v2
	v_mul_f32_e32 v6, v5, v4
	v_fma_f32 v7, -v3, v6, v5
	v_fmac_f32_e32 v6, v7, v4
	v_fma_f32 v3, -v3, v6, v5
	v_div_fmas_f32 v3, v3, v4, v6
	v_div_fixup_f32 v0, v3, v0, v2
	v_mul_f32_e32 v0, v1, v0
.LBB102_32:
	s_cbranch_execnz .LBB102_40
.LBB102_33:
	s_cmp_eq_u32 s9, 1
	s_cbranch_scc0 .LBB102_39
; %bb.34:
	v_mul_f32_e32 v0, 0x3d372713, v2
	v_mul_f32_e32 v3, 0x3f4c422a, v2
	v_fma_f32 v0, v2, v0, 1.0
	v_mul_f32_e32 v0, v3, v0
                                        ; implicit-def: $vgpr3
	v_cmp_ngt_f32_e64 s1, 0x3f200000, |v0|
	s_and_saveexec_b32 s2, s1
	s_xor_b32 s1, exec_lo, s2
	s_cbranch_execz .LBB102_36
; %bb.35:
	v_add_f32_e64 v3, |v0|, |v0|
	v_mul_f32_e32 v4, 0x3fb8aa3b, v3
	v_cmp_ngt_f32_e32 vcc_lo, 0xc2ce8ed0, v3
	v_rndne_f32_e32 v5, v4
	v_fma_f32 v6, 0x3fb8aa3b, v3, -v4
	v_sub_f32_e32 v4, v4, v5
	v_fmamk_f32 v6, v3, 0x32a5705f, v6
	v_cvt_i32_f32_e32 v5, v5
	v_add_f32_e32 v4, v4, v6
	v_exp_f32_e32 v4, v4
	v_ldexp_f32 v4, v4, v5
	v_cndmask_b32_e32 v4, 0, v4, vcc_lo
	v_cmp_nlt_f32_e32 vcc_lo, 0x42b17218, v3
	v_cndmask_b32_e32 v3, 0x7f800000, v4, vcc_lo
	v_add_f32_e32 v3, 1.0, v3
	v_rcp_f32_e32 v3, v3
	v_fma_f32 v3, v3, -2.0, 1.0
.LBB102_36:
	s_andn2_saveexec_b32 s1, s1
	s_cbranch_execz .LBB102_38
; %bb.37:
	v_mul_f32_e32 v3, v0, v0
	s_mov_b32 s2, 0xbbbac73d
	v_fmaak_f32 v4, s2, v3, 0x3ca908c9
	v_fmaak_f32 v4, v3, v4, 0xbd5c1c4e
	;; [unrolled: 1-line block ×4, first 2 shown]
	v_mul_f32_e64 v4, |v0|, v4
	v_fma_f32 v3, v3, v4, |v0|
.LBB102_38:
	s_or_b32 exec_lo, exec_lo, s1
	v_bfi_b32 v0, 0x7fffffff, v3, v0
	v_mul_f32_e32 v2, 0.5, v2
	v_add_f32_e32 v0, 1.0, v0
	v_mul_f32_e32 v0, v2, v0
	v_mul_f32_e32 v1, v1, v0
.LBB102_39:
	v_mov_b32_e32 v0, v1
.LBB102_40:
	v_mov_b32_e32 v1, v0
.LBB102_41:
	s_load_dwordx2 s[2:3], s[4:5], 0x38
	s_mul_i32 s0, s30, s0
	s_mul_i32 s4, s18, s8
	s_ashr_i32 s1, s0, 31
	v_mov_b32_e32 v0, 0
	s_lshl_b64 s[0:1], s[0:1], 2
	s_waitcnt lgkmcnt(0)
	s_add_u32 s2, s2, s0
	s_addc_u32 s3, s3, s1
	s_ashr_i32 s5, s4, 31
	s_lshl_b64 s[0:1], s[4:5], 2
	s_add_u32 s2, s2, s0
	s_addc_u32 s3, s3, s1
	s_ashr_i32 s7, s6, 31
	s_lshl_b64 s[0:1], s[6:7], 2
	s_add_u32 s0, s2, s0
	s_addc_u32 s1, s3, s1
	global_store_dword v0, v1, s[0:1]
.LBB102_42:
	s_endpgm
	.section	.rodata,"a",@progbits
	.p2align	6, 0x0
	.amdhsa_kernel _ZL13mul_mat_vec_fI6__halfS0_Li1ELi256ELb1ELb1EEvPKT_PKfPKi31ggml_cuda_mm_fusion_args_devicePfi15HIP_vector_typeIjLj3EEiiiSB_iiiSB_iiii
		.amdhsa_group_segment_fixed_size 0
		.amdhsa_private_segment_fixed_size 0
		.amdhsa_kernarg_size 144
		.amdhsa_user_sgpr_count 6
		.amdhsa_user_sgpr_private_segment_buffer 1
		.amdhsa_user_sgpr_dispatch_ptr 0
		.amdhsa_user_sgpr_queue_ptr 0
		.amdhsa_user_sgpr_kernarg_segment_ptr 1
		.amdhsa_user_sgpr_dispatch_id 0
		.amdhsa_user_sgpr_flat_scratch_init 0
		.amdhsa_user_sgpr_private_segment_size 0
		.amdhsa_wavefront_size32 1
		.amdhsa_uses_dynamic_stack 0
		.amdhsa_system_sgpr_private_segment_wavefront_offset 0
		.amdhsa_system_sgpr_workgroup_id_x 1
		.amdhsa_system_sgpr_workgroup_id_y 1
		.amdhsa_system_sgpr_workgroup_id_z 1
		.amdhsa_system_sgpr_workgroup_info 0
		.amdhsa_system_vgpr_workitem_id 0
		.amdhsa_next_free_vgpr 15
		.amdhsa_next_free_sgpr 40
		.amdhsa_reserve_vcc 1
		.amdhsa_reserve_flat_scratch 0
		.amdhsa_float_round_mode_32 0
		.amdhsa_float_round_mode_16_64 0
		.amdhsa_float_denorm_mode_32 3
		.amdhsa_float_denorm_mode_16_64 3
		.amdhsa_dx10_clamp 1
		.amdhsa_ieee_mode 1
		.amdhsa_fp16_overflow 0
		.amdhsa_workgroup_processor_mode 1
		.amdhsa_memory_ordered 1
		.amdhsa_forward_progress 1
		.amdhsa_shared_vgpr_count 0
		.amdhsa_exception_fp_ieee_invalid_op 0
		.amdhsa_exception_fp_denorm_src 0
		.amdhsa_exception_fp_ieee_div_zero 0
		.amdhsa_exception_fp_ieee_overflow 0
		.amdhsa_exception_fp_ieee_underflow 0
		.amdhsa_exception_fp_ieee_inexact 0
		.amdhsa_exception_int_div_zero 0
	.end_amdhsa_kernel
	.section	.text._ZL13mul_mat_vec_fI6__halfS0_Li1ELi256ELb1ELb1EEvPKT_PKfPKi31ggml_cuda_mm_fusion_args_devicePfi15HIP_vector_typeIjLj3EEiiiSB_iiiSB_iiii,"axG",@progbits,_ZL13mul_mat_vec_fI6__halfS0_Li1ELi256ELb1ELb1EEvPKT_PKfPKi31ggml_cuda_mm_fusion_args_devicePfi15HIP_vector_typeIjLj3EEiiiSB_iiiSB_iiii,comdat
.Lfunc_end102:
	.size	_ZL13mul_mat_vec_fI6__halfS0_Li1ELi256ELb1ELb1EEvPKT_PKfPKi31ggml_cuda_mm_fusion_args_devicePfi15HIP_vector_typeIjLj3EEiiiSB_iiiSB_iiii, .Lfunc_end102-_ZL13mul_mat_vec_fI6__halfS0_Li1ELi256ELb1ELb1EEvPKT_PKfPKi31ggml_cuda_mm_fusion_args_devicePfi15HIP_vector_typeIjLj3EEiiiSB_iiiSB_iiii
                                        ; -- End function
	.set _ZL13mul_mat_vec_fI6__halfS0_Li1ELi256ELb1ELb1EEvPKT_PKfPKi31ggml_cuda_mm_fusion_args_devicePfi15HIP_vector_typeIjLj3EEiiiSB_iiiSB_iiii.num_vgpr, 15
	.set _ZL13mul_mat_vec_fI6__halfS0_Li1ELi256ELb1ELb1EEvPKT_PKfPKi31ggml_cuda_mm_fusion_args_devicePfi15HIP_vector_typeIjLj3EEiiiSB_iiiSB_iiii.num_agpr, 0
	.set _ZL13mul_mat_vec_fI6__halfS0_Li1ELi256ELb1ELb1EEvPKT_PKfPKi31ggml_cuda_mm_fusion_args_devicePfi15HIP_vector_typeIjLj3EEiiiSB_iiiSB_iiii.numbered_sgpr, 40
	.set _ZL13mul_mat_vec_fI6__halfS0_Li1ELi256ELb1ELb1EEvPKT_PKfPKi31ggml_cuda_mm_fusion_args_devicePfi15HIP_vector_typeIjLj3EEiiiSB_iiiSB_iiii.num_named_barrier, 0
	.set _ZL13mul_mat_vec_fI6__halfS0_Li1ELi256ELb1ELb1EEvPKT_PKfPKi31ggml_cuda_mm_fusion_args_devicePfi15HIP_vector_typeIjLj3EEiiiSB_iiiSB_iiii.private_seg_size, 0
	.set _ZL13mul_mat_vec_fI6__halfS0_Li1ELi256ELb1ELb1EEvPKT_PKfPKi31ggml_cuda_mm_fusion_args_devicePfi15HIP_vector_typeIjLj3EEiiiSB_iiiSB_iiii.uses_vcc, 1
	.set _ZL13mul_mat_vec_fI6__halfS0_Li1ELi256ELb1ELb1EEvPKT_PKfPKi31ggml_cuda_mm_fusion_args_devicePfi15HIP_vector_typeIjLj3EEiiiSB_iiiSB_iiii.uses_flat_scratch, 0
	.set _ZL13mul_mat_vec_fI6__halfS0_Li1ELi256ELb1ELb1EEvPKT_PKfPKi31ggml_cuda_mm_fusion_args_devicePfi15HIP_vector_typeIjLj3EEiiiSB_iiiSB_iiii.has_dyn_sized_stack, 0
	.set _ZL13mul_mat_vec_fI6__halfS0_Li1ELi256ELb1ELb1EEvPKT_PKfPKi31ggml_cuda_mm_fusion_args_devicePfi15HIP_vector_typeIjLj3EEiiiSB_iiiSB_iiii.has_recursion, 0
	.set _ZL13mul_mat_vec_fI6__halfS0_Li1ELi256ELb1ELb1EEvPKT_PKfPKi31ggml_cuda_mm_fusion_args_devicePfi15HIP_vector_typeIjLj3EEiiiSB_iiiSB_iiii.has_indirect_call, 0
	.section	.AMDGPU.csdata,"",@progbits
; Kernel info:
; codeLenInByte = 2172
; TotalNumSgprs: 42
; NumVgprs: 15
; ScratchSize: 0
; MemoryBound: 0
; FloatMode: 240
; IeeeMode: 1
; LDSByteSize: 0 bytes/workgroup (compile time only)
; SGPRBlocks: 0
; VGPRBlocks: 1
; NumSGPRsForWavesPerEU: 42
; NumVGPRsForWavesPerEU: 15
; Occupancy: 16
; WaveLimiterHint : 1
; COMPUTE_PGM_RSRC2:SCRATCH_EN: 0
; COMPUTE_PGM_RSRC2:USER_SGPR: 6
; COMPUTE_PGM_RSRC2:TRAP_HANDLER: 0
; COMPUTE_PGM_RSRC2:TGID_X_EN: 1
; COMPUTE_PGM_RSRC2:TGID_Y_EN: 1
; COMPUTE_PGM_RSRC2:TGID_Z_EN: 1
; COMPUTE_PGM_RSRC2:TIDIG_COMP_CNT: 0
	.section	.text._ZL13mul_mat_vec_fI6__halfS0_Li1ELi256ELb0ELb1EEvPKT_PKfPKi31ggml_cuda_mm_fusion_args_devicePfi15HIP_vector_typeIjLj3EEiiiSB_iiiSB_iiii,"axG",@progbits,_ZL13mul_mat_vec_fI6__halfS0_Li1ELi256ELb0ELb1EEvPKT_PKfPKi31ggml_cuda_mm_fusion_args_devicePfi15HIP_vector_typeIjLj3EEiiiSB_iiiSB_iiii,comdat
	.globl	_ZL13mul_mat_vec_fI6__halfS0_Li1ELi256ELb0ELb1EEvPKT_PKfPKi31ggml_cuda_mm_fusion_args_devicePfi15HIP_vector_typeIjLj3EEiiiSB_iiiSB_iiii ; -- Begin function _ZL13mul_mat_vec_fI6__halfS0_Li1ELi256ELb0ELb1EEvPKT_PKfPKi31ggml_cuda_mm_fusion_args_devicePfi15HIP_vector_typeIjLj3EEiiiSB_iiiSB_iiii
	.p2align	8
	.type	_ZL13mul_mat_vec_fI6__halfS0_Li1ELi256ELb0ELb1EEvPKT_PKfPKi31ggml_cuda_mm_fusion_args_devicePfi15HIP_vector_typeIjLj3EEiiiSB_iiiSB_iiii,@function
_ZL13mul_mat_vec_fI6__halfS0_Li1ELi256ELb0ELb1EEvPKT_PKfPKi31ggml_cuda_mm_fusion_args_devicePfi15HIP_vector_typeIjLj3EEiiiSB_iiiSB_iiii: ; @_ZL13mul_mat_vec_fI6__halfS0_Li1ELi256ELb0ELb1EEvPKT_PKfPKi31ggml_cuda_mm_fusion_args_devicePfi15HIP_vector_typeIjLj3EEiiiSB_iiiSB_iiii
; %bb.0:
	s_clause 0x2
	s_load_dword s2, s[4:5], 0x8c
	s_load_dwordx2 s[0:1], s[4:5], 0x10
	s_load_dwordx8 s[12:19], s[4:5], 0x40
	v_cmp_gt_u32_e32 vcc_lo, 32, v0
	v_lshl_add_u32 v5, v0, 2, 0
	s_waitcnt lgkmcnt(0)
	s_mul_i32 s2, s2, s8
	s_add_i32 s2, s2, s7
	s_ashr_i32 s3, s2, 31
	s_lshl_b64 s[2:3], s[2:3], 2
	s_add_u32 s2, s0, s2
	s_addc_u32 s3, s1, s3
	s_and_saveexec_b32 s0, vcc_lo
; %bb.1:
	v_mov_b32_e32 v1, 0
	ds_write_b32 v5, v1
; %bb.2:
	s_or_b32 exec_lo, exec_lo, s0
	s_load_dwordx4 s[20:23], s[4:5], 0x68
	v_mov_b32_e32 v1, 0
	v_mov_b32_e32 v2, 0
	s_mov_b32 s9, exec_lo
	s_waitcnt lgkmcnt(0)
	s_barrier
	buffer_gl0_inv
	v_cmpx_gt_i32_e64 s12, v0
	s_cbranch_execz .LBB103_6
; %bb.3:
	s_load_dword s19, s[2:3], 0x0
	s_load_dwordx4 s[24:27], s[4:5], 0x0
	s_mul_hi_u32 s1, s13, s7
	s_mul_i32 s2, s8, s17
	s_add_i32 s1, s7, s1
	s_lshl_b32 s2, s2, 1
	s_lshr_b32 s3, s1, s14
	s_mul_i32 s0, s16, s6
	s_mul_i32 s3, s3, s15
	v_lshlrev_b32_e32 v1, 3, v0
	s_sub_i32 s10, s7, s3
	s_ashr_i32 s3, s2, 31
	s_mul_i32 s10, s10, s21
	s_ashr_i32 s1, s0, 31
	s_ashr_i32 s11, s10, 31
	s_lshl_b64 s[2:3], s[2:3], 2
	s_lshl_b64 s[10:11], s[10:11], 2
	v_lshlrev_b32_e32 v3, 2, v0
	v_mov_b32_e32 v6, 0
	v_mov_b32_e32 v7, v0
	s_waitcnt lgkmcnt(0)
	s_mul_i32 s14, s19, s20
	s_ashr_i32 s15, s14, 31
	s_add_u32 s10, s26, s10
	s_addc_u32 s11, s27, s11
	s_add_u32 s10, s10, s2
	s_addc_u32 s11, s11, s3
	s_lshl_b64 s[2:3], s[0:1], 1
	v_add_co_u32 v1, s0, s10, v1
	v_add_co_ci_u32_e64 v2, null, s11, 0, s0
	s_lshl_b64 s[10:11], s[14:15], 1
	v_add_co_u32 v1, s0, v1, 4
	v_add_co_ci_u32_e64 v2, null, 0, v2, s0
	s_add_u32 s0, s24, s10
	s_addc_u32 s1, s25, s11
	s_add_u32 s0, s0, s2
	s_addc_u32 s1, s1, s3
	v_add_co_u32 v3, s0, s0, v3
	v_add_co_ci_u32_e64 v4, null, s1, 0, s0
	s_mov_b32 s2, 0
	.p2align	6
.LBB103_4:                              ; =>This Inner Loop Header: Depth=1
	global_load_dwordx2 v[8:9], v[1:2], off offset:-4
	global_load_dword v10, v[3:4], off
	v_add_nc_u32_e32 v7, 0x100, v7
	v_add_co_u32 v1, s0, 0x800, v1
	v_add_co_ci_u32_e64 v2, null, 0, v2, s0
	v_add_co_u32 v3, s0, 0x400, v3
	v_cmp_le_i32_e64 s1, s12, v7
	v_add_co_ci_u32_e64 v4, null, 0, v4, s0
	s_or_b32 s2, s1, s2
	s_waitcnt vmcnt(1)
	v_cvt_f16_f32_e32 v8, v8
	v_cvt_f16_f32_e32 v9, v9
	v_pack_b32_f16 v8, v8, v9
	s_waitcnt vmcnt(0)
	v_pk_fma_f16 v6, v10, v8, v6
	s_andn2_b32 exec_lo, exec_lo, s2
	s_cbranch_execnz .LBB103_4
; %bb.5:
	s_or_b32 exec_lo, exec_lo, s2
	v_cvt_f32_f16_sdwa v1, v6 dst_sel:DWORD dst_unused:UNUSED_PAD src0_sel:WORD_1
	v_cvt_f32_f16_e32 v2, v6
.LBB103_6:
	s_or_b32 exec_lo, exec_lo, s9
	v_mbcnt_lo_u32_b32 v7, -1, 0
	v_add_f32_e32 v2, v2, v1
	v_xor_b32_e32 v3, 16, v7
	v_xor_b32_e32 v9, 1, v7
	v_cmp_gt_i32_e64 s0, 32, v3
	v_cndmask_b32_e64 v3, v7, v3, s0
	v_lshlrev_b32_e32 v1, 2, v3
	v_xor_b32_e32 v3, 8, v7
	ds_bpermute_b32 v4, v1, v2
	v_cmp_gt_i32_e64 s0, 32, v3
	v_cndmask_b32_e64 v3, v7, v3, s0
	v_lshlrev_b32_e32 v3, 2, v3
	s_waitcnt lgkmcnt(0)
	v_add_f32_e32 v2, v2, v4
	v_xor_b32_e32 v4, 4, v7
	ds_bpermute_b32 v6, v3, v2
	v_cmp_gt_i32_e64 s0, 32, v4
	v_cndmask_b32_e64 v4, v7, v4, s0
	v_lshlrev_b32_e32 v4, 2, v4
	s_waitcnt lgkmcnt(0)
	v_add_f32_e32 v2, v2, v6
	v_xor_b32_e32 v6, 2, v7
	ds_bpermute_b32 v8, v4, v2
	v_cmp_gt_i32_e64 s0, 32, v6
	v_cndmask_b32_e64 v6, v7, v6, s0
	v_cmp_gt_i32_e64 s0, 32, v9
	v_lshlrev_b32_e32 v6, 2, v6
	v_cndmask_b32_e64 v7, v7, v9, s0
	v_lshrrev_b32_e32 v9, 3, v0
	v_lshlrev_b32_e32 v7, 2, v7
	v_and_b32_e32 v9, 0x7c, v9
	s_waitcnt lgkmcnt(0)
	v_add_f32_e32 v2, v2, v8
	v_add_nc_u32_e32 v9, 0, v9
	ds_bpermute_b32 v8, v6, v2
	s_waitcnt lgkmcnt(0)
	v_add_f32_e32 v2, v2, v8
	ds_bpermute_b32 v8, v7, v2
	s_waitcnt lgkmcnt(0)
	v_add_f32_e32 v2, v2, v8
	ds_write_b32 v9, v2
	s_waitcnt lgkmcnt(0)
	s_barrier
	buffer_gl0_inv
	s_and_saveexec_b32 s0, vcc_lo
	s_cbranch_execz .LBB103_8
; %bb.7:
	ds_read_b32 v2, v5
	s_waitcnt lgkmcnt(0)
	ds_bpermute_b32 v1, v1, v2
	s_waitcnt lgkmcnt(0)
	v_add_f32_e32 v1, v2, v1
	ds_bpermute_b32 v2, v3, v1
	s_waitcnt lgkmcnt(0)
	v_add_f32_e32 v1, v1, v2
	;; [unrolled: 3-line block ×5, first 2 shown]
.LBB103_8:
	s_or_b32 exec_lo, exec_lo, s0
	s_barrier
	buffer_gl0_inv
	s_mov_b32 s0, exec_lo
	v_cmpx_eq_u32_e32 0, v0
	s_cbranch_execz .LBB103_10
; %bb.9:
	s_load_dwordx2 s[0:1], s[4:5], 0x38
	s_mul_i32 s2, s22, s7
	s_mul_i32 s4, s18, s8
	s_ashr_i32 s3, s2, 31
	v_mov_b32_e32 v0, 0
	s_lshl_b64 s[2:3], s[2:3], 2
	s_waitcnt lgkmcnt(0)
	s_add_u32 s2, s0, s2
	s_addc_u32 s3, s1, s3
	s_ashr_i32 s5, s4, 31
	s_lshl_b64 s[0:1], s[4:5], 2
	s_add_u32 s2, s2, s0
	s_addc_u32 s3, s3, s1
	s_ashr_i32 s7, s6, 31
	s_lshl_b64 s[0:1], s[6:7], 2
	s_add_u32 s0, s2, s0
	s_addc_u32 s1, s3, s1
	global_store_dword v0, v2, s[0:1]
.LBB103_10:
	s_endpgm
	.section	.rodata,"a",@progbits
	.p2align	6, 0x0
	.amdhsa_kernel _ZL13mul_mat_vec_fI6__halfS0_Li1ELi256ELb0ELb1EEvPKT_PKfPKi31ggml_cuda_mm_fusion_args_devicePfi15HIP_vector_typeIjLj3EEiiiSB_iiiSB_iiii
		.amdhsa_group_segment_fixed_size 0
		.amdhsa_private_segment_fixed_size 0
		.amdhsa_kernarg_size 144
		.amdhsa_user_sgpr_count 6
		.amdhsa_user_sgpr_private_segment_buffer 1
		.amdhsa_user_sgpr_dispatch_ptr 0
		.amdhsa_user_sgpr_queue_ptr 0
		.amdhsa_user_sgpr_kernarg_segment_ptr 1
		.amdhsa_user_sgpr_dispatch_id 0
		.amdhsa_user_sgpr_flat_scratch_init 0
		.amdhsa_user_sgpr_private_segment_size 0
		.amdhsa_wavefront_size32 1
		.amdhsa_uses_dynamic_stack 0
		.amdhsa_system_sgpr_private_segment_wavefront_offset 0
		.amdhsa_system_sgpr_workgroup_id_x 1
		.amdhsa_system_sgpr_workgroup_id_y 1
		.amdhsa_system_sgpr_workgroup_id_z 1
		.amdhsa_system_sgpr_workgroup_info 0
		.amdhsa_system_vgpr_workitem_id 0
		.amdhsa_next_free_vgpr 11
		.amdhsa_next_free_sgpr 28
		.amdhsa_reserve_vcc 1
		.amdhsa_reserve_flat_scratch 0
		.amdhsa_float_round_mode_32 0
		.amdhsa_float_round_mode_16_64 0
		.amdhsa_float_denorm_mode_32 3
		.amdhsa_float_denorm_mode_16_64 3
		.amdhsa_dx10_clamp 1
		.amdhsa_ieee_mode 1
		.amdhsa_fp16_overflow 0
		.amdhsa_workgroup_processor_mode 1
		.amdhsa_memory_ordered 1
		.amdhsa_forward_progress 1
		.amdhsa_shared_vgpr_count 0
		.amdhsa_exception_fp_ieee_invalid_op 0
		.amdhsa_exception_fp_denorm_src 0
		.amdhsa_exception_fp_ieee_div_zero 0
		.amdhsa_exception_fp_ieee_overflow 0
		.amdhsa_exception_fp_ieee_underflow 0
		.amdhsa_exception_fp_ieee_inexact 0
		.amdhsa_exception_int_div_zero 0
	.end_amdhsa_kernel
	.section	.text._ZL13mul_mat_vec_fI6__halfS0_Li1ELi256ELb0ELb1EEvPKT_PKfPKi31ggml_cuda_mm_fusion_args_devicePfi15HIP_vector_typeIjLj3EEiiiSB_iiiSB_iiii,"axG",@progbits,_ZL13mul_mat_vec_fI6__halfS0_Li1ELi256ELb0ELb1EEvPKT_PKfPKi31ggml_cuda_mm_fusion_args_devicePfi15HIP_vector_typeIjLj3EEiiiSB_iiiSB_iiii,comdat
.Lfunc_end103:
	.size	_ZL13mul_mat_vec_fI6__halfS0_Li1ELi256ELb0ELb1EEvPKT_PKfPKi31ggml_cuda_mm_fusion_args_devicePfi15HIP_vector_typeIjLj3EEiiiSB_iiiSB_iiii, .Lfunc_end103-_ZL13mul_mat_vec_fI6__halfS0_Li1ELi256ELb0ELb1EEvPKT_PKfPKi31ggml_cuda_mm_fusion_args_devicePfi15HIP_vector_typeIjLj3EEiiiSB_iiiSB_iiii
                                        ; -- End function
	.set _ZL13mul_mat_vec_fI6__halfS0_Li1ELi256ELb0ELb1EEvPKT_PKfPKi31ggml_cuda_mm_fusion_args_devicePfi15HIP_vector_typeIjLj3EEiiiSB_iiiSB_iiii.num_vgpr, 11
	.set _ZL13mul_mat_vec_fI6__halfS0_Li1ELi256ELb0ELb1EEvPKT_PKfPKi31ggml_cuda_mm_fusion_args_devicePfi15HIP_vector_typeIjLj3EEiiiSB_iiiSB_iiii.num_agpr, 0
	.set _ZL13mul_mat_vec_fI6__halfS0_Li1ELi256ELb0ELb1EEvPKT_PKfPKi31ggml_cuda_mm_fusion_args_devicePfi15HIP_vector_typeIjLj3EEiiiSB_iiiSB_iiii.numbered_sgpr, 28
	.set _ZL13mul_mat_vec_fI6__halfS0_Li1ELi256ELb0ELb1EEvPKT_PKfPKi31ggml_cuda_mm_fusion_args_devicePfi15HIP_vector_typeIjLj3EEiiiSB_iiiSB_iiii.num_named_barrier, 0
	.set _ZL13mul_mat_vec_fI6__halfS0_Li1ELi256ELb0ELb1EEvPKT_PKfPKi31ggml_cuda_mm_fusion_args_devicePfi15HIP_vector_typeIjLj3EEiiiSB_iiiSB_iiii.private_seg_size, 0
	.set _ZL13mul_mat_vec_fI6__halfS0_Li1ELi256ELb0ELb1EEvPKT_PKfPKi31ggml_cuda_mm_fusion_args_devicePfi15HIP_vector_typeIjLj3EEiiiSB_iiiSB_iiii.uses_vcc, 1
	.set _ZL13mul_mat_vec_fI6__halfS0_Li1ELi256ELb0ELb1EEvPKT_PKfPKi31ggml_cuda_mm_fusion_args_devicePfi15HIP_vector_typeIjLj3EEiiiSB_iiiSB_iiii.uses_flat_scratch, 0
	.set _ZL13mul_mat_vec_fI6__halfS0_Li1ELi256ELb0ELb1EEvPKT_PKfPKi31ggml_cuda_mm_fusion_args_devicePfi15HIP_vector_typeIjLj3EEiiiSB_iiiSB_iiii.has_dyn_sized_stack, 0
	.set _ZL13mul_mat_vec_fI6__halfS0_Li1ELi256ELb0ELb1EEvPKT_PKfPKi31ggml_cuda_mm_fusion_args_devicePfi15HIP_vector_typeIjLj3EEiiiSB_iiiSB_iiii.has_recursion, 0
	.set _ZL13mul_mat_vec_fI6__halfS0_Li1ELi256ELb0ELb1EEvPKT_PKfPKi31ggml_cuda_mm_fusion_args_devicePfi15HIP_vector_typeIjLj3EEiiiSB_iiiSB_iiii.has_indirect_call, 0
	.section	.AMDGPU.csdata,"",@progbits
; Kernel info:
; codeLenInByte = 984
; TotalNumSgprs: 30
; NumVgprs: 11
; ScratchSize: 0
; MemoryBound: 0
; FloatMode: 240
; IeeeMode: 1
; LDSByteSize: 0 bytes/workgroup (compile time only)
; SGPRBlocks: 0
; VGPRBlocks: 1
; NumSGPRsForWavesPerEU: 30
; NumVGPRsForWavesPerEU: 11
; Occupancy: 16
; WaveLimiterHint : 1
; COMPUTE_PGM_RSRC2:SCRATCH_EN: 0
; COMPUTE_PGM_RSRC2:USER_SGPR: 6
; COMPUTE_PGM_RSRC2:TRAP_HANDLER: 0
; COMPUTE_PGM_RSRC2:TGID_X_EN: 1
; COMPUTE_PGM_RSRC2:TGID_Y_EN: 1
; COMPUTE_PGM_RSRC2:TGID_Z_EN: 1
; COMPUTE_PGM_RSRC2:TIDIG_COMP_CNT: 0
	.section	.text._ZL13mul_mat_vec_fI6__halfS0_Li1ELi32ELb1ELb0EEvPKT_PKfPKi31ggml_cuda_mm_fusion_args_devicePfi15HIP_vector_typeIjLj3EEiiiSB_iiiSB_iiii,"axG",@progbits,_ZL13mul_mat_vec_fI6__halfS0_Li1ELi32ELb1ELb0EEvPKT_PKfPKi31ggml_cuda_mm_fusion_args_devicePfi15HIP_vector_typeIjLj3EEiiiSB_iiiSB_iiii,comdat
	.globl	_ZL13mul_mat_vec_fI6__halfS0_Li1ELi32ELb1ELb0EEvPKT_PKfPKi31ggml_cuda_mm_fusion_args_devicePfi15HIP_vector_typeIjLj3EEiiiSB_iiiSB_iiii ; -- Begin function _ZL13mul_mat_vec_fI6__halfS0_Li1ELi32ELb1ELb0EEvPKT_PKfPKi31ggml_cuda_mm_fusion_args_devicePfi15HIP_vector_typeIjLj3EEiiiSB_iiiSB_iiii
	.p2align	8
	.type	_ZL13mul_mat_vec_fI6__halfS0_Li1ELi32ELb1ELb0EEvPKT_PKfPKi31ggml_cuda_mm_fusion_args_devicePfi15HIP_vector_typeIjLj3EEiiiSB_iiiSB_iiii,@function
_ZL13mul_mat_vec_fI6__halfS0_Li1ELi32ELb1ELb0EEvPKT_PKfPKi31ggml_cuda_mm_fusion_args_devicePfi15HIP_vector_typeIjLj3EEiiiSB_iiiSB_iiii: ; @_ZL13mul_mat_vec_fI6__halfS0_Li1ELi32ELb1ELb0EEvPKT_PKfPKi31ggml_cuda_mm_fusion_args_devicePfi15HIP_vector_typeIjLj3EEiiiSB_iiiSB_iiii
; %bb.0:
	s_clause 0x3
	s_load_dwordx8 s[12:19], s[4:5], 0x0
	s_load_dwordx4 s[24:27], s[4:5], 0x20
	s_load_dwordx4 s[36:39], s[4:5], 0x40
	;; [unrolled: 1-line block ×3, first 2 shown]
	s_mov_b32 s0, s7
	s_waitcnt lgkmcnt(0)
	s_cmp_eq_u64 s[16:17], 0
	s_cselect_b32 s1, -1, 0
	s_cmp_lg_u64 s[16:17], 0
	s_cselect_b32 s10, -1, 0
	s_and_b32 vcc_lo, exec_lo, s1
	s_cbranch_vccnz .LBB104_2
; %bb.1:
	s_mul_i32 s2, s31, s8
	s_mov_b32 s3, 0
	s_add_i32 s2, s2, s0
	s_lshl_b64 s[20:21], s[2:3], 2
	s_add_u32 s16, s16, s20
	s_addc_u32 s17, s17, s21
	s_load_dword s7, s[16:17], 0x0
	s_branch .LBB104_3
.LBB104_2:
	s_mov_b32 s3, -1
                                        ; implicit-def: $sgpr7
.LBB104_3:
	s_clause 0x1
	s_load_dwordx4 s[20:23], s[4:5], 0x68
	s_load_dword s2, s[4:5], 0x50
	s_andn2_b32 vcc_lo, exec_lo, s3
	s_waitcnt lgkmcnt(0)
	s_mov_b32 s9, s7
	s_cbranch_vccnz .LBB104_5
; %bb.4:
	s_load_dwordx2 s[16:17], s[4:5], 0x5c
	s_mov_b32 s7, s0
	s_waitcnt lgkmcnt(0)
	s_mul_hi_u32 s3, s16, s0
	s_add_i32 s3, s0, s3
	s_lshr_b32 s9, s3, s17
.LBB104_5:
	s_load_dword s16, s[4:5], 0x78
	s_andn2_b32 vcc_lo, exec_lo, s10
	s_mov_b32 s10, s0
	s_cbranch_vccnz .LBB104_7
; %bb.6:
	s_mul_hi_u32 s3, s37, s0
	s_add_i32 s3, s0, s3
	s_lshr_b32 s3, s3, s38
	s_mul_i32 s3, s3, s39
	s_sub_i32 s10, s0, s3
.LBB104_7:
	s_and_b32 s1, exec_lo, s1
	v_mov_b32_e32 v7, 0
	v_mov_b32_e32 v1, 0
	;; [unrolled: 1-line block ×3, first 2 shown]
	s_cselect_b32 s11, s8, 0
	s_cmp_lg_u64 s[24:25], 0
	s_mov_b32 s8, 0
	s_cselect_b32 s1, -1, 0
	s_mov_b32 s3, exec_lo
	v_cmpx_gt_i32_e64 s36, v0
	s_cbranch_execz .LBB104_14
; %bb.8:
	s_mul_hi_u32 s17, s23, s11
	s_mul_i32 s9, s9, s20
	s_add_i32 s17, s11, s17
	s_mul_i32 s2, s2, s6
	s_waitcnt lgkmcnt(0)
	s_lshr_b32 s16, s17, s16
	s_ashr_i32 s20, s9, 31
	s_mul_hi_i32 s17, s16, s28
	s_mul_i32 s16, s16, s28
	s_ashr_i32 s23, s2, 31
	s_add_u32 s2, s16, s2
	s_addc_u32 s17, s17, s23
	s_add_u32 s16, s2, s9
	s_addc_u32 s17, s17, s20
	s_mul_i32 s20, s10, s21
	s_and_b32 s2, s1, exec_lo
	s_cselect_b32 s35, s17, 0
	s_cselect_b32 s34, s16, 0
	s_ashr_i32 s21, s20, 31
	s_and_b32 s2, s1, exec_lo
	v_lshlrev_b32_e32 v5, 2, v0
	s_cselect_b32 s2, s25, 0
	s_cselect_b32 s9, s24, 0
	s_lshl_b64 s[24:25], s[34:35], 1
	v_lshlrev_b32_e32 v3, 3, v0
	s_add_u32 s9, s9, s24
	s_addc_u32 s2, s2, s25
	s_mul_hi_i32 s25, s11, s29
	s_mul_i32 s24, s11, s29
	v_add_co_u32 v1, s9, s9, v5
	s_lshl_b64 s[20:21], s[20:21], 2
	s_lshl_b64 s[24:25], s[24:25], 2
	v_add_co_ci_u32_e64 v2, null, s2, 0, s9
	s_add_u32 s2, s14, s20
	s_addc_u32 s9, s15, s21
	s_add_u32 s2, s2, s24
	s_addc_u32 s9, s9, s25
	v_add_co_u32 v3, s2, s2, v3
	s_lshl_b64 s[14:15], s[16:17], 1
	v_add_co_ci_u32_e64 v4, null, s9, 0, s2
	s_add_u32 s2, s12, s14
	v_add_co_u32 v3, vcc_lo, v3, 4
	s_addc_u32 s9, s13, s15
	v_add_co_u32 v5, s2, s2, v5
	v_add_co_ci_u32_e64 v4, null, 0, v4, vcc_lo
	v_add_co_ci_u32_e64 v6, null, s9, 0, s2
	v_mov_b32_e32 v7, 0
	v_mov_b32_e32 v9, v0
	;; [unrolled: 1-line block ×3, first 2 shown]
	s_inst_prefetch 0x1
	s_branch .LBB104_11
	.p2align	6
.LBB104_9:                              ;   in Loop: Header=BB104_11 Depth=1
	global_load_dword v11, v[1:2], off
.LBB104_10:                             ;   in Loop: Header=BB104_11 Depth=1
	global_load_dwordx2 v[12:13], v[3:4], off offset:-4
	v_add_nc_u32_e32 v9, 32, v9
	v_add_co_u32 v1, vcc_lo, 0x80, v1
	v_add_co_ci_u32_e64 v2, null, 0, v2, vcc_lo
	v_add_co_u32 v3, vcc_lo, 0x100, v3
	v_add_co_ci_u32_e64 v4, null, 0, v4, vcc_lo
	v_cmp_le_i32_e32 vcc_lo, s36, v9
	v_add_co_u32 v5, s2, 0x80, v5
	v_add_co_ci_u32_e64 v6, null, 0, v6, s2
	s_or_b32 s8, vcc_lo, s8
	s_waitcnt vmcnt(0)
	v_cvt_f16_f32_e32 v12, v12
	v_cvt_f16_f32_e32 v13, v13
	v_pack_b32_f16 v12, v12, v13
	v_pk_fma_f16 v11, v11, v12, v8
	v_pk_fma_f16 v7, v10, v12, v7
	v_cndmask_b32_e64 v8, v8, v11, s1
	s_andn2_b32 exec_lo, exec_lo, s8
	s_cbranch_execz .LBB104_13
.LBB104_11:                             ; =>This Inner Loop Header: Depth=1
	global_load_dword v10, v[5:6], off
	s_andn2_b32 vcc_lo, exec_lo, s1
	s_cbranch_vccz .LBB104_9
; %bb.12:                               ;   in Loop: Header=BB104_11 Depth=1
	v_mov_b32_e32 v11, 0
	s_branch .LBB104_10
.LBB104_13:
	s_inst_prefetch 0x2
	s_or_b32 exec_lo, exec_lo, s8
	v_cvt_f32_f16_sdwa v1, v8 dst_sel:DWORD dst_unused:UNUSED_PAD src0_sel:WORD_1
	v_cvt_f32_f16_e32 v2, v8
.LBB104_14:
	s_or_b32 exec_lo, exec_lo, s3
	v_mbcnt_lo_u32_b32 v4, -1, 0
	v_cvt_f32_f16_e32 v5, v7
	v_cvt_f32_f16_sdwa v6, v7 dst_sel:DWORD dst_unused:UNUSED_PAD src0_sel:WORD_1
	s_load_dword s10, s[4:5], 0x30
	v_xor_b32_e32 v3, 16, v4
	v_add_f32_e32 v5, v5, v6
	v_xor_b32_e32 v6, 8, v4
	v_cmp_gt_i32_e32 vcc_lo, 32, v3
	v_cndmask_b32_e32 v3, v4, v3, vcc_lo
	v_cmp_gt_i32_e32 vcc_lo, 32, v6
	v_lshlrev_b32_e32 v3, 2, v3
	v_cndmask_b32_e32 v6, v4, v6, vcc_lo
	ds_bpermute_b32 v7, v3, v5
	v_lshlrev_b32_e32 v6, 2, v6
	s_waitcnt lgkmcnt(0)
	v_add_f32_e32 v5, v5, v7
	v_xor_b32_e32 v7, 4, v4
	ds_bpermute_b32 v8, v6, v5
	v_cmp_gt_i32_e32 vcc_lo, 32, v7
	v_cndmask_b32_e32 v7, v4, v7, vcc_lo
	v_lshlrev_b32_e32 v7, 2, v7
	s_waitcnt lgkmcnt(0)
	v_add_f32_e32 v5, v5, v8
	v_xor_b32_e32 v8, 2, v4
	ds_bpermute_b32 v9, v7, v5
	v_cmp_gt_i32_e32 vcc_lo, 32, v8
	v_cndmask_b32_e32 v8, v4, v8, vcc_lo
	;; [unrolled: 7-line block ×3, first 2 shown]
	s_andn2_b32 vcc_lo, exec_lo, s1
	v_lshlrev_b32_e32 v9, 2, v4
	s_waitcnt lgkmcnt(0)
	v_add_f32_e32 v4, v5, v10
	ds_bpermute_b32 v5, v9, v4
	s_cbranch_vccnz .LBB104_16
; %bb.15:
	v_add_f32_e32 v1, v2, v1
	ds_bpermute_b32 v2, v3, v1
	s_waitcnt lgkmcnt(0)
	v_add_f32_e32 v1, v1, v2
	ds_bpermute_b32 v2, v6, v1
	s_waitcnt lgkmcnt(0)
	;; [unrolled: 3-line block ×5, first 2 shown]
	v_add_f32_e32 v1, v1, v2
	s_branch .LBB104_17
.LBB104_16:
	v_mov_b32_e32 v1, 0
.LBB104_17:
	s_mov_b32 s2, exec_lo
	v_cmpx_eq_u32_e32 0, v0
	s_cbranch_execz .LBB104_41
; %bb.18:
	s_cmp_eq_u64 s[18:19], 0
	s_waitcnt lgkmcnt(0)
	v_add_f32_e32 v0, v4, v5
	s_mul_i32 s8, s7, s22
	s_cselect_b32 s2, -1, 0
	s_ashr_i32 s9, s8, 31
	s_mul_hi_i32 s3, s30, s11
	s_and_b32 vcc_lo, exec_lo, s2
	s_mul_i32 s2, s30, s11
	s_cbranch_vccnz .LBB104_20
; %bb.19:
	s_cselect_b32 s7, 0, s19
	s_cselect_b32 s11, 0, s18
	s_lshl_b64 s[12:13], s[2:3], 2
	s_add_u32 s11, s11, s12
	s_addc_u32 s7, s7, s13
	s_lshl_b64 s[12:13], s[8:9], 2
	s_add_u32 s11, s11, s12
	s_addc_u32 s14, s7, s13
	s_ashr_i32 s7, s6, 31
	s_lshl_b64 s[12:13], s[6:7], 2
	s_add_u32 s12, s11, s12
	s_addc_u32 s13, s14, s13
	s_load_dword s7, s[12:13], 0x0
	s_waitcnt lgkmcnt(0)
	v_add_f32_e32 v0, s7, v0
.LBB104_20:
	s_andn2_b32 vcc_lo, exec_lo, s1
	s_cbranch_vccnz .LBB104_40
; %bb.21:
	s_cmp_lg_u64 s[26:27], 0
	s_cselect_b32 s7, -1, 0
	s_and_b32 s1, s7, s1
	s_andn2_b32 vcc_lo, exec_lo, s1
	s_cbranch_vccnz .LBB104_23
; %bb.22:
	s_and_b32 s1, s7, exec_lo
	s_cselect_b32 s1, s27, 0
	s_cselect_b32 s7, s26, 0
	s_lshl_b64 s[12:13], s[2:3], 2
	s_add_u32 s7, s7, s12
	s_addc_u32 s1, s1, s13
	s_lshl_b64 s[8:9], s[8:9], 2
	s_add_u32 s11, s7, s8
	s_addc_u32 s1, s1, s9
	s_ashr_i32 s7, s6, 31
	s_lshl_b64 s[8:9], s[6:7], 2
	s_add_u32 s8, s11, s8
	s_addc_u32 s9, s1, s9
	s_load_dword s1, s[8:9], 0x0
	s_waitcnt lgkmcnt(0)
	v_add_f32_e32 v1, s1, v1
.LBB104_23:
	s_cmp_lt_i32 s10, 2
	s_cbranch_scc1 .LBB104_28
; %bb.24:
	s_cmp_lt_i32 s10, 3
	s_cbranch_scc1 .LBB104_29
; %bb.25:
	v_mov_b32_e32 v2, v0
	s_cmp_eq_u32 s10, 3
	s_cbranch_scc0 .LBB104_27
; %bb.26:
	v_max_f32_e32 v2, v1, v1
	v_min_f32_e32 v2, 0x40e00000, v2
	v_mul_f32_e32 v3, 0xbfd9db23, v2
	v_mul_f32_e32 v4, 0x3fb8aa3b, v3
	v_cmp_ngt_f32_e32 vcc_lo, 0xc2ce8ed0, v3
	v_fma_f32 v5, 0x3fb8aa3b, v3, -v4
	v_rndne_f32_e32 v6, v4
	v_fmamk_f32 v5, v3, 0x32a5705f, v5
	v_sub_f32_e32 v4, v4, v6
	v_add_f32_e32 v4, v4, v5
	v_cvt_i32_f32_e32 v5, v6
	v_exp_f32_e32 v4, v4
	v_ldexp_f32 v4, v4, v5
	v_cndmask_b32_e32 v4, 0, v4, vcc_lo
	v_cmp_nlt_f32_e32 vcc_lo, 0x42b17218, v3
	v_cndmask_b32_e32 v3, 0x7f800000, v4, vcc_lo
	v_add_f32_e32 v3, 1.0, v3
	v_div_scale_f32 v4, null, v3, v3, v2
	v_div_scale_f32 v7, vcc_lo, v2, v3, v2
	v_rcp_f32_e32 v5, v4
	v_fma_f32 v6, -v4, v5, 1.0
	v_fmac_f32_e32 v5, v6, v5
	v_mul_f32_e32 v6, v7, v5
	v_fma_f32 v8, -v4, v6, v7
	v_fmac_f32_e32 v6, v8, v5
	v_max_f32_e32 v8, v0, v0
	v_fma_f32 v4, -v4, v6, v7
	v_min_f32_e32 v7, 0x40e00000, v8
	v_div_fmas_f32 v4, v4, v5, v6
	v_max_f32_e32 v5, 0xc0e00000, v7
	v_div_fixup_f32 v2, v4, v3, v2
	v_add_f32_e32 v3, 1.0, v5
	v_mul_f32_e32 v2, v3, v2
.LBB104_27:
	s_cbranch_execz .LBB104_30
	s_branch .LBB104_31
.LBB104_28:
                                        ; implicit-def: $vgpr2
	s_branch .LBB104_32
.LBB104_29:
                                        ; implicit-def: $vgpr2
.LBB104_30:
	v_mul_f32_e32 v2, 0xbfb8aa3b, v1
	v_cmp_nlt_f32_e32 vcc_lo, 0x42ce8ed0, v1
	v_rndne_f32_e32 v3, v2
	v_fma_f32 v4, 0xbfb8aa3b, v1, -v2
	v_sub_f32_e32 v2, v2, v3
	v_fmamk_f32 v4, v1, 0xb2a5705f, v4
	v_cvt_i32_f32_e32 v3, v3
	v_add_f32_e32 v2, v2, v4
	v_exp_f32_e32 v2, v2
	v_ldexp_f32 v2, v2, v3
	v_cndmask_b32_e32 v2, 0, v2, vcc_lo
	v_cmp_ngt_f32_e32 vcc_lo, 0xc2b17218, v1
	v_cndmask_b32_e32 v2, 0x7f800000, v2, vcc_lo
	v_add_f32_e32 v2, 1.0, v2
	v_div_scale_f32 v3, null, v2, v2, v1
	v_rcp_f32_e32 v4, v3
	v_fma_f32 v5, -v3, v4, 1.0
	v_fmac_f32_e32 v4, v5, v4
	v_div_scale_f32 v5, vcc_lo, v1, v2, v1
	v_mul_f32_e32 v6, v5, v4
	v_fma_f32 v7, -v3, v6, v5
	v_fmac_f32_e32 v6, v7, v4
	v_fma_f32 v3, -v3, v6, v5
	v_div_fmas_f32 v3, v3, v4, v6
	v_div_fixup_f32 v2, v3, v2, v1
	v_mul_f32_e32 v2, v0, v2
.LBB104_31:
	s_cbranch_execnz .LBB104_39
.LBB104_32:
	s_cmp_eq_u32 s10, 1
	s_cbranch_scc0 .LBB104_38
; %bb.33:
	v_mul_f32_e32 v2, 0x3d372713, v1
	v_mul_f32_e32 v3, 0x3f4c422a, v1
	v_fma_f32 v2, v1, v2, 1.0
	v_mul_f32_e32 v2, v3, v2
                                        ; implicit-def: $vgpr3
	v_cmp_ngt_f32_e64 s1, 0x3f200000, |v2|
	s_and_saveexec_b32 s7, s1
	s_xor_b32 s1, exec_lo, s7
	s_cbranch_execz .LBB104_35
; %bb.34:
	v_add_f32_e64 v3, |v2|, |v2|
	v_mul_f32_e32 v4, 0x3fb8aa3b, v3
	v_cmp_ngt_f32_e32 vcc_lo, 0xc2ce8ed0, v3
	v_rndne_f32_e32 v5, v4
	v_fma_f32 v6, 0x3fb8aa3b, v3, -v4
	v_sub_f32_e32 v4, v4, v5
	v_fmamk_f32 v6, v3, 0x32a5705f, v6
	v_cvt_i32_f32_e32 v5, v5
	v_add_f32_e32 v4, v4, v6
	v_exp_f32_e32 v4, v4
	v_ldexp_f32 v4, v4, v5
	v_cndmask_b32_e32 v4, 0, v4, vcc_lo
	v_cmp_nlt_f32_e32 vcc_lo, 0x42b17218, v3
	v_cndmask_b32_e32 v3, 0x7f800000, v4, vcc_lo
	v_add_f32_e32 v3, 1.0, v3
	v_rcp_f32_e32 v3, v3
	v_fma_f32 v3, v3, -2.0, 1.0
.LBB104_35:
	s_andn2_saveexec_b32 s1, s1
	s_cbranch_execz .LBB104_37
; %bb.36:
	v_mul_f32_e32 v3, v2, v2
	s_mov_b32 s7, 0xbbbac73d
	v_fmaak_f32 v4, s7, v3, 0x3ca908c9
	v_fmaak_f32 v4, v3, v4, 0xbd5c1c4e
	;; [unrolled: 1-line block ×4, first 2 shown]
	v_mul_f32_e64 v4, |v2|, v4
	v_fma_f32 v3, v3, v4, |v2|
.LBB104_37:
	s_or_b32 exec_lo, exec_lo, s1
	v_bfi_b32 v2, 0x7fffffff, v3, v2
	v_mul_f32_e32 v1, 0.5, v1
	v_add_f32_e32 v2, 1.0, v2
	v_mul_f32_e32 v1, v1, v2
	v_mul_f32_e32 v0, v0, v1
.LBB104_38:
	v_mov_b32_e32 v2, v0
.LBB104_39:
	v_mov_b32_e32 v0, v2
.LBB104_40:
	s_load_dwordx2 s[4:5], s[4:5], 0x38
	s_lshl_b64 s[2:3], s[2:3], 2
	s_mul_i32 s0, s22, s0
	v_mov_b32_e32 v1, 0
	s_waitcnt lgkmcnt(0)
	s_add_u32 s2, s4, s2
	s_addc_u32 s3, s5, s3
	s_ashr_i32 s1, s0, 31
	s_lshl_b64 s[0:1], s[0:1], 2
	s_add_u32 s2, s2, s0
	s_addc_u32 s3, s3, s1
	s_ashr_i32 s7, s6, 31
	s_lshl_b64 s[0:1], s[6:7], 2
	s_add_u32 s0, s2, s0
	s_addc_u32 s1, s3, s1
	global_store_dword v1, v0, s[0:1]
.LBB104_41:
	s_endpgm
	.section	.rodata,"a",@progbits
	.p2align	6, 0x0
	.amdhsa_kernel _ZL13mul_mat_vec_fI6__halfS0_Li1ELi32ELb1ELb0EEvPKT_PKfPKi31ggml_cuda_mm_fusion_args_devicePfi15HIP_vector_typeIjLj3EEiiiSB_iiiSB_iiii
		.amdhsa_group_segment_fixed_size 0
		.amdhsa_private_segment_fixed_size 0
		.amdhsa_kernarg_size 144
		.amdhsa_user_sgpr_count 6
		.amdhsa_user_sgpr_private_segment_buffer 1
		.amdhsa_user_sgpr_dispatch_ptr 0
		.amdhsa_user_sgpr_queue_ptr 0
		.amdhsa_user_sgpr_kernarg_segment_ptr 1
		.amdhsa_user_sgpr_dispatch_id 0
		.amdhsa_user_sgpr_flat_scratch_init 0
		.amdhsa_user_sgpr_private_segment_size 0
		.amdhsa_wavefront_size32 1
		.amdhsa_uses_dynamic_stack 0
		.amdhsa_system_sgpr_private_segment_wavefront_offset 0
		.amdhsa_system_sgpr_workgroup_id_x 1
		.amdhsa_system_sgpr_workgroup_id_y 1
		.amdhsa_system_sgpr_workgroup_id_z 1
		.amdhsa_system_sgpr_workgroup_info 0
		.amdhsa_system_vgpr_workitem_id 0
		.amdhsa_next_free_vgpr 14
		.amdhsa_next_free_sgpr 40
		.amdhsa_reserve_vcc 1
		.amdhsa_reserve_flat_scratch 0
		.amdhsa_float_round_mode_32 0
		.amdhsa_float_round_mode_16_64 0
		.amdhsa_float_denorm_mode_32 3
		.amdhsa_float_denorm_mode_16_64 3
		.amdhsa_dx10_clamp 1
		.amdhsa_ieee_mode 1
		.amdhsa_fp16_overflow 0
		.amdhsa_workgroup_processor_mode 1
		.amdhsa_memory_ordered 1
		.amdhsa_forward_progress 1
		.amdhsa_shared_vgpr_count 0
		.amdhsa_exception_fp_ieee_invalid_op 0
		.amdhsa_exception_fp_denorm_src 0
		.amdhsa_exception_fp_ieee_div_zero 0
		.amdhsa_exception_fp_ieee_overflow 0
		.amdhsa_exception_fp_ieee_underflow 0
		.amdhsa_exception_fp_ieee_inexact 0
		.amdhsa_exception_int_div_zero 0
	.end_amdhsa_kernel
	.section	.text._ZL13mul_mat_vec_fI6__halfS0_Li1ELi32ELb1ELb0EEvPKT_PKfPKi31ggml_cuda_mm_fusion_args_devicePfi15HIP_vector_typeIjLj3EEiiiSB_iiiSB_iiii,"axG",@progbits,_ZL13mul_mat_vec_fI6__halfS0_Li1ELi32ELb1ELb0EEvPKT_PKfPKi31ggml_cuda_mm_fusion_args_devicePfi15HIP_vector_typeIjLj3EEiiiSB_iiiSB_iiii,comdat
.Lfunc_end104:
	.size	_ZL13mul_mat_vec_fI6__halfS0_Li1ELi32ELb1ELb0EEvPKT_PKfPKi31ggml_cuda_mm_fusion_args_devicePfi15HIP_vector_typeIjLj3EEiiiSB_iiiSB_iiii, .Lfunc_end104-_ZL13mul_mat_vec_fI6__halfS0_Li1ELi32ELb1ELb0EEvPKT_PKfPKi31ggml_cuda_mm_fusion_args_devicePfi15HIP_vector_typeIjLj3EEiiiSB_iiiSB_iiii
                                        ; -- End function
	.set _ZL13mul_mat_vec_fI6__halfS0_Li1ELi32ELb1ELb0EEvPKT_PKfPKi31ggml_cuda_mm_fusion_args_devicePfi15HIP_vector_typeIjLj3EEiiiSB_iiiSB_iiii.num_vgpr, 14
	.set _ZL13mul_mat_vec_fI6__halfS0_Li1ELi32ELb1ELb0EEvPKT_PKfPKi31ggml_cuda_mm_fusion_args_devicePfi15HIP_vector_typeIjLj3EEiiiSB_iiiSB_iiii.num_agpr, 0
	.set _ZL13mul_mat_vec_fI6__halfS0_Li1ELi32ELb1ELb0EEvPKT_PKfPKi31ggml_cuda_mm_fusion_args_devicePfi15HIP_vector_typeIjLj3EEiiiSB_iiiSB_iiii.numbered_sgpr, 40
	.set _ZL13mul_mat_vec_fI6__halfS0_Li1ELi32ELb1ELb0EEvPKT_PKfPKi31ggml_cuda_mm_fusion_args_devicePfi15HIP_vector_typeIjLj3EEiiiSB_iiiSB_iiii.num_named_barrier, 0
	.set _ZL13mul_mat_vec_fI6__halfS0_Li1ELi32ELb1ELb0EEvPKT_PKfPKi31ggml_cuda_mm_fusion_args_devicePfi15HIP_vector_typeIjLj3EEiiiSB_iiiSB_iiii.private_seg_size, 0
	.set _ZL13mul_mat_vec_fI6__halfS0_Li1ELi32ELb1ELb0EEvPKT_PKfPKi31ggml_cuda_mm_fusion_args_devicePfi15HIP_vector_typeIjLj3EEiiiSB_iiiSB_iiii.uses_vcc, 1
	.set _ZL13mul_mat_vec_fI6__halfS0_Li1ELi32ELb1ELb0EEvPKT_PKfPKi31ggml_cuda_mm_fusion_args_devicePfi15HIP_vector_typeIjLj3EEiiiSB_iiiSB_iiii.uses_flat_scratch, 0
	.set _ZL13mul_mat_vec_fI6__halfS0_Li1ELi32ELb1ELb0EEvPKT_PKfPKi31ggml_cuda_mm_fusion_args_devicePfi15HIP_vector_typeIjLj3EEiiiSB_iiiSB_iiii.has_dyn_sized_stack, 0
	.set _ZL13mul_mat_vec_fI6__halfS0_Li1ELi32ELb1ELb0EEvPKT_PKfPKi31ggml_cuda_mm_fusion_args_devicePfi15HIP_vector_typeIjLj3EEiiiSB_iiiSB_iiii.has_recursion, 0
	.set _ZL13mul_mat_vec_fI6__halfS0_Li1ELi32ELb1ELb0EEvPKT_PKfPKi31ggml_cuda_mm_fusion_args_devicePfi15HIP_vector_typeIjLj3EEiiiSB_iiiSB_iiii.has_indirect_call, 0
	.section	.AMDGPU.csdata,"",@progbits
; Kernel info:
; codeLenInByte = 1964
; TotalNumSgprs: 42
; NumVgprs: 14
; ScratchSize: 0
; MemoryBound: 0
; FloatMode: 240
; IeeeMode: 1
; LDSByteSize: 0 bytes/workgroup (compile time only)
; SGPRBlocks: 0
; VGPRBlocks: 1
; NumSGPRsForWavesPerEU: 42
; NumVGPRsForWavesPerEU: 14
; Occupancy: 16
; WaveLimiterHint : 1
; COMPUTE_PGM_RSRC2:SCRATCH_EN: 0
; COMPUTE_PGM_RSRC2:USER_SGPR: 6
; COMPUTE_PGM_RSRC2:TRAP_HANDLER: 0
; COMPUTE_PGM_RSRC2:TGID_X_EN: 1
; COMPUTE_PGM_RSRC2:TGID_Y_EN: 1
; COMPUTE_PGM_RSRC2:TGID_Z_EN: 1
; COMPUTE_PGM_RSRC2:TIDIG_COMP_CNT: 0
	.section	.text._ZL13mul_mat_vec_fI6__halfS0_Li1ELi32ELb0ELb0EEvPKT_PKfPKi31ggml_cuda_mm_fusion_args_devicePfi15HIP_vector_typeIjLj3EEiiiSB_iiiSB_iiii,"axG",@progbits,_ZL13mul_mat_vec_fI6__halfS0_Li1ELi32ELb0ELb0EEvPKT_PKfPKi31ggml_cuda_mm_fusion_args_devicePfi15HIP_vector_typeIjLj3EEiiiSB_iiiSB_iiii,comdat
	.globl	_ZL13mul_mat_vec_fI6__halfS0_Li1ELi32ELb0ELb0EEvPKT_PKfPKi31ggml_cuda_mm_fusion_args_devicePfi15HIP_vector_typeIjLj3EEiiiSB_iiiSB_iiii ; -- Begin function _ZL13mul_mat_vec_fI6__halfS0_Li1ELi32ELb0ELb0EEvPKT_PKfPKi31ggml_cuda_mm_fusion_args_devicePfi15HIP_vector_typeIjLj3EEiiiSB_iiiSB_iiii
	.p2align	8
	.type	_ZL13mul_mat_vec_fI6__halfS0_Li1ELi32ELb0ELb0EEvPKT_PKfPKi31ggml_cuda_mm_fusion_args_devicePfi15HIP_vector_typeIjLj3EEiiiSB_iiiSB_iiii,@function
_ZL13mul_mat_vec_fI6__halfS0_Li1ELi32ELb0ELb0EEvPKT_PKfPKi31ggml_cuda_mm_fusion_args_devicePfi15HIP_vector_typeIjLj3EEiiiSB_iiiSB_iiii: ; @_ZL13mul_mat_vec_fI6__halfS0_Li1ELi32ELb0ELb0EEvPKT_PKfPKi31ggml_cuda_mm_fusion_args_devicePfi15HIP_vector_typeIjLj3EEiiiSB_iiiSB_iiii
; %bb.0:
	s_clause 0x2
	s_load_dwordx2 s[12:13], s[4:5], 0x10
	s_load_dwordx4 s[16:19], s[4:5], 0x40
	s_load_dwordx4 s[0:3], s[4:5], 0x80
	s_waitcnt lgkmcnt(0)
	s_cmp_eq_u64 s[12:13], 0
	s_cselect_b32 s9, -1, 0
	s_cmp_lg_u64 s[12:13], 0
	s_cselect_b32 s23, -1, 0
	s_and_b32 vcc_lo, exec_lo, s9
	s_cbranch_vccnz .LBB105_2
; %bb.1:
	s_mul_i32 s3, s3, s8
	s_mov_b32 s11, 0
	s_add_i32 s10, s3, s7
	s_lshl_b64 s[14:15], s[10:11], 2
	s_add_u32 s12, s12, s14
	s_addc_u32 s13, s13, s15
	s_load_dword s21, s[12:13], 0x0
	s_clause 0x1
	s_load_dwordx4 s[12:15], s[4:5], 0x68
	s_load_dword s22, s[4:5], 0x50
	s_cbranch_execz .LBB105_3
	s_branch .LBB105_4
.LBB105_2:
                                        ; implicit-def: $sgpr21
	s_clause 0x1
	s_load_dwordx4 s[12:15], s[4:5], 0x68
	s_load_dword s22, s[4:5], 0x50
.LBB105_3:
	s_load_dwordx2 s[10:11], s[4:5], 0x5c
	s_waitcnt lgkmcnt(0)
	s_mul_hi_u32 s3, s10, s7
	s_add_i32 s3, s7, s3
	s_lshr_b32 s21, s3, s11
.LBB105_4:
	s_load_dword s20, s[4:5], 0x78
	s_andn2_b32 vcc_lo, exec_lo, s23
	s_mov_b32 s23, s7
	s_cbranch_vccnz .LBB105_6
; %bb.5:
	s_mul_hi_u32 s3, s17, s7
	s_add_i32 s3, s7, s3
	s_lshr_b32 s3, s3, s18
	s_mul_i32 s3, s3, s19
	s_sub_i32 s23, s7, s3
.LBB105_6:
	v_mov_b32_e32 v5, 0
	s_and_b32 s3, exec_lo, s9
	s_cselect_b32 s3, s8, 0
	s_mov_b32 s17, exec_lo
	v_cmpx_gt_i32_e64 s16, v0
	s_cbranch_execz .LBB105_10
; %bb.7:
	s_load_dwordx4 s[8:11], s[4:5], 0x0
	s_waitcnt lgkmcnt(0)
	s_mul_hi_u32 s15, s15, s3
	s_mul_i32 s18, s22, s6
	s_mul_i32 s22, s23, s13
	s_mul_hi_i32 s25, s3, s1
	s_mul_i32 s24, s3, s1
	s_add_i32 s1, s3, s15
	s_ashr_i32 s23, s22, 31
	s_mul_i32 s12, s21, s12
	s_lshr_b32 s15, s1, s20
	s_lshl_b64 s[20:21], s[22:23], 2
	v_lshlrev_b32_e32 v1, 3, v0
	s_ashr_i32 s13, s12, 31
	s_ashr_i32 s19, s18, 31
	s_lshl_b64 s[24:25], s[24:25], 2
	s_mul_hi_i32 s1, s15, s0
	s_mul_i32 s0, s15, s0
	v_lshlrev_b32_e32 v3, 2, v0
	v_mov_b32_e32 v5, 0
	v_mov_b32_e32 v6, v0
	s_add_u32 s10, s10, s20
	s_addc_u32 s11, s11, s21
	s_add_u32 s10, s10, s24
	s_addc_u32 s11, s11, s25
	v_add_co_u32 v1, s10, s10, v1
	v_add_co_ci_u32_e64 v2, null, s11, 0, s10
	s_lshl_b64 s[10:11], s[12:13], 1
	s_lshl_b64 s[0:1], s[0:1], 1
	s_lshl_b64 s[12:13], s[18:19], 1
	s_add_u32 s8, s8, s10
	s_addc_u32 s9, s9, s11
	s_add_u32 s8, s8, s12
	s_addc_u32 s9, s9, s13
	s_add_u32 s0, s8, s0
	v_add_co_u32 v1, vcc_lo, v1, 4
	s_addc_u32 s1, s9, s1
	v_add_co_u32 v3, s0, s0, v3
	v_add_co_ci_u32_e64 v2, null, 0, v2, vcc_lo
	v_add_co_ci_u32_e64 v4, null, s1, 0, s0
	s_mov_b32 s1, 0
	.p2align	6
.LBB105_8:                              ; =>This Inner Loop Header: Depth=1
	global_load_dwordx2 v[7:8], v[1:2], off offset:-4
	global_load_dword v9, v[3:4], off
	v_add_nc_u32_e32 v6, 32, v6
	v_add_co_u32 v1, vcc_lo, 0x100, v1
	v_add_co_ci_u32_e64 v2, null, 0, v2, vcc_lo
	v_add_co_u32 v3, vcc_lo, 0x80, v3
	v_cmp_le_i32_e64 s0, s16, v6
	v_add_co_ci_u32_e64 v4, null, 0, v4, vcc_lo
	s_or_b32 s1, s0, s1
	s_waitcnt vmcnt(1)
	v_cvt_f16_f32_e32 v7, v7
	v_cvt_f16_f32_e32 v8, v8
	v_pack_b32_f16 v7, v7, v8
	s_waitcnt vmcnt(0)
	v_pk_fma_f16 v5, v9, v7, v5
	s_andn2_b32 exec_lo, exec_lo, s1
	s_cbranch_execnz .LBB105_8
; %bb.9:
	s_or_b32 exec_lo, exec_lo, s1
.LBB105_10:
	s_or_b32 exec_lo, exec_lo, s17
	v_mbcnt_lo_u32_b32 v1, -1, 0
	v_cvt_f32_f16_e32 v3, v5
	v_cvt_f32_f16_sdwa v4, v5 dst_sel:DWORD dst_unused:UNUSED_PAD src0_sel:WORD_1
	s_mov_b32 s0, exec_lo
	v_xor_b32_e32 v2, 16, v1
	v_add_f32_e32 v3, v3, v4
	v_xor_b32_e32 v4, 8, v1
	v_cmp_gt_i32_e32 vcc_lo, 32, v2
	v_cndmask_b32_e32 v2, v1, v2, vcc_lo
	v_cmp_gt_i32_e32 vcc_lo, 32, v4
	v_lshlrev_b32_e32 v2, 2, v2
	v_cndmask_b32_e32 v4, v1, v4, vcc_lo
	ds_bpermute_b32 v2, v2, v3
	v_lshlrev_b32_e32 v4, 2, v4
	s_waitcnt lgkmcnt(0)
	v_add_f32_e32 v2, v3, v2
	ds_bpermute_b32 v3, v4, v2
	v_xor_b32_e32 v4, 4, v1
	v_cmp_gt_i32_e32 vcc_lo, 32, v4
	v_cndmask_b32_e32 v4, v1, v4, vcc_lo
	v_lshlrev_b32_e32 v4, 2, v4
	s_waitcnt lgkmcnt(0)
	v_add_f32_e32 v2, v2, v3
	ds_bpermute_b32 v3, v4, v2
	v_xor_b32_e32 v4, 2, v1
	v_cmp_gt_i32_e32 vcc_lo, 32, v4
	v_cndmask_b32_e32 v4, v1, v4, vcc_lo
	;; [unrolled: 7-line block ×3, first 2 shown]
	v_lshlrev_b32_e32 v4, 2, v1
	s_waitcnt lgkmcnt(0)
	v_add_f32_e32 v1, v2, v3
	ds_bpermute_b32 v2, v4, v1
	v_cmpx_eq_u32_e32 0, v0
	s_cbranch_execz .LBB105_12
; %bb.11:
	s_load_dwordx2 s[0:1], s[4:5], 0x38
	s_mul_hi_i32 s5, s2, s3
	s_mul_i32 s4, s2, s3
	s_mul_i32 s2, s14, s7
	s_lshl_b64 s[4:5], s[4:5], 2
	s_ashr_i32 s3, s2, 31
	s_waitcnt lgkmcnt(0)
	v_add_f32_e32 v0, v1, v2
	v_mov_b32_e32 v1, 0
	s_add_u32 s4, s0, s4
	s_addc_u32 s5, s1, s5
	s_lshl_b64 s[0:1], s[2:3], 2
	s_add_u32 s2, s4, s0
	s_addc_u32 s3, s5, s1
	s_ashr_i32 s7, s6, 31
	s_lshl_b64 s[0:1], s[6:7], 2
	s_add_u32 s0, s2, s0
	s_addc_u32 s1, s3, s1
	global_store_dword v1, v0, s[0:1]
.LBB105_12:
	s_endpgm
	.section	.rodata,"a",@progbits
	.p2align	6, 0x0
	.amdhsa_kernel _ZL13mul_mat_vec_fI6__halfS0_Li1ELi32ELb0ELb0EEvPKT_PKfPKi31ggml_cuda_mm_fusion_args_devicePfi15HIP_vector_typeIjLj3EEiiiSB_iiiSB_iiii
		.amdhsa_group_segment_fixed_size 0
		.amdhsa_private_segment_fixed_size 0
		.amdhsa_kernarg_size 144
		.amdhsa_user_sgpr_count 6
		.amdhsa_user_sgpr_private_segment_buffer 1
		.amdhsa_user_sgpr_dispatch_ptr 0
		.amdhsa_user_sgpr_queue_ptr 0
		.amdhsa_user_sgpr_kernarg_segment_ptr 1
		.amdhsa_user_sgpr_dispatch_id 0
		.amdhsa_user_sgpr_flat_scratch_init 0
		.amdhsa_user_sgpr_private_segment_size 0
		.amdhsa_wavefront_size32 1
		.amdhsa_uses_dynamic_stack 0
		.amdhsa_system_sgpr_private_segment_wavefront_offset 0
		.amdhsa_system_sgpr_workgroup_id_x 1
		.amdhsa_system_sgpr_workgroup_id_y 1
		.amdhsa_system_sgpr_workgroup_id_z 1
		.amdhsa_system_sgpr_workgroup_info 0
		.amdhsa_system_vgpr_workitem_id 0
		.amdhsa_next_free_vgpr 10
		.amdhsa_next_free_sgpr 26
		.amdhsa_reserve_vcc 1
		.amdhsa_reserve_flat_scratch 0
		.amdhsa_float_round_mode_32 0
		.amdhsa_float_round_mode_16_64 0
		.amdhsa_float_denorm_mode_32 3
		.amdhsa_float_denorm_mode_16_64 3
		.amdhsa_dx10_clamp 1
		.amdhsa_ieee_mode 1
		.amdhsa_fp16_overflow 0
		.amdhsa_workgroup_processor_mode 1
		.amdhsa_memory_ordered 1
		.amdhsa_forward_progress 1
		.amdhsa_shared_vgpr_count 0
		.amdhsa_exception_fp_ieee_invalid_op 0
		.amdhsa_exception_fp_denorm_src 0
		.amdhsa_exception_fp_ieee_div_zero 0
		.amdhsa_exception_fp_ieee_overflow 0
		.amdhsa_exception_fp_ieee_underflow 0
		.amdhsa_exception_fp_ieee_inexact 0
		.amdhsa_exception_int_div_zero 0
	.end_amdhsa_kernel
	.section	.text._ZL13mul_mat_vec_fI6__halfS0_Li1ELi32ELb0ELb0EEvPKT_PKfPKi31ggml_cuda_mm_fusion_args_devicePfi15HIP_vector_typeIjLj3EEiiiSB_iiiSB_iiii,"axG",@progbits,_ZL13mul_mat_vec_fI6__halfS0_Li1ELi32ELb0ELb0EEvPKT_PKfPKi31ggml_cuda_mm_fusion_args_devicePfi15HIP_vector_typeIjLj3EEiiiSB_iiiSB_iiii,comdat
.Lfunc_end105:
	.size	_ZL13mul_mat_vec_fI6__halfS0_Li1ELi32ELb0ELb0EEvPKT_PKfPKi31ggml_cuda_mm_fusion_args_devicePfi15HIP_vector_typeIjLj3EEiiiSB_iiiSB_iiii, .Lfunc_end105-_ZL13mul_mat_vec_fI6__halfS0_Li1ELi32ELb0ELb0EEvPKT_PKfPKi31ggml_cuda_mm_fusion_args_devicePfi15HIP_vector_typeIjLj3EEiiiSB_iiiSB_iiii
                                        ; -- End function
	.set _ZL13mul_mat_vec_fI6__halfS0_Li1ELi32ELb0ELb0EEvPKT_PKfPKi31ggml_cuda_mm_fusion_args_devicePfi15HIP_vector_typeIjLj3EEiiiSB_iiiSB_iiii.num_vgpr, 10
	.set _ZL13mul_mat_vec_fI6__halfS0_Li1ELi32ELb0ELb0EEvPKT_PKfPKi31ggml_cuda_mm_fusion_args_devicePfi15HIP_vector_typeIjLj3EEiiiSB_iiiSB_iiii.num_agpr, 0
	.set _ZL13mul_mat_vec_fI6__halfS0_Li1ELi32ELb0ELb0EEvPKT_PKfPKi31ggml_cuda_mm_fusion_args_devicePfi15HIP_vector_typeIjLj3EEiiiSB_iiiSB_iiii.numbered_sgpr, 26
	.set _ZL13mul_mat_vec_fI6__halfS0_Li1ELi32ELb0ELb0EEvPKT_PKfPKi31ggml_cuda_mm_fusion_args_devicePfi15HIP_vector_typeIjLj3EEiiiSB_iiiSB_iiii.num_named_barrier, 0
	.set _ZL13mul_mat_vec_fI6__halfS0_Li1ELi32ELb0ELb0EEvPKT_PKfPKi31ggml_cuda_mm_fusion_args_devicePfi15HIP_vector_typeIjLj3EEiiiSB_iiiSB_iiii.private_seg_size, 0
	.set _ZL13mul_mat_vec_fI6__halfS0_Li1ELi32ELb0ELb0EEvPKT_PKfPKi31ggml_cuda_mm_fusion_args_devicePfi15HIP_vector_typeIjLj3EEiiiSB_iiiSB_iiii.uses_vcc, 1
	.set _ZL13mul_mat_vec_fI6__halfS0_Li1ELi32ELb0ELb0EEvPKT_PKfPKi31ggml_cuda_mm_fusion_args_devicePfi15HIP_vector_typeIjLj3EEiiiSB_iiiSB_iiii.uses_flat_scratch, 0
	.set _ZL13mul_mat_vec_fI6__halfS0_Li1ELi32ELb0ELb0EEvPKT_PKfPKi31ggml_cuda_mm_fusion_args_devicePfi15HIP_vector_typeIjLj3EEiiiSB_iiiSB_iiii.has_dyn_sized_stack, 0
	.set _ZL13mul_mat_vec_fI6__halfS0_Li1ELi32ELb0ELb0EEvPKT_PKfPKi31ggml_cuda_mm_fusion_args_devicePfi15HIP_vector_typeIjLj3EEiiiSB_iiiSB_iiii.has_recursion, 0
	.set _ZL13mul_mat_vec_fI6__halfS0_Li1ELi32ELb0ELb0EEvPKT_PKfPKi31ggml_cuda_mm_fusion_args_devicePfi15HIP_vector_typeIjLj3EEiiiSB_iiiSB_iiii.has_indirect_call, 0
	.section	.AMDGPU.csdata,"",@progbits
; Kernel info:
; codeLenInByte = 844
; TotalNumSgprs: 28
; NumVgprs: 10
; ScratchSize: 0
; MemoryBound: 0
; FloatMode: 240
; IeeeMode: 1
; LDSByteSize: 0 bytes/workgroup (compile time only)
; SGPRBlocks: 0
; VGPRBlocks: 1
; NumSGPRsForWavesPerEU: 28
; NumVGPRsForWavesPerEU: 10
; Occupancy: 16
; WaveLimiterHint : 0
; COMPUTE_PGM_RSRC2:SCRATCH_EN: 0
; COMPUTE_PGM_RSRC2:USER_SGPR: 6
; COMPUTE_PGM_RSRC2:TRAP_HANDLER: 0
; COMPUTE_PGM_RSRC2:TGID_X_EN: 1
; COMPUTE_PGM_RSRC2:TGID_Y_EN: 1
; COMPUTE_PGM_RSRC2:TGID_Z_EN: 1
; COMPUTE_PGM_RSRC2:TIDIG_COMP_CNT: 0
	.section	.text._ZL13mul_mat_vec_fI6__halfS0_Li1ELi64ELb1ELb0EEvPKT_PKfPKi31ggml_cuda_mm_fusion_args_devicePfi15HIP_vector_typeIjLj3EEiiiSB_iiiSB_iiii,"axG",@progbits,_ZL13mul_mat_vec_fI6__halfS0_Li1ELi64ELb1ELb0EEvPKT_PKfPKi31ggml_cuda_mm_fusion_args_devicePfi15HIP_vector_typeIjLj3EEiiiSB_iiiSB_iiii,comdat
	.globl	_ZL13mul_mat_vec_fI6__halfS0_Li1ELi64ELb1ELb0EEvPKT_PKfPKi31ggml_cuda_mm_fusion_args_devicePfi15HIP_vector_typeIjLj3EEiiiSB_iiiSB_iiii ; -- Begin function _ZL13mul_mat_vec_fI6__halfS0_Li1ELi64ELb1ELb0EEvPKT_PKfPKi31ggml_cuda_mm_fusion_args_devicePfi15HIP_vector_typeIjLj3EEiiiSB_iiiSB_iiii
	.p2align	8
	.type	_ZL13mul_mat_vec_fI6__halfS0_Li1ELi64ELb1ELb0EEvPKT_PKfPKi31ggml_cuda_mm_fusion_args_devicePfi15HIP_vector_typeIjLj3EEiiiSB_iiiSB_iiii,@function
_ZL13mul_mat_vec_fI6__halfS0_Li1ELi64ELb1ELb0EEvPKT_PKfPKi31ggml_cuda_mm_fusion_args_devicePfi15HIP_vector_typeIjLj3EEiiiSB_iiiSB_iiii: ; @_ZL13mul_mat_vec_fI6__halfS0_Li1ELi64ELb1ELb0EEvPKT_PKfPKi31ggml_cuda_mm_fusion_args_devicePfi15HIP_vector_typeIjLj3EEiiiSB_iiiSB_iiii
; %bb.0:
	s_clause 0x3
	s_load_dwordx8 s[12:19], s[4:5], 0x0
	s_load_dwordx4 s[24:27], s[4:5], 0x20
	s_load_dwordx4 s[36:39], s[4:5], 0x40
	;; [unrolled: 1-line block ×3, first 2 shown]
	s_mov_b32 s0, s7
	s_waitcnt lgkmcnt(0)
	s_cmp_eq_u64 s[16:17], 0
	s_cselect_b32 s10, -1, 0
	s_cmp_lg_u64 s[16:17], 0
	s_cselect_b32 s1, -1, 0
	s_and_b32 vcc_lo, exec_lo, s10
	s_cbranch_vccnz .LBB106_2
; %bb.1:
	s_mul_i32 s2, s31, s8
	s_mov_b32 s3, 0
	s_add_i32 s2, s2, s0
	s_lshl_b64 s[20:21], s[2:3], 2
	s_add_u32 s16, s16, s20
	s_addc_u32 s17, s17, s21
	s_load_dword s7, s[16:17], 0x0
	s_load_dword s16, s[4:5], 0x50
	s_waitcnt lgkmcnt(0)
	s_mov_b32 s3, s7
	s_cbranch_execz .LBB106_3
	s_branch .LBB106_4
.LBB106_2:
                                        ; implicit-def: $sgpr7
	s_load_dword s16, s[4:5], 0x50
	s_mov_b32 s3, s7
.LBB106_3:
	s_load_dwordx2 s[2:3], s[4:5], 0x5c
	s_mov_b32 s7, s0
	s_waitcnt lgkmcnt(0)
	s_mul_hi_u32 s2, s2, s0
	s_add_i32 s2, s0, s2
	s_lshr_b32 s3, s2, s3
.LBB106_4:
	s_load_dwordx4 s[20:23], s[4:5], 0x68
	s_andn2_b32 vcc_lo, exec_lo, s1
	s_mov_b32 s17, s0
	s_cbranch_vccnz .LBB106_6
; %bb.5:
	s_mul_hi_u32 s1, s37, s0
	s_add_i32 s1, s0, s1
	s_lshr_b32 s1, s1, s38
	s_mul_i32 s1, s1, s39
	s_sub_i32 s17, s0, s1
.LBB106_6:
	s_load_dword s31, s[4:5], 0x78
	s_cmp_lg_u64 s[24:25], 0
	v_cmp_gt_u32_e64 s2, 32, v0
	v_lshl_add_u32 v7, v0, 2, 0
	s_cselect_b32 s1, -1, 0
	s_cmp_eq_u64 s[24:25], 0
	s_cselect_b32 s9, -1, 0
	s_and_saveexec_b32 s11, s2
	s_cbranch_execz .LBB106_9
; %bb.7:
	v_mov_b32_e32 v1, 0
	s_andn2_b32 vcc_lo, exec_lo, s1
	ds_write_b32 v7, v1
	s_cbranch_vccnz .LBB106_9
; %bb.8:
	ds_write_b32 v7, v1 offset:128
.LBB106_9:
	s_or_b32 exec_lo, exec_lo, s11
	v_mov_b32_e32 v8, 0
	v_mov_b32_e32 v4, 0
	;; [unrolled: 1-line block ×3, first 2 shown]
	s_and_b32 s10, exec_lo, s10
	s_cselect_b32 s11, s8, 0
	s_mov_b32 s10, 0
	s_mov_b32 s8, exec_lo
	s_waitcnt lgkmcnt(0)
	s_barrier
	buffer_gl0_inv
	v_cmpx_gt_i32_e64 s36, v0
	s_cbranch_execz .LBB106_16
; %bb.10:
	s_mul_hi_u32 s23, s23, s11
	s_mul_i32 s3, s3, s20
	s_add_i32 s23, s11, s23
	s_mul_i32 s16, s16, s6
	s_lshr_b32 s20, s23, s31
	s_ashr_i32 s31, s16, 31
	s_mul_hi_i32 s23, s20, s28
	s_mul_i32 s20, s20, s28
	s_ashr_i32 s28, s3, 31
	s_add_u32 s16, s20, s16
	s_addc_u32 s23, s23, s31
	s_mul_i32 s20, s17, s21
	s_add_u32 s16, s16, s3
	s_addc_u32 s17, s23, s28
	s_ashr_i32 s21, s20, 31
	s_and_b32 s3, s1, exec_lo
	s_cselect_b32 s35, s17, 0
	s_cselect_b32 s34, s16, 0
	v_lshlrev_b32_e32 v5, 2, v0
	s_cselect_b32 s3, s25, 0
	s_cselect_b32 s23, s24, 0
	s_lshl_b64 s[24:25], s[34:35], 1
	v_lshlrev_b32_e32 v3, 3, v0
	s_add_u32 s23, s23, s24
	s_addc_u32 s3, s3, s25
	s_mul_hi_i32 s25, s11, s29
	s_mul_i32 s24, s11, s29
	v_add_co_u32 v1, s23, s23, v5
	s_lshl_b64 s[20:21], s[20:21], 2
	s_lshl_b64 s[24:25], s[24:25], 2
	v_add_co_ci_u32_e64 v2, null, s3, 0, s23
	s_add_u32 s3, s14, s20
	s_addc_u32 s14, s15, s21
	s_add_u32 s3, s3, s24
	s_addc_u32 s14, s14, s25
	v_add_co_u32 v3, s3, s3, v3
	v_add_co_ci_u32_e64 v4, null, s14, 0, s3
	s_lshl_b64 s[14:15], s[16:17], 1
	v_add_co_u32 v3, vcc_lo, v3, 4
	s_add_u32 s3, s12, s14
	s_addc_u32 s12, s13, s15
	v_add_co_u32 v5, s3, s3, v5
	v_add_co_ci_u32_e64 v4, null, 0, v4, vcc_lo
	v_add_co_ci_u32_e64 v6, null, s12, 0, s3
	v_mov_b32_e32 v8, 0
	v_mov_b32_e32 v10, v0
	;; [unrolled: 1-line block ×3, first 2 shown]
	s_inst_prefetch 0x1
	s_branch .LBB106_13
	.p2align	6
.LBB106_11:                             ;   in Loop: Header=BB106_13 Depth=1
	global_load_dword v12, v[1:2], off
.LBB106_12:                             ;   in Loop: Header=BB106_13 Depth=1
	global_load_dwordx2 v[13:14], v[3:4], off offset:-4
	v_add_nc_u32_e32 v10, 64, v10
	v_add_co_u32 v1, vcc_lo, 0x100, v1
	v_add_co_ci_u32_e64 v2, null, 0, v2, vcc_lo
	v_add_co_u32 v3, vcc_lo, 0x200, v3
	v_add_co_ci_u32_e64 v4, null, 0, v4, vcc_lo
	v_cmp_le_i32_e32 vcc_lo, s36, v10
	v_add_co_u32 v5, s3, 0x100, v5
	v_add_co_ci_u32_e64 v6, null, 0, v6, s3
	s_or_b32 s10, vcc_lo, s10
	s_waitcnt vmcnt(0)
	v_cvt_f16_f32_e32 v13, v13
	v_cvt_f16_f32_e32 v14, v14
	v_pack_b32_f16 v13, v13, v14
	v_pk_fma_f16 v12, v12, v13, v9
	v_pk_fma_f16 v8, v11, v13, v8
	v_cndmask_b32_e64 v9, v9, v12, s1
	s_andn2_b32 exec_lo, exec_lo, s10
	s_cbranch_execz .LBB106_15
.LBB106_13:                             ; =>This Inner Loop Header: Depth=1
	global_load_dword v11, v[5:6], off
	s_andn2_b32 vcc_lo, exec_lo, s1
	s_cbranch_vccz .LBB106_11
; %bb.14:                               ;   in Loop: Header=BB106_13 Depth=1
	v_mov_b32_e32 v12, 0
	s_branch .LBB106_12
.LBB106_15:
	s_inst_prefetch 0x2
	s_or_b32 exec_lo, exec_lo, s10
	v_cvt_f32_f16_sdwa v4, v9 dst_sel:DWORD dst_unused:UNUSED_PAD src0_sel:WORD_1
	v_cvt_f32_f16_e32 v5, v9
.LBB106_16:
	s_or_b32 exec_lo, exec_lo, s8
	v_mbcnt_lo_u32_b32 v1, -1, 0
	v_cvt_f32_f16_e32 v3, v8
	v_cvt_f32_f16_sdwa v6, v8 dst_sel:DWORD dst_unused:UNUSED_PAD src0_sel:WORD_1
	s_load_dword s10, s[4:5], 0x30
	s_mov_b32 s3, -1
	v_xor_b32_e32 v2, 16, v1
	v_add_f32_e32 v8, v3, v6
	v_xor_b32_e32 v6, 8, v1
	v_cmp_gt_i32_e32 vcc_lo, 32, v2
	v_cndmask_b32_e32 v2, v1, v2, vcc_lo
	v_cmp_gt_i32_e32 vcc_lo, 32, v6
	v_lshlrev_b32_e32 v3, 2, v2
	v_cndmask_b32_e32 v6, v1, v6, vcc_lo
	ds_bpermute_b32 v2, v3, v8
	v_lshlrev_b32_e32 v6, 2, v6
	s_waitcnt lgkmcnt(0)
	v_add_f32_e32 v2, v8, v2
	v_xor_b32_e32 v8, 4, v1
	ds_bpermute_b32 v9, v6, v2
	v_cmp_gt_i32_e32 vcc_lo, 32, v8
	v_cndmask_b32_e32 v8, v1, v8, vcc_lo
	v_lshlrev_b32_e32 v8, 2, v8
	s_waitcnt lgkmcnt(0)
	v_add_f32_e32 v2, v2, v9
	v_xor_b32_e32 v9, 2, v1
	ds_bpermute_b32 v10, v8, v2
	v_cmp_gt_i32_e32 vcc_lo, 32, v9
	v_cndmask_b32_e32 v9, v1, v9, vcc_lo
	;; [unrolled: 7-line block ×3, first 2 shown]
	s_and_b32 vcc_lo, exec_lo, s9
	v_lshlrev_b32_e32 v10, 2, v1
	s_waitcnt lgkmcnt(0)
	v_add_f32_e32 v1, v2, v11
	v_lshrrev_b32_e32 v11, 5, v0
	ds_bpermute_b32 v2, v10, v1
	v_lshl_add_u32 v11, v11, 2, 0
	s_waitcnt lgkmcnt(0)
	v_add_f32_e32 v1, v1, v2
	s_cbranch_vccz .LBB106_18
; %bb.17:
	s_mov_b32 s3, 0
	ds_write_b32 v11, v1
.LBB106_18:
	v_mov_b32_e32 v2, 0
	s_andn2_b32 vcc_lo, exec_lo, s3
	s_cbranch_vccnz .LBB106_20
; %bb.19:
	v_add_f32_e32 v2, v5, v4
	ds_bpermute_b32 v4, v3, v2
	s_waitcnt lgkmcnt(0)
	v_add_f32_e32 v2, v2, v4
	ds_bpermute_b32 v4, v6, v2
	s_waitcnt lgkmcnt(0)
	;; [unrolled: 3-line block ×5, first 2 shown]
	v_add_f32_e32 v2, v2, v4
	ds_write2_b32 v11, v1, v2 offset1:32
.LBB106_20:
	s_waitcnt lgkmcnt(0)
	s_barrier
	buffer_gl0_inv
	s_and_saveexec_b32 s3, s2
	s_cbranch_execz .LBB106_24
; %bb.21:
	ds_read_b32 v1, v7
	s_andn2_b32 vcc_lo, exec_lo, s1
	s_waitcnt lgkmcnt(0)
	ds_bpermute_b32 v4, v3, v1
	s_waitcnt lgkmcnt(0)
	v_add_f32_e32 v1, v1, v4
	ds_bpermute_b32 v4, v6, v1
	s_waitcnt lgkmcnt(0)
	v_add_f32_e32 v1, v1, v4
	;; [unrolled: 3-line block ×4, first 2 shown]
	ds_bpermute_b32 v4, v10, v1
	s_cbranch_vccnz .LBB106_23
; %bb.22:
	ds_read_b32 v2, v7 offset:128
	s_waitcnt lgkmcnt(0)
	ds_bpermute_b32 v3, v3, v2
	s_waitcnt lgkmcnt(0)
	v_add_f32_e32 v2, v2, v3
	ds_bpermute_b32 v3, v6, v2
	s_waitcnt lgkmcnt(0)
	v_add_f32_e32 v2, v2, v3
	;; [unrolled: 3-line block ×5, first 2 shown]
.LBB106_23:
	s_waitcnt lgkmcnt(0)
	v_add_f32_e32 v1, v1, v4
.LBB106_24:
	s_or_b32 exec_lo, exec_lo, s3
	s_barrier
	buffer_gl0_inv
	s_mov_b32 s2, exec_lo
	v_cmpx_eq_u32_e32 0, v0
	s_cbranch_execz .LBB106_48
; %bb.25:
	s_cmp_eq_u64 s[18:19], 0
	s_mul_i32 s8, s7, s22
	s_cselect_b32 s2, -1, 0
	s_ashr_i32 s9, s8, 31
	s_mul_hi_i32 s3, s30, s11
	s_and_b32 vcc_lo, exec_lo, s2
	s_mul_i32 s2, s30, s11
	s_cbranch_vccnz .LBB106_27
; %bb.26:
	s_cselect_b32 s7, 0, s19
	s_cselect_b32 s11, 0, s18
	s_lshl_b64 s[12:13], s[2:3], 2
	s_add_u32 s11, s11, s12
	s_addc_u32 s7, s7, s13
	s_lshl_b64 s[12:13], s[8:9], 2
	s_add_u32 s11, s11, s12
	s_addc_u32 s14, s7, s13
	s_ashr_i32 s7, s6, 31
	s_lshl_b64 s[12:13], s[6:7], 2
	s_add_u32 s12, s11, s12
	s_addc_u32 s13, s14, s13
	s_load_dword s7, s[12:13], 0x0
	s_waitcnt lgkmcnt(0)
	v_add_f32_e32 v1, s7, v1
.LBB106_27:
	s_andn2_b32 vcc_lo, exec_lo, s1
	s_cbranch_vccnz .LBB106_47
; %bb.28:
	s_cmp_lg_u64 s[26:27], 0
	s_cselect_b32 s7, -1, 0
	s_and_b32 s1, s7, s1
	s_andn2_b32 vcc_lo, exec_lo, s1
	s_cbranch_vccnz .LBB106_30
; %bb.29:
	s_and_b32 s1, s7, exec_lo
	s_cselect_b32 s1, s27, 0
	s_cselect_b32 s7, s26, 0
	s_lshl_b64 s[12:13], s[2:3], 2
	s_add_u32 s7, s7, s12
	s_addc_u32 s1, s1, s13
	s_lshl_b64 s[8:9], s[8:9], 2
	s_add_u32 s11, s7, s8
	s_addc_u32 s1, s1, s9
	s_ashr_i32 s7, s6, 31
	s_lshl_b64 s[8:9], s[6:7], 2
	s_add_u32 s8, s11, s8
	s_addc_u32 s9, s1, s9
	s_load_dword s1, s[8:9], 0x0
	s_waitcnt lgkmcnt(0)
	v_add_f32_e32 v2, s1, v2
.LBB106_30:
	s_cmp_lt_i32 s10, 2
	s_cbranch_scc1 .LBB106_35
; %bb.31:
	s_cmp_lt_i32 s10, 3
	s_cbranch_scc1 .LBB106_36
; %bb.32:
	v_mov_b32_e32 v0, v1
	s_cmp_eq_u32 s10, 3
	s_cbranch_scc0 .LBB106_34
; %bb.33:
	v_max_f32_e32 v0, v2, v2
	v_min_f32_e32 v0, 0x40e00000, v0
	v_mul_f32_e32 v3, 0xbfd9db23, v0
	v_mul_f32_e32 v4, 0x3fb8aa3b, v3
	v_cmp_ngt_f32_e32 vcc_lo, 0xc2ce8ed0, v3
	v_fma_f32 v5, 0x3fb8aa3b, v3, -v4
	v_rndne_f32_e32 v6, v4
	v_fmamk_f32 v5, v3, 0x32a5705f, v5
	v_sub_f32_e32 v4, v4, v6
	v_add_f32_e32 v4, v4, v5
	v_cvt_i32_f32_e32 v5, v6
	v_exp_f32_e32 v4, v4
	v_ldexp_f32 v4, v4, v5
	v_cndmask_b32_e32 v4, 0, v4, vcc_lo
	v_cmp_nlt_f32_e32 vcc_lo, 0x42b17218, v3
	v_cndmask_b32_e32 v3, 0x7f800000, v4, vcc_lo
	v_add_f32_e32 v3, 1.0, v3
	v_div_scale_f32 v4, null, v3, v3, v0
	v_div_scale_f32 v7, vcc_lo, v0, v3, v0
	v_rcp_f32_e32 v5, v4
	v_fma_f32 v6, -v4, v5, 1.0
	v_fmac_f32_e32 v5, v6, v5
	v_mul_f32_e32 v6, v7, v5
	v_fma_f32 v8, -v4, v6, v7
	v_fmac_f32_e32 v6, v8, v5
	v_max_f32_e32 v8, v1, v1
	v_fma_f32 v4, -v4, v6, v7
	v_min_f32_e32 v7, 0x40e00000, v8
	v_div_fmas_f32 v4, v4, v5, v6
	v_max_f32_e32 v5, 0xc0e00000, v7
	v_div_fixup_f32 v0, v4, v3, v0
	v_add_f32_e32 v3, 1.0, v5
	v_mul_f32_e32 v0, v3, v0
.LBB106_34:
	s_cbranch_execz .LBB106_37
	s_branch .LBB106_38
.LBB106_35:
                                        ; implicit-def: $vgpr0
	s_branch .LBB106_39
.LBB106_36:
                                        ; implicit-def: $vgpr0
.LBB106_37:
	v_mul_f32_e32 v0, 0xbfb8aa3b, v2
	v_cmp_nlt_f32_e32 vcc_lo, 0x42ce8ed0, v2
	v_rndne_f32_e32 v3, v0
	v_fma_f32 v4, 0xbfb8aa3b, v2, -v0
	v_sub_f32_e32 v0, v0, v3
	v_fmamk_f32 v4, v2, 0xb2a5705f, v4
	v_cvt_i32_f32_e32 v3, v3
	v_add_f32_e32 v0, v0, v4
	v_exp_f32_e32 v0, v0
	v_ldexp_f32 v0, v0, v3
	v_cndmask_b32_e32 v0, 0, v0, vcc_lo
	v_cmp_ngt_f32_e32 vcc_lo, 0xc2b17218, v2
	v_cndmask_b32_e32 v0, 0x7f800000, v0, vcc_lo
	v_add_f32_e32 v0, 1.0, v0
	v_div_scale_f32 v3, null, v0, v0, v2
	v_rcp_f32_e32 v4, v3
	v_fma_f32 v5, -v3, v4, 1.0
	v_fmac_f32_e32 v4, v5, v4
	v_div_scale_f32 v5, vcc_lo, v2, v0, v2
	v_mul_f32_e32 v6, v5, v4
	v_fma_f32 v7, -v3, v6, v5
	v_fmac_f32_e32 v6, v7, v4
	v_fma_f32 v3, -v3, v6, v5
	v_div_fmas_f32 v3, v3, v4, v6
	v_div_fixup_f32 v0, v3, v0, v2
	v_mul_f32_e32 v0, v1, v0
.LBB106_38:
	s_cbranch_execnz .LBB106_46
.LBB106_39:
	s_cmp_eq_u32 s10, 1
	s_cbranch_scc0 .LBB106_45
; %bb.40:
	v_mul_f32_e32 v0, 0x3d372713, v2
	v_mul_f32_e32 v3, 0x3f4c422a, v2
	v_fma_f32 v0, v2, v0, 1.0
	v_mul_f32_e32 v0, v3, v0
                                        ; implicit-def: $vgpr3
	v_cmp_ngt_f32_e64 s1, 0x3f200000, |v0|
	s_and_saveexec_b32 s7, s1
	s_xor_b32 s1, exec_lo, s7
	s_cbranch_execz .LBB106_42
; %bb.41:
	v_add_f32_e64 v3, |v0|, |v0|
	v_mul_f32_e32 v4, 0x3fb8aa3b, v3
	v_cmp_ngt_f32_e32 vcc_lo, 0xc2ce8ed0, v3
	v_rndne_f32_e32 v5, v4
	v_fma_f32 v6, 0x3fb8aa3b, v3, -v4
	v_sub_f32_e32 v4, v4, v5
	v_fmamk_f32 v6, v3, 0x32a5705f, v6
	v_cvt_i32_f32_e32 v5, v5
	v_add_f32_e32 v4, v4, v6
	v_exp_f32_e32 v4, v4
	v_ldexp_f32 v4, v4, v5
	v_cndmask_b32_e32 v4, 0, v4, vcc_lo
	v_cmp_nlt_f32_e32 vcc_lo, 0x42b17218, v3
	v_cndmask_b32_e32 v3, 0x7f800000, v4, vcc_lo
	v_add_f32_e32 v3, 1.0, v3
	v_rcp_f32_e32 v3, v3
	v_fma_f32 v3, v3, -2.0, 1.0
.LBB106_42:
	s_andn2_saveexec_b32 s1, s1
	s_cbranch_execz .LBB106_44
; %bb.43:
	v_mul_f32_e32 v3, v0, v0
	s_mov_b32 s7, 0xbbbac73d
	v_fmaak_f32 v4, s7, v3, 0x3ca908c9
	v_fmaak_f32 v4, v3, v4, 0xbd5c1c4e
	;; [unrolled: 1-line block ×4, first 2 shown]
	v_mul_f32_e64 v4, |v0|, v4
	v_fma_f32 v3, v3, v4, |v0|
.LBB106_44:
	s_or_b32 exec_lo, exec_lo, s1
	v_bfi_b32 v0, 0x7fffffff, v3, v0
	v_mul_f32_e32 v2, 0.5, v2
	v_add_f32_e32 v0, 1.0, v0
	v_mul_f32_e32 v0, v2, v0
	v_mul_f32_e32 v1, v1, v0
.LBB106_45:
	v_mov_b32_e32 v0, v1
.LBB106_46:
	v_mov_b32_e32 v1, v0
.LBB106_47:
	s_load_dwordx2 s[4:5], s[4:5], 0x38
	s_mul_i32 s0, s22, s0
	s_lshl_b64 s[2:3], s[2:3], 2
	s_ashr_i32 s1, s0, 31
	v_mov_b32_e32 v0, 0
	s_waitcnt lgkmcnt(0)
	s_add_u32 s2, s4, s2
	s_addc_u32 s3, s5, s3
	s_lshl_b64 s[0:1], s[0:1], 2
	s_add_u32 s2, s2, s0
	s_addc_u32 s3, s3, s1
	s_ashr_i32 s7, s6, 31
	s_lshl_b64 s[0:1], s[6:7], 2
	s_add_u32 s0, s2, s0
	s_addc_u32 s1, s3, s1
	global_store_dword v0, v1, s[0:1]
.LBB106_48:
	s_endpgm
	.section	.rodata,"a",@progbits
	.p2align	6, 0x0
	.amdhsa_kernel _ZL13mul_mat_vec_fI6__halfS0_Li1ELi64ELb1ELb0EEvPKT_PKfPKi31ggml_cuda_mm_fusion_args_devicePfi15HIP_vector_typeIjLj3EEiiiSB_iiiSB_iiii
		.amdhsa_group_segment_fixed_size 0
		.amdhsa_private_segment_fixed_size 0
		.amdhsa_kernarg_size 144
		.amdhsa_user_sgpr_count 6
		.amdhsa_user_sgpr_private_segment_buffer 1
		.amdhsa_user_sgpr_dispatch_ptr 0
		.amdhsa_user_sgpr_queue_ptr 0
		.amdhsa_user_sgpr_kernarg_segment_ptr 1
		.amdhsa_user_sgpr_dispatch_id 0
		.amdhsa_user_sgpr_flat_scratch_init 0
		.amdhsa_user_sgpr_private_segment_size 0
		.amdhsa_wavefront_size32 1
		.amdhsa_uses_dynamic_stack 0
		.amdhsa_system_sgpr_private_segment_wavefront_offset 0
		.amdhsa_system_sgpr_workgroup_id_x 1
		.amdhsa_system_sgpr_workgroup_id_y 1
		.amdhsa_system_sgpr_workgroup_id_z 1
		.amdhsa_system_sgpr_workgroup_info 0
		.amdhsa_system_vgpr_workitem_id 0
		.amdhsa_next_free_vgpr 15
		.amdhsa_next_free_sgpr 40
		.amdhsa_reserve_vcc 1
		.amdhsa_reserve_flat_scratch 0
		.amdhsa_float_round_mode_32 0
		.amdhsa_float_round_mode_16_64 0
		.amdhsa_float_denorm_mode_32 3
		.amdhsa_float_denorm_mode_16_64 3
		.amdhsa_dx10_clamp 1
		.amdhsa_ieee_mode 1
		.amdhsa_fp16_overflow 0
		.amdhsa_workgroup_processor_mode 1
		.amdhsa_memory_ordered 1
		.amdhsa_forward_progress 1
		.amdhsa_shared_vgpr_count 0
		.amdhsa_exception_fp_ieee_invalid_op 0
		.amdhsa_exception_fp_denorm_src 0
		.amdhsa_exception_fp_ieee_div_zero 0
		.amdhsa_exception_fp_ieee_overflow 0
		.amdhsa_exception_fp_ieee_underflow 0
		.amdhsa_exception_fp_ieee_inexact 0
		.amdhsa_exception_int_div_zero 0
	.end_amdhsa_kernel
	.section	.text._ZL13mul_mat_vec_fI6__halfS0_Li1ELi64ELb1ELb0EEvPKT_PKfPKi31ggml_cuda_mm_fusion_args_devicePfi15HIP_vector_typeIjLj3EEiiiSB_iiiSB_iiii,"axG",@progbits,_ZL13mul_mat_vec_fI6__halfS0_Li1ELi64ELb1ELb0EEvPKT_PKfPKi31ggml_cuda_mm_fusion_args_devicePfi15HIP_vector_typeIjLj3EEiiiSB_iiiSB_iiii,comdat
.Lfunc_end106:
	.size	_ZL13mul_mat_vec_fI6__halfS0_Li1ELi64ELb1ELb0EEvPKT_PKfPKi31ggml_cuda_mm_fusion_args_devicePfi15HIP_vector_typeIjLj3EEiiiSB_iiiSB_iiii, .Lfunc_end106-_ZL13mul_mat_vec_fI6__halfS0_Li1ELi64ELb1ELb0EEvPKT_PKfPKi31ggml_cuda_mm_fusion_args_devicePfi15HIP_vector_typeIjLj3EEiiiSB_iiiSB_iiii
                                        ; -- End function
	.set _ZL13mul_mat_vec_fI6__halfS0_Li1ELi64ELb1ELb0EEvPKT_PKfPKi31ggml_cuda_mm_fusion_args_devicePfi15HIP_vector_typeIjLj3EEiiiSB_iiiSB_iiii.num_vgpr, 15
	.set _ZL13mul_mat_vec_fI6__halfS0_Li1ELi64ELb1ELb0EEvPKT_PKfPKi31ggml_cuda_mm_fusion_args_devicePfi15HIP_vector_typeIjLj3EEiiiSB_iiiSB_iiii.num_agpr, 0
	.set _ZL13mul_mat_vec_fI6__halfS0_Li1ELi64ELb1ELb0EEvPKT_PKfPKi31ggml_cuda_mm_fusion_args_devicePfi15HIP_vector_typeIjLj3EEiiiSB_iiiSB_iiii.numbered_sgpr, 40
	.set _ZL13mul_mat_vec_fI6__halfS0_Li1ELi64ELb1ELb0EEvPKT_PKfPKi31ggml_cuda_mm_fusion_args_devicePfi15HIP_vector_typeIjLj3EEiiiSB_iiiSB_iiii.num_named_barrier, 0
	.set _ZL13mul_mat_vec_fI6__halfS0_Li1ELi64ELb1ELb0EEvPKT_PKfPKi31ggml_cuda_mm_fusion_args_devicePfi15HIP_vector_typeIjLj3EEiiiSB_iiiSB_iiii.private_seg_size, 0
	.set _ZL13mul_mat_vec_fI6__halfS0_Li1ELi64ELb1ELb0EEvPKT_PKfPKi31ggml_cuda_mm_fusion_args_devicePfi15HIP_vector_typeIjLj3EEiiiSB_iiiSB_iiii.uses_vcc, 1
	.set _ZL13mul_mat_vec_fI6__halfS0_Li1ELi64ELb1ELb0EEvPKT_PKfPKi31ggml_cuda_mm_fusion_args_devicePfi15HIP_vector_typeIjLj3EEiiiSB_iiiSB_iiii.uses_flat_scratch, 0
	.set _ZL13mul_mat_vec_fI6__halfS0_Li1ELi64ELb1ELb0EEvPKT_PKfPKi31ggml_cuda_mm_fusion_args_devicePfi15HIP_vector_typeIjLj3EEiiiSB_iiiSB_iiii.has_dyn_sized_stack, 0
	.set _ZL13mul_mat_vec_fI6__halfS0_Li1ELi64ELb1ELb0EEvPKT_PKfPKi31ggml_cuda_mm_fusion_args_devicePfi15HIP_vector_typeIjLj3EEiiiSB_iiiSB_iiii.has_recursion, 0
	.set _ZL13mul_mat_vec_fI6__halfS0_Li1ELi64ELb1ELb0EEvPKT_PKfPKi31ggml_cuda_mm_fusion_args_devicePfi15HIP_vector_typeIjLj3EEiiiSB_iiiSB_iiii.has_indirect_call, 0
	.section	.AMDGPU.csdata,"",@progbits
; Kernel info:
; codeLenInByte = 2300
; TotalNumSgprs: 42
; NumVgprs: 15
; ScratchSize: 0
; MemoryBound: 0
; FloatMode: 240
; IeeeMode: 1
; LDSByteSize: 0 bytes/workgroup (compile time only)
; SGPRBlocks: 0
; VGPRBlocks: 1
; NumSGPRsForWavesPerEU: 42
; NumVGPRsForWavesPerEU: 15
; Occupancy: 16
; WaveLimiterHint : 1
; COMPUTE_PGM_RSRC2:SCRATCH_EN: 0
; COMPUTE_PGM_RSRC2:USER_SGPR: 6
; COMPUTE_PGM_RSRC2:TRAP_HANDLER: 0
; COMPUTE_PGM_RSRC2:TGID_X_EN: 1
; COMPUTE_PGM_RSRC2:TGID_Y_EN: 1
; COMPUTE_PGM_RSRC2:TGID_Z_EN: 1
; COMPUTE_PGM_RSRC2:TIDIG_COMP_CNT: 0
	.section	.text._ZL13mul_mat_vec_fI6__halfS0_Li1ELi64ELb0ELb0EEvPKT_PKfPKi31ggml_cuda_mm_fusion_args_devicePfi15HIP_vector_typeIjLj3EEiiiSB_iiiSB_iiii,"axG",@progbits,_ZL13mul_mat_vec_fI6__halfS0_Li1ELi64ELb0ELb0EEvPKT_PKfPKi31ggml_cuda_mm_fusion_args_devicePfi15HIP_vector_typeIjLj3EEiiiSB_iiiSB_iiii,comdat
	.globl	_ZL13mul_mat_vec_fI6__halfS0_Li1ELi64ELb0ELb0EEvPKT_PKfPKi31ggml_cuda_mm_fusion_args_devicePfi15HIP_vector_typeIjLj3EEiiiSB_iiiSB_iiii ; -- Begin function _ZL13mul_mat_vec_fI6__halfS0_Li1ELi64ELb0ELb0EEvPKT_PKfPKi31ggml_cuda_mm_fusion_args_devicePfi15HIP_vector_typeIjLj3EEiiiSB_iiiSB_iiii
	.p2align	8
	.type	_ZL13mul_mat_vec_fI6__halfS0_Li1ELi64ELb0ELb0EEvPKT_PKfPKi31ggml_cuda_mm_fusion_args_devicePfi15HIP_vector_typeIjLj3EEiiiSB_iiiSB_iiii,@function
_ZL13mul_mat_vec_fI6__halfS0_Li1ELi64ELb0ELb0EEvPKT_PKfPKi31ggml_cuda_mm_fusion_args_devicePfi15HIP_vector_typeIjLj3EEiiiSB_iiiSB_iiii: ; @_ZL13mul_mat_vec_fI6__halfS0_Li1ELi64ELb0ELb0EEvPKT_PKfPKi31ggml_cuda_mm_fusion_args_devicePfi15HIP_vector_typeIjLj3EEiiiSB_iiiSB_iiii
; %bb.0:
	s_clause 0x2
	s_load_dwordx2 s[2:3], s[4:5], 0x10
	s_load_dwordx4 s[20:23], s[4:5], 0x40
	s_load_dwordx4 s[12:15], s[4:5], 0x80
	s_waitcnt lgkmcnt(0)
	s_cmp_eq_u64 s[2:3], 0
	s_cselect_b32 s9, -1, 0
	s_cmp_lg_u64 s[2:3], 0
	s_cselect_b32 s10, -1, 0
	s_and_b32 vcc_lo, exec_lo, s9
	s_cbranch_vccnz .LBB107_2
; %bb.1:
	s_mul_i32 s0, s15, s8
	s_mov_b32 s1, 0
	s_add_i32 s0, s0, s7
	s_lshl_b64 s[16:17], s[0:1], 2
	s_add_u32 s2, s2, s16
	s_addc_u32 s3, s3, s17
	s_load_dword s15, s[2:3], 0x0
	s_load_dword s24, s[4:5], 0x50
	s_cbranch_execz .LBB107_3
	s_branch .LBB107_4
.LBB107_2:
                                        ; implicit-def: $sgpr15
	s_load_dword s24, s[4:5], 0x50
.LBB107_3:
	s_load_dwordx2 s[0:1], s[4:5], 0x5c
	s_waitcnt lgkmcnt(0)
	s_mul_hi_u32 s0, s0, s7
	s_add_i32 s0, s7, s0
	s_lshr_b32 s15, s0, s1
.LBB107_4:
	s_load_dwordx4 s[16:19], s[4:5], 0x68
	s_andn2_b32 vcc_lo, exec_lo, s10
	s_mov_b32 s25, s7
	s_cbranch_vccnz .LBB107_6
; %bb.5:
	s_mul_hi_u32 s0, s21, s7
	s_add_i32 s0, s7, s0
	s_lshr_b32 s0, s0, s22
	s_mul_i32 s0, s0, s23
	s_sub_i32 s25, s7, s0
.LBB107_6:
	s_load_dword s1, s[4:5], 0x78
	v_cmp_gt_u32_e32 vcc_lo, 32, v0
	v_lshl_add_u32 v5, v0, 2, 0
	s_and_saveexec_b32 s0, vcc_lo
; %bb.7:
	v_mov_b32_e32 v1, 0
	ds_write_b32 v5, v1
; %bb.8:
	s_or_b32 exec_lo, exec_lo, s0
	v_mov_b32_e32 v1, 0
	v_mov_b32_e32 v2, 0
	s_and_b32 s0, exec_lo, s9
	s_cselect_b32 s2, s8, 0
	s_mov_b32 s3, exec_lo
	s_waitcnt lgkmcnt(0)
	s_barrier
	buffer_gl0_inv
	v_cmpx_gt_i32_e64 s20, v0
	s_cbranch_execz .LBB107_12
; %bb.9:
	s_load_dwordx4 s[8:11], s[4:5], 0x0
	s_mul_hi_u32 s0, s19, s2
	s_mul_i32 s22, s24, s6
	s_mul_i32 s24, s25, s17
	s_add_i32 s0, s2, s0
	s_ashr_i32 s25, s24, 31
	s_mul_i32 s16, s15, s16
	s_mul_hi_i32 s27, s2, s13
	s_mul_i32 s26, s2, s13
	s_lshr_b32 s15, s0, s1
	s_lshl_b64 s[0:1], s[24:25], 2
	v_lshlrev_b32_e32 v1, 3, v0
	s_ashr_i32 s17, s16, 31
	s_ashr_i32 s23, s22, 31
	s_lshl_b64 s[26:27], s[26:27], 2
	s_mul_hi_i32 s13, s15, s12
	s_mul_i32 s12, s15, s12
	v_lshlrev_b32_e32 v3, 2, v0
	v_mov_b32_e32 v6, 0
	v_mov_b32_e32 v7, v0
	s_waitcnt lgkmcnt(0)
	s_add_u32 s0, s10, s0
	s_addc_u32 s1, s11, s1
	s_add_u32 s0, s0, s26
	s_addc_u32 s1, s1, s27
	v_add_co_u32 v1, s0, s0, v1
	v_add_co_ci_u32_e64 v2, null, s1, 0, s0
	s_lshl_b64 s[10:11], s[12:13], 1
	v_add_co_u32 v1, s0, v1, 4
	v_add_co_ci_u32_e64 v2, null, 0, v2, s0
	s_lshl_b64 s[0:1], s[16:17], 1
	s_lshl_b64 s[12:13], s[22:23], 1
	s_add_u32 s0, s8, s0
	s_addc_u32 s1, s9, s1
	s_add_u32 s0, s0, s12
	s_addc_u32 s1, s1, s13
	;; [unrolled: 2-line block ×3, first 2 shown]
	v_add_co_u32 v3, s0, s0, v3
	v_add_co_ci_u32_e64 v4, null, s1, 0, s0
	s_mov_b32 s8, 0
	.p2align	6
.LBB107_10:                             ; =>This Inner Loop Header: Depth=1
	global_load_dwordx2 v[8:9], v[1:2], off offset:-4
	global_load_dword v10, v[3:4], off
	v_add_nc_u32_e32 v7, 64, v7
	v_add_co_u32 v1, s0, 0x200, v1
	v_add_co_ci_u32_e64 v2, null, 0, v2, s0
	v_add_co_u32 v3, s0, 0x100, v3
	v_cmp_le_i32_e64 s1, s20, v7
	v_add_co_ci_u32_e64 v4, null, 0, v4, s0
	s_or_b32 s8, s1, s8
	s_waitcnt vmcnt(1)
	v_cvt_f16_f32_e32 v8, v8
	v_cvt_f16_f32_e32 v9, v9
	v_pack_b32_f16 v8, v8, v9
	s_waitcnt vmcnt(0)
	v_pk_fma_f16 v6, v10, v8, v6
	s_andn2_b32 exec_lo, exec_lo, s8
	s_cbranch_execnz .LBB107_10
; %bb.11:
	s_or_b32 exec_lo, exec_lo, s8
	v_cvt_f32_f16_sdwa v1, v6 dst_sel:DWORD dst_unused:UNUSED_PAD src0_sel:WORD_1
	v_cvt_f32_f16_e32 v2, v6
.LBB107_12:
	s_or_b32 exec_lo, exec_lo, s3
	v_mbcnt_lo_u32_b32 v7, -1, 0
	v_add_f32_e32 v2, v2, v1
	v_xor_b32_e32 v3, 16, v7
	v_xor_b32_e32 v9, 1, v7
	v_cmp_gt_i32_e64 s0, 32, v3
	v_cndmask_b32_e64 v3, v7, v3, s0
	v_lshlrev_b32_e32 v1, 2, v3
	v_xor_b32_e32 v3, 8, v7
	ds_bpermute_b32 v4, v1, v2
	v_cmp_gt_i32_e64 s0, 32, v3
	v_cndmask_b32_e64 v3, v7, v3, s0
	v_lshlrev_b32_e32 v3, 2, v3
	s_waitcnt lgkmcnt(0)
	v_add_f32_e32 v2, v2, v4
	v_xor_b32_e32 v4, 4, v7
	ds_bpermute_b32 v6, v3, v2
	v_cmp_gt_i32_e64 s0, 32, v4
	v_cndmask_b32_e64 v4, v7, v4, s0
	v_lshlrev_b32_e32 v4, 2, v4
	s_waitcnt lgkmcnt(0)
	v_add_f32_e32 v2, v2, v6
	v_xor_b32_e32 v6, 2, v7
	ds_bpermute_b32 v8, v4, v2
	v_cmp_gt_i32_e64 s0, 32, v6
	v_cndmask_b32_e64 v6, v7, v6, s0
	v_cmp_gt_i32_e64 s0, 32, v9
	v_lshlrev_b32_e32 v6, 2, v6
	v_cndmask_b32_e64 v7, v7, v9, s0
	v_lshrrev_b32_e32 v9, 3, v0
	v_lshlrev_b32_e32 v7, 2, v7
	v_and_b32_e32 v9, 0x7c, v9
	s_waitcnt lgkmcnt(0)
	v_add_f32_e32 v2, v2, v8
	v_add_nc_u32_e32 v9, 0, v9
	ds_bpermute_b32 v8, v6, v2
	s_waitcnt lgkmcnt(0)
	v_add_f32_e32 v2, v2, v8
	ds_bpermute_b32 v8, v7, v2
	s_waitcnt lgkmcnt(0)
	v_add_f32_e32 v2, v2, v8
	ds_write_b32 v9, v2
	s_waitcnt lgkmcnt(0)
	s_barrier
	buffer_gl0_inv
	s_and_saveexec_b32 s0, vcc_lo
	s_cbranch_execz .LBB107_14
; %bb.13:
	ds_read_b32 v2, v5
	s_waitcnt lgkmcnt(0)
	ds_bpermute_b32 v1, v1, v2
	s_waitcnt lgkmcnt(0)
	v_add_f32_e32 v1, v2, v1
	ds_bpermute_b32 v2, v3, v1
	s_waitcnt lgkmcnt(0)
	v_add_f32_e32 v1, v1, v2
	;; [unrolled: 3-line block ×5, first 2 shown]
.LBB107_14:
	s_or_b32 exec_lo, exec_lo, s0
	s_barrier
	buffer_gl0_inv
	s_mov_b32 s0, exec_lo
	v_cmpx_eq_u32_e32 0, v0
	s_cbranch_execz .LBB107_16
; %bb.15:
	s_load_dwordx2 s[0:1], s[4:5], 0x38
	s_mul_hi_i32 s3, s14, s2
	s_mul_i32 s2, s14, s2
	s_mul_i32 s4, s18, s7
	s_lshl_b64 s[2:3], s[2:3], 2
	s_ashr_i32 s5, s4, 31
	v_mov_b32_e32 v0, 0
	s_waitcnt lgkmcnt(0)
	s_add_u32 s2, s0, s2
	s_addc_u32 s3, s1, s3
	s_lshl_b64 s[0:1], s[4:5], 2
	s_add_u32 s2, s2, s0
	s_addc_u32 s3, s3, s1
	s_ashr_i32 s7, s6, 31
	s_lshl_b64 s[0:1], s[6:7], 2
	s_add_u32 s0, s2, s0
	s_addc_u32 s1, s3, s1
	global_store_dword v0, v2, s[0:1]
.LBB107_16:
	s_endpgm
	.section	.rodata,"a",@progbits
	.p2align	6, 0x0
	.amdhsa_kernel _ZL13mul_mat_vec_fI6__halfS0_Li1ELi64ELb0ELb0EEvPKT_PKfPKi31ggml_cuda_mm_fusion_args_devicePfi15HIP_vector_typeIjLj3EEiiiSB_iiiSB_iiii
		.amdhsa_group_segment_fixed_size 0
		.amdhsa_private_segment_fixed_size 0
		.amdhsa_kernarg_size 144
		.amdhsa_user_sgpr_count 6
		.amdhsa_user_sgpr_private_segment_buffer 1
		.amdhsa_user_sgpr_dispatch_ptr 0
		.amdhsa_user_sgpr_queue_ptr 0
		.amdhsa_user_sgpr_kernarg_segment_ptr 1
		.amdhsa_user_sgpr_dispatch_id 0
		.amdhsa_user_sgpr_flat_scratch_init 0
		.amdhsa_user_sgpr_private_segment_size 0
		.amdhsa_wavefront_size32 1
		.amdhsa_uses_dynamic_stack 0
		.amdhsa_system_sgpr_private_segment_wavefront_offset 0
		.amdhsa_system_sgpr_workgroup_id_x 1
		.amdhsa_system_sgpr_workgroup_id_y 1
		.amdhsa_system_sgpr_workgroup_id_z 1
		.amdhsa_system_sgpr_workgroup_info 0
		.amdhsa_system_vgpr_workitem_id 0
		.amdhsa_next_free_vgpr 11
		.amdhsa_next_free_sgpr 28
		.amdhsa_reserve_vcc 1
		.amdhsa_reserve_flat_scratch 0
		.amdhsa_float_round_mode_32 0
		.amdhsa_float_round_mode_16_64 0
		.amdhsa_float_denorm_mode_32 3
		.amdhsa_float_denorm_mode_16_64 3
		.amdhsa_dx10_clamp 1
		.amdhsa_ieee_mode 1
		.amdhsa_fp16_overflow 0
		.amdhsa_workgroup_processor_mode 1
		.amdhsa_memory_ordered 1
		.amdhsa_forward_progress 1
		.amdhsa_shared_vgpr_count 0
		.amdhsa_exception_fp_ieee_invalid_op 0
		.amdhsa_exception_fp_denorm_src 0
		.amdhsa_exception_fp_ieee_div_zero 0
		.amdhsa_exception_fp_ieee_overflow 0
		.amdhsa_exception_fp_ieee_underflow 0
		.amdhsa_exception_fp_ieee_inexact 0
		.amdhsa_exception_int_div_zero 0
	.end_amdhsa_kernel
	.section	.text._ZL13mul_mat_vec_fI6__halfS0_Li1ELi64ELb0ELb0EEvPKT_PKfPKi31ggml_cuda_mm_fusion_args_devicePfi15HIP_vector_typeIjLj3EEiiiSB_iiiSB_iiii,"axG",@progbits,_ZL13mul_mat_vec_fI6__halfS0_Li1ELi64ELb0ELb0EEvPKT_PKfPKi31ggml_cuda_mm_fusion_args_devicePfi15HIP_vector_typeIjLj3EEiiiSB_iiiSB_iiii,comdat
.Lfunc_end107:
	.size	_ZL13mul_mat_vec_fI6__halfS0_Li1ELi64ELb0ELb0EEvPKT_PKfPKi31ggml_cuda_mm_fusion_args_devicePfi15HIP_vector_typeIjLj3EEiiiSB_iiiSB_iiii, .Lfunc_end107-_ZL13mul_mat_vec_fI6__halfS0_Li1ELi64ELb0ELb0EEvPKT_PKfPKi31ggml_cuda_mm_fusion_args_devicePfi15HIP_vector_typeIjLj3EEiiiSB_iiiSB_iiii
                                        ; -- End function
	.set _ZL13mul_mat_vec_fI6__halfS0_Li1ELi64ELb0ELb0EEvPKT_PKfPKi31ggml_cuda_mm_fusion_args_devicePfi15HIP_vector_typeIjLj3EEiiiSB_iiiSB_iiii.num_vgpr, 11
	.set _ZL13mul_mat_vec_fI6__halfS0_Li1ELi64ELb0ELb0EEvPKT_PKfPKi31ggml_cuda_mm_fusion_args_devicePfi15HIP_vector_typeIjLj3EEiiiSB_iiiSB_iiii.num_agpr, 0
	.set _ZL13mul_mat_vec_fI6__halfS0_Li1ELi64ELb0ELb0EEvPKT_PKfPKi31ggml_cuda_mm_fusion_args_devicePfi15HIP_vector_typeIjLj3EEiiiSB_iiiSB_iiii.numbered_sgpr, 28
	.set _ZL13mul_mat_vec_fI6__halfS0_Li1ELi64ELb0ELb0EEvPKT_PKfPKi31ggml_cuda_mm_fusion_args_devicePfi15HIP_vector_typeIjLj3EEiiiSB_iiiSB_iiii.num_named_barrier, 0
	.set _ZL13mul_mat_vec_fI6__halfS0_Li1ELi64ELb0ELb0EEvPKT_PKfPKi31ggml_cuda_mm_fusion_args_devicePfi15HIP_vector_typeIjLj3EEiiiSB_iiiSB_iiii.private_seg_size, 0
	.set _ZL13mul_mat_vec_fI6__halfS0_Li1ELi64ELb0ELb0EEvPKT_PKfPKi31ggml_cuda_mm_fusion_args_devicePfi15HIP_vector_typeIjLj3EEiiiSB_iiiSB_iiii.uses_vcc, 1
	.set _ZL13mul_mat_vec_fI6__halfS0_Li1ELi64ELb0ELb0EEvPKT_PKfPKi31ggml_cuda_mm_fusion_args_devicePfi15HIP_vector_typeIjLj3EEiiiSB_iiiSB_iiii.uses_flat_scratch, 0
	.set _ZL13mul_mat_vec_fI6__halfS0_Li1ELi64ELb0ELb0EEvPKT_PKfPKi31ggml_cuda_mm_fusion_args_devicePfi15HIP_vector_typeIjLj3EEiiiSB_iiiSB_iiii.has_dyn_sized_stack, 0
	.set _ZL13mul_mat_vec_fI6__halfS0_Li1ELi64ELb0ELb0EEvPKT_PKfPKi31ggml_cuda_mm_fusion_args_devicePfi15HIP_vector_typeIjLj3EEiiiSB_iiiSB_iiii.has_recursion, 0
	.set _ZL13mul_mat_vec_fI6__halfS0_Li1ELi64ELb0ELb0EEvPKT_PKfPKi31ggml_cuda_mm_fusion_args_devicePfi15HIP_vector_typeIjLj3EEiiiSB_iiiSB_iiii.has_indirect_call, 0
	.section	.AMDGPU.csdata,"",@progbits
; Kernel info:
; codeLenInByte = 1108
; TotalNumSgprs: 30
; NumVgprs: 11
; ScratchSize: 0
; MemoryBound: 0
; FloatMode: 240
; IeeeMode: 1
; LDSByteSize: 0 bytes/workgroup (compile time only)
; SGPRBlocks: 0
; VGPRBlocks: 1
; NumSGPRsForWavesPerEU: 30
; NumVGPRsForWavesPerEU: 11
; Occupancy: 16
; WaveLimiterHint : 0
; COMPUTE_PGM_RSRC2:SCRATCH_EN: 0
; COMPUTE_PGM_RSRC2:USER_SGPR: 6
; COMPUTE_PGM_RSRC2:TRAP_HANDLER: 0
; COMPUTE_PGM_RSRC2:TGID_X_EN: 1
; COMPUTE_PGM_RSRC2:TGID_Y_EN: 1
; COMPUTE_PGM_RSRC2:TGID_Z_EN: 1
; COMPUTE_PGM_RSRC2:TIDIG_COMP_CNT: 0
	.section	.text._ZL13mul_mat_vec_fI6__halfS0_Li1ELi96ELb1ELb0EEvPKT_PKfPKi31ggml_cuda_mm_fusion_args_devicePfi15HIP_vector_typeIjLj3EEiiiSB_iiiSB_iiii,"axG",@progbits,_ZL13mul_mat_vec_fI6__halfS0_Li1ELi96ELb1ELb0EEvPKT_PKfPKi31ggml_cuda_mm_fusion_args_devicePfi15HIP_vector_typeIjLj3EEiiiSB_iiiSB_iiii,comdat
	.globl	_ZL13mul_mat_vec_fI6__halfS0_Li1ELi96ELb1ELb0EEvPKT_PKfPKi31ggml_cuda_mm_fusion_args_devicePfi15HIP_vector_typeIjLj3EEiiiSB_iiiSB_iiii ; -- Begin function _ZL13mul_mat_vec_fI6__halfS0_Li1ELi96ELb1ELb0EEvPKT_PKfPKi31ggml_cuda_mm_fusion_args_devicePfi15HIP_vector_typeIjLj3EEiiiSB_iiiSB_iiii
	.p2align	8
	.type	_ZL13mul_mat_vec_fI6__halfS0_Li1ELi96ELb1ELb0EEvPKT_PKfPKi31ggml_cuda_mm_fusion_args_devicePfi15HIP_vector_typeIjLj3EEiiiSB_iiiSB_iiii,@function
_ZL13mul_mat_vec_fI6__halfS0_Li1ELi96ELb1ELb0EEvPKT_PKfPKi31ggml_cuda_mm_fusion_args_devicePfi15HIP_vector_typeIjLj3EEiiiSB_iiiSB_iiii: ; @_ZL13mul_mat_vec_fI6__halfS0_Li1ELi96ELb1ELb0EEvPKT_PKfPKi31ggml_cuda_mm_fusion_args_devicePfi15HIP_vector_typeIjLj3EEiiiSB_iiiSB_iiii
; %bb.0:
	s_clause 0x3
	s_load_dwordx8 s[12:19], s[4:5], 0x0
	s_load_dwordx4 s[24:27], s[4:5], 0x20
	s_load_dwordx4 s[36:39], s[4:5], 0x40
	;; [unrolled: 1-line block ×3, first 2 shown]
	s_mov_b32 s0, s7
	s_waitcnt lgkmcnt(0)
	s_cmp_eq_u64 s[16:17], 0
	s_cselect_b32 s10, -1, 0
	s_cmp_lg_u64 s[16:17], 0
	s_cselect_b32 s1, -1, 0
	s_and_b32 vcc_lo, exec_lo, s10
	s_cbranch_vccnz .LBB108_2
; %bb.1:
	s_mul_i32 s2, s31, s8
	s_mov_b32 s3, 0
	s_add_i32 s2, s2, s0
	s_lshl_b64 s[20:21], s[2:3], 2
	s_add_u32 s16, s16, s20
	s_addc_u32 s17, s17, s21
	s_load_dword s7, s[16:17], 0x0
	s_load_dword s16, s[4:5], 0x50
	s_waitcnt lgkmcnt(0)
	s_mov_b32 s3, s7
	s_cbranch_execz .LBB108_3
	s_branch .LBB108_4
.LBB108_2:
                                        ; implicit-def: $sgpr7
	s_load_dword s16, s[4:5], 0x50
	s_mov_b32 s3, s7
.LBB108_3:
	s_load_dwordx2 s[2:3], s[4:5], 0x5c
	s_mov_b32 s7, s0
	s_waitcnt lgkmcnt(0)
	s_mul_hi_u32 s2, s2, s0
	s_add_i32 s2, s0, s2
	s_lshr_b32 s3, s2, s3
.LBB108_4:
	s_load_dwordx4 s[20:23], s[4:5], 0x68
	s_andn2_b32 vcc_lo, exec_lo, s1
	s_mov_b32 s17, s0
	s_cbranch_vccnz .LBB108_6
; %bb.5:
	s_mul_hi_u32 s1, s37, s0
	s_add_i32 s1, s0, s1
	s_lshr_b32 s1, s1, s38
	s_mul_i32 s1, s1, s39
	s_sub_i32 s17, s0, s1
.LBB108_6:
	s_load_dword s31, s[4:5], 0x78
	s_cmp_lg_u64 s[24:25], 0
	v_cmp_gt_u32_e64 s2, 32, v0
	v_lshl_add_u32 v7, v0, 2, 0
	s_cselect_b32 s1, -1, 0
	s_cmp_eq_u64 s[24:25], 0
	s_cselect_b32 s9, -1, 0
	s_and_saveexec_b32 s11, s2
	s_cbranch_execz .LBB108_9
; %bb.7:
	v_mov_b32_e32 v1, 0
	s_andn2_b32 vcc_lo, exec_lo, s1
	ds_write_b32 v7, v1
	s_cbranch_vccnz .LBB108_9
; %bb.8:
	ds_write_b32 v7, v1 offset:128
.LBB108_9:
	s_or_b32 exec_lo, exec_lo, s11
	v_mov_b32_e32 v8, 0
	v_mov_b32_e32 v4, 0
	;; [unrolled: 1-line block ×3, first 2 shown]
	s_and_b32 s10, exec_lo, s10
	s_cselect_b32 s11, s8, 0
	s_mov_b32 s10, 0
	s_mov_b32 s8, exec_lo
	s_waitcnt lgkmcnt(0)
	s_barrier
	buffer_gl0_inv
	v_cmpx_gt_i32_e64 s36, v0
	s_cbranch_execz .LBB108_16
; %bb.10:
	s_mul_hi_u32 s23, s23, s11
	s_mul_i32 s3, s3, s20
	s_add_i32 s23, s11, s23
	s_mul_i32 s16, s16, s6
	s_lshr_b32 s20, s23, s31
	s_ashr_i32 s31, s16, 31
	s_mul_hi_i32 s23, s20, s28
	s_mul_i32 s20, s20, s28
	s_ashr_i32 s28, s3, 31
	s_add_u32 s16, s20, s16
	s_addc_u32 s23, s23, s31
	s_mul_i32 s20, s17, s21
	s_add_u32 s16, s16, s3
	s_addc_u32 s17, s23, s28
	s_ashr_i32 s21, s20, 31
	s_and_b32 s3, s1, exec_lo
	s_cselect_b32 s35, s17, 0
	s_cselect_b32 s34, s16, 0
	v_lshlrev_b32_e32 v5, 2, v0
	s_cselect_b32 s3, s25, 0
	s_cselect_b32 s23, s24, 0
	s_lshl_b64 s[24:25], s[34:35], 1
	v_lshlrev_b32_e32 v3, 3, v0
	s_add_u32 s23, s23, s24
	s_addc_u32 s3, s3, s25
	s_mul_hi_i32 s25, s11, s29
	s_mul_i32 s24, s11, s29
	v_add_co_u32 v1, s23, s23, v5
	s_lshl_b64 s[20:21], s[20:21], 2
	s_lshl_b64 s[24:25], s[24:25], 2
	v_add_co_ci_u32_e64 v2, null, s3, 0, s23
	s_add_u32 s3, s14, s20
	s_addc_u32 s14, s15, s21
	s_add_u32 s3, s3, s24
	s_addc_u32 s14, s14, s25
	v_add_co_u32 v3, s3, s3, v3
	v_add_co_ci_u32_e64 v4, null, s14, 0, s3
	s_lshl_b64 s[14:15], s[16:17], 1
	v_add_co_u32 v3, vcc_lo, v3, 4
	s_add_u32 s3, s12, s14
	s_addc_u32 s12, s13, s15
	v_add_co_u32 v5, s3, s3, v5
	v_add_co_ci_u32_e64 v4, null, 0, v4, vcc_lo
	v_add_co_ci_u32_e64 v6, null, s12, 0, s3
	v_mov_b32_e32 v8, 0
	v_mov_b32_e32 v10, v0
	;; [unrolled: 1-line block ×3, first 2 shown]
	s_inst_prefetch 0x1
	s_branch .LBB108_13
	.p2align	6
.LBB108_11:                             ;   in Loop: Header=BB108_13 Depth=1
	global_load_dword v12, v[1:2], off
.LBB108_12:                             ;   in Loop: Header=BB108_13 Depth=1
	global_load_dwordx2 v[13:14], v[3:4], off offset:-4
	v_add_nc_u32_e32 v10, 0x60, v10
	v_add_co_u32 v1, vcc_lo, 0x180, v1
	v_add_co_ci_u32_e64 v2, null, 0, v2, vcc_lo
	v_add_co_u32 v3, vcc_lo, 0x300, v3
	v_add_co_ci_u32_e64 v4, null, 0, v4, vcc_lo
	v_cmp_le_i32_e32 vcc_lo, s36, v10
	v_add_co_u32 v5, s3, 0x180, v5
	v_add_co_ci_u32_e64 v6, null, 0, v6, s3
	s_or_b32 s10, vcc_lo, s10
	s_waitcnt vmcnt(0)
	v_cvt_f16_f32_e32 v13, v13
	v_cvt_f16_f32_e32 v14, v14
	v_pack_b32_f16 v13, v13, v14
	v_pk_fma_f16 v12, v12, v13, v9
	v_pk_fma_f16 v8, v11, v13, v8
	v_cndmask_b32_e64 v9, v9, v12, s1
	s_andn2_b32 exec_lo, exec_lo, s10
	s_cbranch_execz .LBB108_15
.LBB108_13:                             ; =>This Inner Loop Header: Depth=1
	global_load_dword v11, v[5:6], off
	s_andn2_b32 vcc_lo, exec_lo, s1
	s_cbranch_vccz .LBB108_11
; %bb.14:                               ;   in Loop: Header=BB108_13 Depth=1
	v_mov_b32_e32 v12, 0
	s_branch .LBB108_12
.LBB108_15:
	s_inst_prefetch 0x2
	s_or_b32 exec_lo, exec_lo, s10
	v_cvt_f32_f16_sdwa v4, v9 dst_sel:DWORD dst_unused:UNUSED_PAD src0_sel:WORD_1
	v_cvt_f32_f16_e32 v5, v9
.LBB108_16:
	s_or_b32 exec_lo, exec_lo, s8
	v_mbcnt_lo_u32_b32 v1, -1, 0
	v_cvt_f32_f16_e32 v3, v8
	v_cvt_f32_f16_sdwa v6, v8 dst_sel:DWORD dst_unused:UNUSED_PAD src0_sel:WORD_1
	s_load_dword s10, s[4:5], 0x30
	s_mov_b32 s3, -1
	v_xor_b32_e32 v2, 16, v1
	v_add_f32_e32 v8, v3, v6
	v_xor_b32_e32 v6, 8, v1
	v_cmp_gt_i32_e32 vcc_lo, 32, v2
	v_cndmask_b32_e32 v2, v1, v2, vcc_lo
	v_cmp_gt_i32_e32 vcc_lo, 32, v6
	v_lshlrev_b32_e32 v3, 2, v2
	v_cndmask_b32_e32 v6, v1, v6, vcc_lo
	ds_bpermute_b32 v2, v3, v8
	v_lshlrev_b32_e32 v6, 2, v6
	s_waitcnt lgkmcnt(0)
	v_add_f32_e32 v2, v8, v2
	v_xor_b32_e32 v8, 4, v1
	ds_bpermute_b32 v9, v6, v2
	v_cmp_gt_i32_e32 vcc_lo, 32, v8
	v_cndmask_b32_e32 v8, v1, v8, vcc_lo
	v_lshlrev_b32_e32 v8, 2, v8
	s_waitcnt lgkmcnt(0)
	v_add_f32_e32 v2, v2, v9
	v_xor_b32_e32 v9, 2, v1
	ds_bpermute_b32 v10, v8, v2
	v_cmp_gt_i32_e32 vcc_lo, 32, v9
	v_cndmask_b32_e32 v9, v1, v9, vcc_lo
	;; [unrolled: 7-line block ×3, first 2 shown]
	s_and_b32 vcc_lo, exec_lo, s9
	v_lshlrev_b32_e32 v10, 2, v1
	s_waitcnt lgkmcnt(0)
	v_add_f32_e32 v1, v2, v11
	v_lshrrev_b32_e32 v11, 5, v0
	ds_bpermute_b32 v2, v10, v1
	v_lshl_add_u32 v11, v11, 2, 0
	s_waitcnt lgkmcnt(0)
	v_add_f32_e32 v1, v1, v2
	s_cbranch_vccz .LBB108_18
; %bb.17:
	s_mov_b32 s3, 0
	ds_write_b32 v11, v1
.LBB108_18:
	v_mov_b32_e32 v2, 0
	s_andn2_b32 vcc_lo, exec_lo, s3
	s_cbranch_vccnz .LBB108_20
; %bb.19:
	v_add_f32_e32 v2, v5, v4
	ds_bpermute_b32 v4, v3, v2
	s_waitcnt lgkmcnt(0)
	v_add_f32_e32 v2, v2, v4
	ds_bpermute_b32 v4, v6, v2
	s_waitcnt lgkmcnt(0)
	;; [unrolled: 3-line block ×5, first 2 shown]
	v_add_f32_e32 v2, v2, v4
	ds_write2_b32 v11, v1, v2 offset1:32
.LBB108_20:
	s_waitcnt lgkmcnt(0)
	s_barrier
	buffer_gl0_inv
	s_and_saveexec_b32 s3, s2
	s_cbranch_execz .LBB108_24
; %bb.21:
	ds_read_b32 v1, v7
	s_andn2_b32 vcc_lo, exec_lo, s1
	s_waitcnt lgkmcnt(0)
	ds_bpermute_b32 v4, v3, v1
	s_waitcnt lgkmcnt(0)
	v_add_f32_e32 v1, v1, v4
	ds_bpermute_b32 v4, v6, v1
	s_waitcnt lgkmcnt(0)
	v_add_f32_e32 v1, v1, v4
	;; [unrolled: 3-line block ×4, first 2 shown]
	ds_bpermute_b32 v4, v10, v1
	s_cbranch_vccnz .LBB108_23
; %bb.22:
	ds_read_b32 v2, v7 offset:128
	s_waitcnt lgkmcnt(0)
	ds_bpermute_b32 v3, v3, v2
	s_waitcnt lgkmcnt(0)
	v_add_f32_e32 v2, v2, v3
	ds_bpermute_b32 v3, v6, v2
	s_waitcnt lgkmcnt(0)
	v_add_f32_e32 v2, v2, v3
	;; [unrolled: 3-line block ×5, first 2 shown]
.LBB108_23:
	s_waitcnt lgkmcnt(0)
	v_add_f32_e32 v1, v1, v4
.LBB108_24:
	s_or_b32 exec_lo, exec_lo, s3
	s_barrier
	buffer_gl0_inv
	s_mov_b32 s2, exec_lo
	v_cmpx_eq_u32_e32 0, v0
	s_cbranch_execz .LBB108_48
; %bb.25:
	s_cmp_eq_u64 s[18:19], 0
	s_mul_i32 s8, s7, s22
	s_cselect_b32 s2, -1, 0
	s_ashr_i32 s9, s8, 31
	s_mul_hi_i32 s3, s30, s11
	s_and_b32 vcc_lo, exec_lo, s2
	s_mul_i32 s2, s30, s11
	s_cbranch_vccnz .LBB108_27
; %bb.26:
	s_cselect_b32 s7, 0, s19
	s_cselect_b32 s11, 0, s18
	s_lshl_b64 s[12:13], s[2:3], 2
	s_add_u32 s11, s11, s12
	s_addc_u32 s7, s7, s13
	s_lshl_b64 s[12:13], s[8:9], 2
	s_add_u32 s11, s11, s12
	s_addc_u32 s14, s7, s13
	s_ashr_i32 s7, s6, 31
	s_lshl_b64 s[12:13], s[6:7], 2
	s_add_u32 s12, s11, s12
	s_addc_u32 s13, s14, s13
	s_load_dword s7, s[12:13], 0x0
	s_waitcnt lgkmcnt(0)
	v_add_f32_e32 v1, s7, v1
.LBB108_27:
	s_andn2_b32 vcc_lo, exec_lo, s1
	s_cbranch_vccnz .LBB108_47
; %bb.28:
	s_cmp_lg_u64 s[26:27], 0
	s_cselect_b32 s7, -1, 0
	s_and_b32 s1, s7, s1
	s_andn2_b32 vcc_lo, exec_lo, s1
	s_cbranch_vccnz .LBB108_30
; %bb.29:
	s_and_b32 s1, s7, exec_lo
	s_cselect_b32 s1, s27, 0
	s_cselect_b32 s7, s26, 0
	s_lshl_b64 s[12:13], s[2:3], 2
	s_add_u32 s7, s7, s12
	s_addc_u32 s1, s1, s13
	s_lshl_b64 s[8:9], s[8:9], 2
	s_add_u32 s11, s7, s8
	s_addc_u32 s1, s1, s9
	s_ashr_i32 s7, s6, 31
	s_lshl_b64 s[8:9], s[6:7], 2
	s_add_u32 s8, s11, s8
	s_addc_u32 s9, s1, s9
	s_load_dword s1, s[8:9], 0x0
	s_waitcnt lgkmcnt(0)
	v_add_f32_e32 v2, s1, v2
.LBB108_30:
	s_cmp_lt_i32 s10, 2
	s_cbranch_scc1 .LBB108_35
; %bb.31:
	s_cmp_lt_i32 s10, 3
	s_cbranch_scc1 .LBB108_36
; %bb.32:
	v_mov_b32_e32 v0, v1
	s_cmp_eq_u32 s10, 3
	s_cbranch_scc0 .LBB108_34
; %bb.33:
	v_max_f32_e32 v0, v2, v2
	v_min_f32_e32 v0, 0x40e00000, v0
	v_mul_f32_e32 v3, 0xbfd9db23, v0
	v_mul_f32_e32 v4, 0x3fb8aa3b, v3
	v_cmp_ngt_f32_e32 vcc_lo, 0xc2ce8ed0, v3
	v_fma_f32 v5, 0x3fb8aa3b, v3, -v4
	v_rndne_f32_e32 v6, v4
	v_fmamk_f32 v5, v3, 0x32a5705f, v5
	v_sub_f32_e32 v4, v4, v6
	v_add_f32_e32 v4, v4, v5
	v_cvt_i32_f32_e32 v5, v6
	v_exp_f32_e32 v4, v4
	v_ldexp_f32 v4, v4, v5
	v_cndmask_b32_e32 v4, 0, v4, vcc_lo
	v_cmp_nlt_f32_e32 vcc_lo, 0x42b17218, v3
	v_cndmask_b32_e32 v3, 0x7f800000, v4, vcc_lo
	v_add_f32_e32 v3, 1.0, v3
	v_div_scale_f32 v4, null, v3, v3, v0
	v_div_scale_f32 v7, vcc_lo, v0, v3, v0
	v_rcp_f32_e32 v5, v4
	v_fma_f32 v6, -v4, v5, 1.0
	v_fmac_f32_e32 v5, v6, v5
	v_mul_f32_e32 v6, v7, v5
	v_fma_f32 v8, -v4, v6, v7
	v_fmac_f32_e32 v6, v8, v5
	v_max_f32_e32 v8, v1, v1
	v_fma_f32 v4, -v4, v6, v7
	v_min_f32_e32 v7, 0x40e00000, v8
	v_div_fmas_f32 v4, v4, v5, v6
	v_max_f32_e32 v5, 0xc0e00000, v7
	v_div_fixup_f32 v0, v4, v3, v0
	v_add_f32_e32 v3, 1.0, v5
	v_mul_f32_e32 v0, v3, v0
.LBB108_34:
	s_cbranch_execz .LBB108_37
	s_branch .LBB108_38
.LBB108_35:
                                        ; implicit-def: $vgpr0
	s_branch .LBB108_39
.LBB108_36:
                                        ; implicit-def: $vgpr0
.LBB108_37:
	v_mul_f32_e32 v0, 0xbfb8aa3b, v2
	v_cmp_nlt_f32_e32 vcc_lo, 0x42ce8ed0, v2
	v_rndne_f32_e32 v3, v0
	v_fma_f32 v4, 0xbfb8aa3b, v2, -v0
	v_sub_f32_e32 v0, v0, v3
	v_fmamk_f32 v4, v2, 0xb2a5705f, v4
	v_cvt_i32_f32_e32 v3, v3
	v_add_f32_e32 v0, v0, v4
	v_exp_f32_e32 v0, v0
	v_ldexp_f32 v0, v0, v3
	v_cndmask_b32_e32 v0, 0, v0, vcc_lo
	v_cmp_ngt_f32_e32 vcc_lo, 0xc2b17218, v2
	v_cndmask_b32_e32 v0, 0x7f800000, v0, vcc_lo
	v_add_f32_e32 v0, 1.0, v0
	v_div_scale_f32 v3, null, v0, v0, v2
	v_rcp_f32_e32 v4, v3
	v_fma_f32 v5, -v3, v4, 1.0
	v_fmac_f32_e32 v4, v5, v4
	v_div_scale_f32 v5, vcc_lo, v2, v0, v2
	v_mul_f32_e32 v6, v5, v4
	v_fma_f32 v7, -v3, v6, v5
	v_fmac_f32_e32 v6, v7, v4
	v_fma_f32 v3, -v3, v6, v5
	v_div_fmas_f32 v3, v3, v4, v6
	v_div_fixup_f32 v0, v3, v0, v2
	v_mul_f32_e32 v0, v1, v0
.LBB108_38:
	s_cbranch_execnz .LBB108_46
.LBB108_39:
	s_cmp_eq_u32 s10, 1
	s_cbranch_scc0 .LBB108_45
; %bb.40:
	v_mul_f32_e32 v0, 0x3d372713, v2
	v_mul_f32_e32 v3, 0x3f4c422a, v2
	v_fma_f32 v0, v2, v0, 1.0
	v_mul_f32_e32 v0, v3, v0
                                        ; implicit-def: $vgpr3
	v_cmp_ngt_f32_e64 s1, 0x3f200000, |v0|
	s_and_saveexec_b32 s7, s1
	s_xor_b32 s1, exec_lo, s7
	s_cbranch_execz .LBB108_42
; %bb.41:
	v_add_f32_e64 v3, |v0|, |v0|
	v_mul_f32_e32 v4, 0x3fb8aa3b, v3
	v_cmp_ngt_f32_e32 vcc_lo, 0xc2ce8ed0, v3
	v_rndne_f32_e32 v5, v4
	v_fma_f32 v6, 0x3fb8aa3b, v3, -v4
	v_sub_f32_e32 v4, v4, v5
	v_fmamk_f32 v6, v3, 0x32a5705f, v6
	v_cvt_i32_f32_e32 v5, v5
	v_add_f32_e32 v4, v4, v6
	v_exp_f32_e32 v4, v4
	v_ldexp_f32 v4, v4, v5
	v_cndmask_b32_e32 v4, 0, v4, vcc_lo
	v_cmp_nlt_f32_e32 vcc_lo, 0x42b17218, v3
	v_cndmask_b32_e32 v3, 0x7f800000, v4, vcc_lo
	v_add_f32_e32 v3, 1.0, v3
	v_rcp_f32_e32 v3, v3
	v_fma_f32 v3, v3, -2.0, 1.0
.LBB108_42:
	s_andn2_saveexec_b32 s1, s1
	s_cbranch_execz .LBB108_44
; %bb.43:
	v_mul_f32_e32 v3, v0, v0
	s_mov_b32 s7, 0xbbbac73d
	v_fmaak_f32 v4, s7, v3, 0x3ca908c9
	v_fmaak_f32 v4, v3, v4, 0xbd5c1c4e
	;; [unrolled: 1-line block ×4, first 2 shown]
	v_mul_f32_e64 v4, |v0|, v4
	v_fma_f32 v3, v3, v4, |v0|
.LBB108_44:
	s_or_b32 exec_lo, exec_lo, s1
	v_bfi_b32 v0, 0x7fffffff, v3, v0
	v_mul_f32_e32 v2, 0.5, v2
	v_add_f32_e32 v0, 1.0, v0
	v_mul_f32_e32 v0, v2, v0
	v_mul_f32_e32 v1, v1, v0
.LBB108_45:
	v_mov_b32_e32 v0, v1
.LBB108_46:
	v_mov_b32_e32 v1, v0
.LBB108_47:
	s_load_dwordx2 s[4:5], s[4:5], 0x38
	s_mul_i32 s0, s22, s0
	s_lshl_b64 s[2:3], s[2:3], 2
	s_ashr_i32 s1, s0, 31
	v_mov_b32_e32 v0, 0
	s_waitcnt lgkmcnt(0)
	s_add_u32 s2, s4, s2
	s_addc_u32 s3, s5, s3
	s_lshl_b64 s[0:1], s[0:1], 2
	s_add_u32 s2, s2, s0
	s_addc_u32 s3, s3, s1
	s_ashr_i32 s7, s6, 31
	s_lshl_b64 s[0:1], s[6:7], 2
	s_add_u32 s0, s2, s0
	s_addc_u32 s1, s3, s1
	global_store_dword v0, v1, s[0:1]
.LBB108_48:
	s_endpgm
	.section	.rodata,"a",@progbits
	.p2align	6, 0x0
	.amdhsa_kernel _ZL13mul_mat_vec_fI6__halfS0_Li1ELi96ELb1ELb0EEvPKT_PKfPKi31ggml_cuda_mm_fusion_args_devicePfi15HIP_vector_typeIjLj3EEiiiSB_iiiSB_iiii
		.amdhsa_group_segment_fixed_size 0
		.amdhsa_private_segment_fixed_size 0
		.amdhsa_kernarg_size 144
		.amdhsa_user_sgpr_count 6
		.amdhsa_user_sgpr_private_segment_buffer 1
		.amdhsa_user_sgpr_dispatch_ptr 0
		.amdhsa_user_sgpr_queue_ptr 0
		.amdhsa_user_sgpr_kernarg_segment_ptr 1
		.amdhsa_user_sgpr_dispatch_id 0
		.amdhsa_user_sgpr_flat_scratch_init 0
		.amdhsa_user_sgpr_private_segment_size 0
		.amdhsa_wavefront_size32 1
		.amdhsa_uses_dynamic_stack 0
		.amdhsa_system_sgpr_private_segment_wavefront_offset 0
		.amdhsa_system_sgpr_workgroup_id_x 1
		.amdhsa_system_sgpr_workgroup_id_y 1
		.amdhsa_system_sgpr_workgroup_id_z 1
		.amdhsa_system_sgpr_workgroup_info 0
		.amdhsa_system_vgpr_workitem_id 0
		.amdhsa_next_free_vgpr 15
		.amdhsa_next_free_sgpr 40
		.amdhsa_reserve_vcc 1
		.amdhsa_reserve_flat_scratch 0
		.amdhsa_float_round_mode_32 0
		.amdhsa_float_round_mode_16_64 0
		.amdhsa_float_denorm_mode_32 3
		.amdhsa_float_denorm_mode_16_64 3
		.amdhsa_dx10_clamp 1
		.amdhsa_ieee_mode 1
		.amdhsa_fp16_overflow 0
		.amdhsa_workgroup_processor_mode 1
		.amdhsa_memory_ordered 1
		.amdhsa_forward_progress 1
		.amdhsa_shared_vgpr_count 0
		.amdhsa_exception_fp_ieee_invalid_op 0
		.amdhsa_exception_fp_denorm_src 0
		.amdhsa_exception_fp_ieee_div_zero 0
		.amdhsa_exception_fp_ieee_overflow 0
		.amdhsa_exception_fp_ieee_underflow 0
		.amdhsa_exception_fp_ieee_inexact 0
		.amdhsa_exception_int_div_zero 0
	.end_amdhsa_kernel
	.section	.text._ZL13mul_mat_vec_fI6__halfS0_Li1ELi96ELb1ELb0EEvPKT_PKfPKi31ggml_cuda_mm_fusion_args_devicePfi15HIP_vector_typeIjLj3EEiiiSB_iiiSB_iiii,"axG",@progbits,_ZL13mul_mat_vec_fI6__halfS0_Li1ELi96ELb1ELb0EEvPKT_PKfPKi31ggml_cuda_mm_fusion_args_devicePfi15HIP_vector_typeIjLj3EEiiiSB_iiiSB_iiii,comdat
.Lfunc_end108:
	.size	_ZL13mul_mat_vec_fI6__halfS0_Li1ELi96ELb1ELb0EEvPKT_PKfPKi31ggml_cuda_mm_fusion_args_devicePfi15HIP_vector_typeIjLj3EEiiiSB_iiiSB_iiii, .Lfunc_end108-_ZL13mul_mat_vec_fI6__halfS0_Li1ELi96ELb1ELb0EEvPKT_PKfPKi31ggml_cuda_mm_fusion_args_devicePfi15HIP_vector_typeIjLj3EEiiiSB_iiiSB_iiii
                                        ; -- End function
	.set _ZL13mul_mat_vec_fI6__halfS0_Li1ELi96ELb1ELb0EEvPKT_PKfPKi31ggml_cuda_mm_fusion_args_devicePfi15HIP_vector_typeIjLj3EEiiiSB_iiiSB_iiii.num_vgpr, 15
	.set _ZL13mul_mat_vec_fI6__halfS0_Li1ELi96ELb1ELb0EEvPKT_PKfPKi31ggml_cuda_mm_fusion_args_devicePfi15HIP_vector_typeIjLj3EEiiiSB_iiiSB_iiii.num_agpr, 0
	.set _ZL13mul_mat_vec_fI6__halfS0_Li1ELi96ELb1ELb0EEvPKT_PKfPKi31ggml_cuda_mm_fusion_args_devicePfi15HIP_vector_typeIjLj3EEiiiSB_iiiSB_iiii.numbered_sgpr, 40
	.set _ZL13mul_mat_vec_fI6__halfS0_Li1ELi96ELb1ELb0EEvPKT_PKfPKi31ggml_cuda_mm_fusion_args_devicePfi15HIP_vector_typeIjLj3EEiiiSB_iiiSB_iiii.num_named_barrier, 0
	.set _ZL13mul_mat_vec_fI6__halfS0_Li1ELi96ELb1ELb0EEvPKT_PKfPKi31ggml_cuda_mm_fusion_args_devicePfi15HIP_vector_typeIjLj3EEiiiSB_iiiSB_iiii.private_seg_size, 0
	.set _ZL13mul_mat_vec_fI6__halfS0_Li1ELi96ELb1ELb0EEvPKT_PKfPKi31ggml_cuda_mm_fusion_args_devicePfi15HIP_vector_typeIjLj3EEiiiSB_iiiSB_iiii.uses_vcc, 1
	.set _ZL13mul_mat_vec_fI6__halfS0_Li1ELi96ELb1ELb0EEvPKT_PKfPKi31ggml_cuda_mm_fusion_args_devicePfi15HIP_vector_typeIjLj3EEiiiSB_iiiSB_iiii.uses_flat_scratch, 0
	.set _ZL13mul_mat_vec_fI6__halfS0_Li1ELi96ELb1ELb0EEvPKT_PKfPKi31ggml_cuda_mm_fusion_args_devicePfi15HIP_vector_typeIjLj3EEiiiSB_iiiSB_iiii.has_dyn_sized_stack, 0
	.set _ZL13mul_mat_vec_fI6__halfS0_Li1ELi96ELb1ELb0EEvPKT_PKfPKi31ggml_cuda_mm_fusion_args_devicePfi15HIP_vector_typeIjLj3EEiiiSB_iiiSB_iiii.has_recursion, 0
	.set _ZL13mul_mat_vec_fI6__halfS0_Li1ELi96ELb1ELb0EEvPKT_PKfPKi31ggml_cuda_mm_fusion_args_devicePfi15HIP_vector_typeIjLj3EEiiiSB_iiiSB_iiii.has_indirect_call, 0
	.section	.AMDGPU.csdata,"",@progbits
; Kernel info:
; codeLenInByte = 2304
; TotalNumSgprs: 42
; NumVgprs: 15
; ScratchSize: 0
; MemoryBound: 0
; FloatMode: 240
; IeeeMode: 1
; LDSByteSize: 0 bytes/workgroup (compile time only)
; SGPRBlocks: 0
; VGPRBlocks: 1
; NumSGPRsForWavesPerEU: 42
; NumVGPRsForWavesPerEU: 15
; Occupancy: 16
; WaveLimiterHint : 1
; COMPUTE_PGM_RSRC2:SCRATCH_EN: 0
; COMPUTE_PGM_RSRC2:USER_SGPR: 6
; COMPUTE_PGM_RSRC2:TRAP_HANDLER: 0
; COMPUTE_PGM_RSRC2:TGID_X_EN: 1
; COMPUTE_PGM_RSRC2:TGID_Y_EN: 1
; COMPUTE_PGM_RSRC2:TGID_Z_EN: 1
; COMPUTE_PGM_RSRC2:TIDIG_COMP_CNT: 0
	.section	.text._ZL13mul_mat_vec_fI6__halfS0_Li1ELi96ELb0ELb0EEvPKT_PKfPKi31ggml_cuda_mm_fusion_args_devicePfi15HIP_vector_typeIjLj3EEiiiSB_iiiSB_iiii,"axG",@progbits,_ZL13mul_mat_vec_fI6__halfS0_Li1ELi96ELb0ELb0EEvPKT_PKfPKi31ggml_cuda_mm_fusion_args_devicePfi15HIP_vector_typeIjLj3EEiiiSB_iiiSB_iiii,comdat
	.globl	_ZL13mul_mat_vec_fI6__halfS0_Li1ELi96ELb0ELb0EEvPKT_PKfPKi31ggml_cuda_mm_fusion_args_devicePfi15HIP_vector_typeIjLj3EEiiiSB_iiiSB_iiii ; -- Begin function _ZL13mul_mat_vec_fI6__halfS0_Li1ELi96ELb0ELb0EEvPKT_PKfPKi31ggml_cuda_mm_fusion_args_devicePfi15HIP_vector_typeIjLj3EEiiiSB_iiiSB_iiii
	.p2align	8
	.type	_ZL13mul_mat_vec_fI6__halfS0_Li1ELi96ELb0ELb0EEvPKT_PKfPKi31ggml_cuda_mm_fusion_args_devicePfi15HIP_vector_typeIjLj3EEiiiSB_iiiSB_iiii,@function
_ZL13mul_mat_vec_fI6__halfS0_Li1ELi96ELb0ELb0EEvPKT_PKfPKi31ggml_cuda_mm_fusion_args_devicePfi15HIP_vector_typeIjLj3EEiiiSB_iiiSB_iiii: ; @_ZL13mul_mat_vec_fI6__halfS0_Li1ELi96ELb0ELb0EEvPKT_PKfPKi31ggml_cuda_mm_fusion_args_devicePfi15HIP_vector_typeIjLj3EEiiiSB_iiiSB_iiii
; %bb.0:
	s_clause 0x2
	s_load_dwordx2 s[2:3], s[4:5], 0x10
	s_load_dwordx4 s[20:23], s[4:5], 0x40
	s_load_dwordx4 s[12:15], s[4:5], 0x80
	s_waitcnt lgkmcnt(0)
	s_cmp_eq_u64 s[2:3], 0
	s_cselect_b32 s9, -1, 0
	s_cmp_lg_u64 s[2:3], 0
	s_cselect_b32 s10, -1, 0
	s_and_b32 vcc_lo, exec_lo, s9
	s_cbranch_vccnz .LBB109_2
; %bb.1:
	s_mul_i32 s0, s15, s8
	s_mov_b32 s1, 0
	s_add_i32 s0, s0, s7
	s_lshl_b64 s[16:17], s[0:1], 2
	s_add_u32 s2, s2, s16
	s_addc_u32 s3, s3, s17
	s_load_dword s15, s[2:3], 0x0
	s_load_dword s24, s[4:5], 0x50
	s_cbranch_execz .LBB109_3
	s_branch .LBB109_4
.LBB109_2:
                                        ; implicit-def: $sgpr15
	s_load_dword s24, s[4:5], 0x50
.LBB109_3:
	s_load_dwordx2 s[0:1], s[4:5], 0x5c
	s_waitcnt lgkmcnt(0)
	s_mul_hi_u32 s0, s0, s7
	s_add_i32 s0, s7, s0
	s_lshr_b32 s15, s0, s1
.LBB109_4:
	s_load_dwordx4 s[16:19], s[4:5], 0x68
	s_andn2_b32 vcc_lo, exec_lo, s10
	s_mov_b32 s25, s7
	s_cbranch_vccnz .LBB109_6
; %bb.5:
	s_mul_hi_u32 s0, s21, s7
	s_add_i32 s0, s7, s0
	s_lshr_b32 s0, s0, s22
	s_mul_i32 s0, s0, s23
	s_sub_i32 s25, s7, s0
.LBB109_6:
	s_load_dword s1, s[4:5], 0x78
	v_cmp_gt_u32_e32 vcc_lo, 32, v0
	v_lshl_add_u32 v5, v0, 2, 0
	s_and_saveexec_b32 s0, vcc_lo
; %bb.7:
	v_mov_b32_e32 v1, 0
	ds_write_b32 v5, v1
; %bb.8:
	s_or_b32 exec_lo, exec_lo, s0
	v_mov_b32_e32 v1, 0
	v_mov_b32_e32 v2, 0
	s_and_b32 s0, exec_lo, s9
	s_cselect_b32 s2, s8, 0
	s_mov_b32 s3, exec_lo
	s_waitcnt lgkmcnt(0)
	s_barrier
	buffer_gl0_inv
	v_cmpx_gt_i32_e64 s20, v0
	s_cbranch_execz .LBB109_12
; %bb.9:
	s_load_dwordx4 s[8:11], s[4:5], 0x0
	s_mul_hi_u32 s0, s19, s2
	s_mul_i32 s22, s24, s6
	s_mul_i32 s24, s25, s17
	s_add_i32 s0, s2, s0
	s_ashr_i32 s25, s24, 31
	s_mul_i32 s16, s15, s16
	s_mul_hi_i32 s27, s2, s13
	s_mul_i32 s26, s2, s13
	s_lshr_b32 s15, s0, s1
	s_lshl_b64 s[0:1], s[24:25], 2
	v_lshlrev_b32_e32 v1, 3, v0
	s_ashr_i32 s17, s16, 31
	s_ashr_i32 s23, s22, 31
	s_lshl_b64 s[26:27], s[26:27], 2
	s_mul_hi_i32 s13, s15, s12
	s_mul_i32 s12, s15, s12
	v_lshlrev_b32_e32 v3, 2, v0
	v_mov_b32_e32 v6, 0
	v_mov_b32_e32 v7, v0
	s_waitcnt lgkmcnt(0)
	s_add_u32 s0, s10, s0
	s_addc_u32 s1, s11, s1
	s_add_u32 s0, s0, s26
	s_addc_u32 s1, s1, s27
	v_add_co_u32 v1, s0, s0, v1
	v_add_co_ci_u32_e64 v2, null, s1, 0, s0
	s_lshl_b64 s[10:11], s[12:13], 1
	v_add_co_u32 v1, s0, v1, 4
	v_add_co_ci_u32_e64 v2, null, 0, v2, s0
	s_lshl_b64 s[0:1], s[16:17], 1
	s_lshl_b64 s[12:13], s[22:23], 1
	s_add_u32 s0, s8, s0
	s_addc_u32 s1, s9, s1
	s_add_u32 s0, s0, s12
	s_addc_u32 s1, s1, s13
	;; [unrolled: 2-line block ×3, first 2 shown]
	v_add_co_u32 v3, s0, s0, v3
	v_add_co_ci_u32_e64 v4, null, s1, 0, s0
	s_mov_b32 s8, 0
	.p2align	6
.LBB109_10:                             ; =>This Inner Loop Header: Depth=1
	global_load_dwordx2 v[8:9], v[1:2], off offset:-4
	global_load_dword v10, v[3:4], off
	v_add_nc_u32_e32 v7, 0x60, v7
	v_add_co_u32 v1, s0, 0x300, v1
	v_add_co_ci_u32_e64 v2, null, 0, v2, s0
	v_add_co_u32 v3, s0, 0x180, v3
	v_cmp_le_i32_e64 s1, s20, v7
	v_add_co_ci_u32_e64 v4, null, 0, v4, s0
	s_or_b32 s8, s1, s8
	s_waitcnt vmcnt(1)
	v_cvt_f16_f32_e32 v8, v8
	v_cvt_f16_f32_e32 v9, v9
	v_pack_b32_f16 v8, v8, v9
	s_waitcnt vmcnt(0)
	v_pk_fma_f16 v6, v10, v8, v6
	s_andn2_b32 exec_lo, exec_lo, s8
	s_cbranch_execnz .LBB109_10
; %bb.11:
	s_or_b32 exec_lo, exec_lo, s8
	v_cvt_f32_f16_sdwa v1, v6 dst_sel:DWORD dst_unused:UNUSED_PAD src0_sel:WORD_1
	v_cvt_f32_f16_e32 v2, v6
.LBB109_12:
	s_or_b32 exec_lo, exec_lo, s3
	v_mbcnt_lo_u32_b32 v7, -1, 0
	v_add_f32_e32 v2, v2, v1
	v_xor_b32_e32 v3, 16, v7
	v_xor_b32_e32 v9, 1, v7
	v_cmp_gt_i32_e64 s0, 32, v3
	v_cndmask_b32_e64 v3, v7, v3, s0
	v_lshlrev_b32_e32 v1, 2, v3
	v_xor_b32_e32 v3, 8, v7
	ds_bpermute_b32 v4, v1, v2
	v_cmp_gt_i32_e64 s0, 32, v3
	v_cndmask_b32_e64 v3, v7, v3, s0
	v_lshlrev_b32_e32 v3, 2, v3
	s_waitcnt lgkmcnt(0)
	v_add_f32_e32 v2, v2, v4
	v_xor_b32_e32 v4, 4, v7
	ds_bpermute_b32 v6, v3, v2
	v_cmp_gt_i32_e64 s0, 32, v4
	v_cndmask_b32_e64 v4, v7, v4, s0
	v_lshlrev_b32_e32 v4, 2, v4
	s_waitcnt lgkmcnt(0)
	v_add_f32_e32 v2, v2, v6
	v_xor_b32_e32 v6, 2, v7
	ds_bpermute_b32 v8, v4, v2
	v_cmp_gt_i32_e64 s0, 32, v6
	v_cndmask_b32_e64 v6, v7, v6, s0
	v_cmp_gt_i32_e64 s0, 32, v9
	v_lshlrev_b32_e32 v6, 2, v6
	v_cndmask_b32_e64 v7, v7, v9, s0
	v_lshrrev_b32_e32 v9, 3, v0
	v_lshlrev_b32_e32 v7, 2, v7
	v_and_b32_e32 v9, 0x7c, v9
	s_waitcnt lgkmcnt(0)
	v_add_f32_e32 v2, v2, v8
	v_add_nc_u32_e32 v9, 0, v9
	ds_bpermute_b32 v8, v6, v2
	s_waitcnt lgkmcnt(0)
	v_add_f32_e32 v2, v2, v8
	ds_bpermute_b32 v8, v7, v2
	s_waitcnt lgkmcnt(0)
	v_add_f32_e32 v2, v2, v8
	ds_write_b32 v9, v2
	s_waitcnt lgkmcnt(0)
	s_barrier
	buffer_gl0_inv
	s_and_saveexec_b32 s0, vcc_lo
	s_cbranch_execz .LBB109_14
; %bb.13:
	ds_read_b32 v2, v5
	s_waitcnt lgkmcnt(0)
	ds_bpermute_b32 v1, v1, v2
	s_waitcnt lgkmcnt(0)
	v_add_f32_e32 v1, v2, v1
	ds_bpermute_b32 v2, v3, v1
	s_waitcnt lgkmcnt(0)
	v_add_f32_e32 v1, v1, v2
	ds_bpermute_b32 v2, v4, v1
	s_waitcnt lgkmcnt(0)
	v_add_f32_e32 v1, v1, v2
	ds_bpermute_b32 v2, v6, v1
	s_waitcnt lgkmcnt(0)
	v_add_f32_e32 v1, v1, v2
	ds_bpermute_b32 v2, v7, v1
	s_waitcnt lgkmcnt(0)
	v_add_f32_e32 v2, v1, v2
.LBB109_14:
	s_or_b32 exec_lo, exec_lo, s0
	s_barrier
	buffer_gl0_inv
	s_mov_b32 s0, exec_lo
	v_cmpx_eq_u32_e32 0, v0
	s_cbranch_execz .LBB109_16
; %bb.15:
	s_load_dwordx2 s[0:1], s[4:5], 0x38
	s_mul_hi_i32 s3, s14, s2
	s_mul_i32 s2, s14, s2
	s_mul_i32 s4, s18, s7
	s_lshl_b64 s[2:3], s[2:3], 2
	s_ashr_i32 s5, s4, 31
	v_mov_b32_e32 v0, 0
	s_waitcnt lgkmcnt(0)
	s_add_u32 s2, s0, s2
	s_addc_u32 s3, s1, s3
	s_lshl_b64 s[0:1], s[4:5], 2
	s_add_u32 s2, s2, s0
	s_addc_u32 s3, s3, s1
	s_ashr_i32 s7, s6, 31
	s_lshl_b64 s[0:1], s[6:7], 2
	s_add_u32 s0, s2, s0
	s_addc_u32 s1, s3, s1
	global_store_dword v0, v2, s[0:1]
.LBB109_16:
	s_endpgm
	.section	.rodata,"a",@progbits
	.p2align	6, 0x0
	.amdhsa_kernel _ZL13mul_mat_vec_fI6__halfS0_Li1ELi96ELb0ELb0EEvPKT_PKfPKi31ggml_cuda_mm_fusion_args_devicePfi15HIP_vector_typeIjLj3EEiiiSB_iiiSB_iiii
		.amdhsa_group_segment_fixed_size 0
		.amdhsa_private_segment_fixed_size 0
		.amdhsa_kernarg_size 144
		.amdhsa_user_sgpr_count 6
		.amdhsa_user_sgpr_private_segment_buffer 1
		.amdhsa_user_sgpr_dispatch_ptr 0
		.amdhsa_user_sgpr_queue_ptr 0
		.amdhsa_user_sgpr_kernarg_segment_ptr 1
		.amdhsa_user_sgpr_dispatch_id 0
		.amdhsa_user_sgpr_flat_scratch_init 0
		.amdhsa_user_sgpr_private_segment_size 0
		.amdhsa_wavefront_size32 1
		.amdhsa_uses_dynamic_stack 0
		.amdhsa_system_sgpr_private_segment_wavefront_offset 0
		.amdhsa_system_sgpr_workgroup_id_x 1
		.amdhsa_system_sgpr_workgroup_id_y 1
		.amdhsa_system_sgpr_workgroup_id_z 1
		.amdhsa_system_sgpr_workgroup_info 0
		.amdhsa_system_vgpr_workitem_id 0
		.amdhsa_next_free_vgpr 11
		.amdhsa_next_free_sgpr 28
		.amdhsa_reserve_vcc 1
		.amdhsa_reserve_flat_scratch 0
		.amdhsa_float_round_mode_32 0
		.amdhsa_float_round_mode_16_64 0
		.amdhsa_float_denorm_mode_32 3
		.amdhsa_float_denorm_mode_16_64 3
		.amdhsa_dx10_clamp 1
		.amdhsa_ieee_mode 1
		.amdhsa_fp16_overflow 0
		.amdhsa_workgroup_processor_mode 1
		.amdhsa_memory_ordered 1
		.amdhsa_forward_progress 1
		.amdhsa_shared_vgpr_count 0
		.amdhsa_exception_fp_ieee_invalid_op 0
		.amdhsa_exception_fp_denorm_src 0
		.amdhsa_exception_fp_ieee_div_zero 0
		.amdhsa_exception_fp_ieee_overflow 0
		.amdhsa_exception_fp_ieee_underflow 0
		.amdhsa_exception_fp_ieee_inexact 0
		.amdhsa_exception_int_div_zero 0
	.end_amdhsa_kernel
	.section	.text._ZL13mul_mat_vec_fI6__halfS0_Li1ELi96ELb0ELb0EEvPKT_PKfPKi31ggml_cuda_mm_fusion_args_devicePfi15HIP_vector_typeIjLj3EEiiiSB_iiiSB_iiii,"axG",@progbits,_ZL13mul_mat_vec_fI6__halfS0_Li1ELi96ELb0ELb0EEvPKT_PKfPKi31ggml_cuda_mm_fusion_args_devicePfi15HIP_vector_typeIjLj3EEiiiSB_iiiSB_iiii,comdat
.Lfunc_end109:
	.size	_ZL13mul_mat_vec_fI6__halfS0_Li1ELi96ELb0ELb0EEvPKT_PKfPKi31ggml_cuda_mm_fusion_args_devicePfi15HIP_vector_typeIjLj3EEiiiSB_iiiSB_iiii, .Lfunc_end109-_ZL13mul_mat_vec_fI6__halfS0_Li1ELi96ELb0ELb0EEvPKT_PKfPKi31ggml_cuda_mm_fusion_args_devicePfi15HIP_vector_typeIjLj3EEiiiSB_iiiSB_iiii
                                        ; -- End function
	.set _ZL13mul_mat_vec_fI6__halfS0_Li1ELi96ELb0ELb0EEvPKT_PKfPKi31ggml_cuda_mm_fusion_args_devicePfi15HIP_vector_typeIjLj3EEiiiSB_iiiSB_iiii.num_vgpr, 11
	.set _ZL13mul_mat_vec_fI6__halfS0_Li1ELi96ELb0ELb0EEvPKT_PKfPKi31ggml_cuda_mm_fusion_args_devicePfi15HIP_vector_typeIjLj3EEiiiSB_iiiSB_iiii.num_agpr, 0
	.set _ZL13mul_mat_vec_fI6__halfS0_Li1ELi96ELb0ELb0EEvPKT_PKfPKi31ggml_cuda_mm_fusion_args_devicePfi15HIP_vector_typeIjLj3EEiiiSB_iiiSB_iiii.numbered_sgpr, 28
	.set _ZL13mul_mat_vec_fI6__halfS0_Li1ELi96ELb0ELb0EEvPKT_PKfPKi31ggml_cuda_mm_fusion_args_devicePfi15HIP_vector_typeIjLj3EEiiiSB_iiiSB_iiii.num_named_barrier, 0
	.set _ZL13mul_mat_vec_fI6__halfS0_Li1ELi96ELb0ELb0EEvPKT_PKfPKi31ggml_cuda_mm_fusion_args_devicePfi15HIP_vector_typeIjLj3EEiiiSB_iiiSB_iiii.private_seg_size, 0
	.set _ZL13mul_mat_vec_fI6__halfS0_Li1ELi96ELb0ELb0EEvPKT_PKfPKi31ggml_cuda_mm_fusion_args_devicePfi15HIP_vector_typeIjLj3EEiiiSB_iiiSB_iiii.uses_vcc, 1
	.set _ZL13mul_mat_vec_fI6__halfS0_Li1ELi96ELb0ELb0EEvPKT_PKfPKi31ggml_cuda_mm_fusion_args_devicePfi15HIP_vector_typeIjLj3EEiiiSB_iiiSB_iiii.uses_flat_scratch, 0
	.set _ZL13mul_mat_vec_fI6__halfS0_Li1ELi96ELb0ELb0EEvPKT_PKfPKi31ggml_cuda_mm_fusion_args_devicePfi15HIP_vector_typeIjLj3EEiiiSB_iiiSB_iiii.has_dyn_sized_stack, 0
	.set _ZL13mul_mat_vec_fI6__halfS0_Li1ELi96ELb0ELb0EEvPKT_PKfPKi31ggml_cuda_mm_fusion_args_devicePfi15HIP_vector_typeIjLj3EEiiiSB_iiiSB_iiii.has_recursion, 0
	.set _ZL13mul_mat_vec_fI6__halfS0_Li1ELi96ELb0ELb0EEvPKT_PKfPKi31ggml_cuda_mm_fusion_args_devicePfi15HIP_vector_typeIjLj3EEiiiSB_iiiSB_iiii.has_indirect_call, 0
	.section	.AMDGPU.csdata,"",@progbits
; Kernel info:
; codeLenInByte = 1112
; TotalNumSgprs: 30
; NumVgprs: 11
; ScratchSize: 0
; MemoryBound: 0
; FloatMode: 240
; IeeeMode: 1
; LDSByteSize: 0 bytes/workgroup (compile time only)
; SGPRBlocks: 0
; VGPRBlocks: 1
; NumSGPRsForWavesPerEU: 30
; NumVGPRsForWavesPerEU: 11
; Occupancy: 16
; WaveLimiterHint : 0
; COMPUTE_PGM_RSRC2:SCRATCH_EN: 0
; COMPUTE_PGM_RSRC2:USER_SGPR: 6
; COMPUTE_PGM_RSRC2:TRAP_HANDLER: 0
; COMPUTE_PGM_RSRC2:TGID_X_EN: 1
; COMPUTE_PGM_RSRC2:TGID_Y_EN: 1
; COMPUTE_PGM_RSRC2:TGID_Z_EN: 1
; COMPUTE_PGM_RSRC2:TIDIG_COMP_CNT: 0
	.section	.text._ZL13mul_mat_vec_fI6__halfS0_Li1ELi128ELb1ELb0EEvPKT_PKfPKi31ggml_cuda_mm_fusion_args_devicePfi15HIP_vector_typeIjLj3EEiiiSB_iiiSB_iiii,"axG",@progbits,_ZL13mul_mat_vec_fI6__halfS0_Li1ELi128ELb1ELb0EEvPKT_PKfPKi31ggml_cuda_mm_fusion_args_devicePfi15HIP_vector_typeIjLj3EEiiiSB_iiiSB_iiii,comdat
	.globl	_ZL13mul_mat_vec_fI6__halfS0_Li1ELi128ELb1ELb0EEvPKT_PKfPKi31ggml_cuda_mm_fusion_args_devicePfi15HIP_vector_typeIjLj3EEiiiSB_iiiSB_iiii ; -- Begin function _ZL13mul_mat_vec_fI6__halfS0_Li1ELi128ELb1ELb0EEvPKT_PKfPKi31ggml_cuda_mm_fusion_args_devicePfi15HIP_vector_typeIjLj3EEiiiSB_iiiSB_iiii
	.p2align	8
	.type	_ZL13mul_mat_vec_fI6__halfS0_Li1ELi128ELb1ELb0EEvPKT_PKfPKi31ggml_cuda_mm_fusion_args_devicePfi15HIP_vector_typeIjLj3EEiiiSB_iiiSB_iiii,@function
_ZL13mul_mat_vec_fI6__halfS0_Li1ELi128ELb1ELb0EEvPKT_PKfPKi31ggml_cuda_mm_fusion_args_devicePfi15HIP_vector_typeIjLj3EEiiiSB_iiiSB_iiii: ; @_ZL13mul_mat_vec_fI6__halfS0_Li1ELi128ELb1ELb0EEvPKT_PKfPKi31ggml_cuda_mm_fusion_args_devicePfi15HIP_vector_typeIjLj3EEiiiSB_iiiSB_iiii
; %bb.0:
	s_clause 0x3
	s_load_dwordx8 s[12:19], s[4:5], 0x0
	s_load_dwordx4 s[24:27], s[4:5], 0x20
	s_load_dwordx4 s[36:39], s[4:5], 0x40
	;; [unrolled: 1-line block ×3, first 2 shown]
	s_mov_b32 s0, s7
	s_waitcnt lgkmcnt(0)
	s_cmp_eq_u64 s[16:17], 0
	s_cselect_b32 s10, -1, 0
	s_cmp_lg_u64 s[16:17], 0
	s_cselect_b32 s1, -1, 0
	s_and_b32 vcc_lo, exec_lo, s10
	s_cbranch_vccnz .LBB110_2
; %bb.1:
	s_mul_i32 s2, s31, s8
	s_mov_b32 s3, 0
	s_add_i32 s2, s2, s0
	s_lshl_b64 s[20:21], s[2:3], 2
	s_add_u32 s16, s16, s20
	s_addc_u32 s17, s17, s21
	s_load_dword s7, s[16:17], 0x0
	s_load_dword s16, s[4:5], 0x50
	s_waitcnt lgkmcnt(0)
	s_mov_b32 s3, s7
	s_cbranch_execz .LBB110_3
	s_branch .LBB110_4
.LBB110_2:
                                        ; implicit-def: $sgpr7
	s_load_dword s16, s[4:5], 0x50
	s_mov_b32 s3, s7
.LBB110_3:
	s_load_dwordx2 s[2:3], s[4:5], 0x5c
	s_mov_b32 s7, s0
	s_waitcnt lgkmcnt(0)
	s_mul_hi_u32 s2, s2, s0
	s_add_i32 s2, s0, s2
	s_lshr_b32 s3, s2, s3
.LBB110_4:
	s_load_dwordx4 s[20:23], s[4:5], 0x68
	s_andn2_b32 vcc_lo, exec_lo, s1
	s_mov_b32 s17, s0
	s_cbranch_vccnz .LBB110_6
; %bb.5:
	s_mul_hi_u32 s1, s37, s0
	s_add_i32 s1, s0, s1
	s_lshr_b32 s1, s1, s38
	s_mul_i32 s1, s1, s39
	s_sub_i32 s17, s0, s1
.LBB110_6:
	s_load_dword s31, s[4:5], 0x78
	s_cmp_lg_u64 s[24:25], 0
	v_cmp_gt_u32_e64 s2, 32, v0
	v_lshl_add_u32 v7, v0, 2, 0
	s_cselect_b32 s1, -1, 0
	s_cmp_eq_u64 s[24:25], 0
	s_cselect_b32 s9, -1, 0
	s_and_saveexec_b32 s11, s2
	s_cbranch_execz .LBB110_9
; %bb.7:
	v_mov_b32_e32 v1, 0
	s_andn2_b32 vcc_lo, exec_lo, s1
	ds_write_b32 v7, v1
	s_cbranch_vccnz .LBB110_9
; %bb.8:
	ds_write_b32 v7, v1 offset:128
.LBB110_9:
	s_or_b32 exec_lo, exec_lo, s11
	v_mov_b32_e32 v8, 0
	v_mov_b32_e32 v4, 0
	;; [unrolled: 1-line block ×3, first 2 shown]
	s_and_b32 s10, exec_lo, s10
	s_cselect_b32 s11, s8, 0
	s_mov_b32 s10, 0
	s_mov_b32 s8, exec_lo
	s_waitcnt lgkmcnt(0)
	s_barrier
	buffer_gl0_inv
	v_cmpx_gt_i32_e64 s36, v0
	s_cbranch_execz .LBB110_16
; %bb.10:
	s_mul_hi_u32 s23, s23, s11
	s_mul_i32 s3, s3, s20
	s_add_i32 s23, s11, s23
	s_mul_i32 s16, s16, s6
	s_lshr_b32 s20, s23, s31
	s_ashr_i32 s31, s16, 31
	s_mul_hi_i32 s23, s20, s28
	s_mul_i32 s20, s20, s28
	s_ashr_i32 s28, s3, 31
	s_add_u32 s16, s20, s16
	s_addc_u32 s23, s23, s31
	s_mul_i32 s20, s17, s21
	s_add_u32 s16, s16, s3
	s_addc_u32 s17, s23, s28
	s_ashr_i32 s21, s20, 31
	s_and_b32 s3, s1, exec_lo
	s_cselect_b32 s35, s17, 0
	s_cselect_b32 s34, s16, 0
	v_lshlrev_b32_e32 v5, 2, v0
	s_cselect_b32 s3, s25, 0
	s_cselect_b32 s23, s24, 0
	s_lshl_b64 s[24:25], s[34:35], 1
	v_lshlrev_b32_e32 v3, 3, v0
	s_add_u32 s23, s23, s24
	s_addc_u32 s3, s3, s25
	s_mul_hi_i32 s25, s11, s29
	s_mul_i32 s24, s11, s29
	v_add_co_u32 v1, s23, s23, v5
	s_lshl_b64 s[20:21], s[20:21], 2
	s_lshl_b64 s[24:25], s[24:25], 2
	v_add_co_ci_u32_e64 v2, null, s3, 0, s23
	s_add_u32 s3, s14, s20
	s_addc_u32 s14, s15, s21
	s_add_u32 s3, s3, s24
	s_addc_u32 s14, s14, s25
	v_add_co_u32 v3, s3, s3, v3
	v_add_co_ci_u32_e64 v4, null, s14, 0, s3
	s_lshl_b64 s[14:15], s[16:17], 1
	v_add_co_u32 v3, vcc_lo, v3, 4
	s_add_u32 s3, s12, s14
	s_addc_u32 s12, s13, s15
	v_add_co_u32 v5, s3, s3, v5
	v_add_co_ci_u32_e64 v4, null, 0, v4, vcc_lo
	v_add_co_ci_u32_e64 v6, null, s12, 0, s3
	v_mov_b32_e32 v8, 0
	v_mov_b32_e32 v10, v0
	;; [unrolled: 1-line block ×3, first 2 shown]
	s_inst_prefetch 0x1
	s_branch .LBB110_13
	.p2align	6
.LBB110_11:                             ;   in Loop: Header=BB110_13 Depth=1
	global_load_dword v12, v[1:2], off
.LBB110_12:                             ;   in Loop: Header=BB110_13 Depth=1
	global_load_dwordx2 v[13:14], v[3:4], off offset:-4
	v_add_nc_u32_e32 v10, 0x80, v10
	v_add_co_u32 v1, vcc_lo, 0x200, v1
	v_add_co_ci_u32_e64 v2, null, 0, v2, vcc_lo
	v_add_co_u32 v3, vcc_lo, 0x400, v3
	v_add_co_ci_u32_e64 v4, null, 0, v4, vcc_lo
	v_cmp_le_i32_e32 vcc_lo, s36, v10
	v_add_co_u32 v5, s3, 0x200, v5
	v_add_co_ci_u32_e64 v6, null, 0, v6, s3
	s_or_b32 s10, vcc_lo, s10
	s_waitcnt vmcnt(0)
	v_cvt_f16_f32_e32 v13, v13
	v_cvt_f16_f32_e32 v14, v14
	v_pack_b32_f16 v13, v13, v14
	v_pk_fma_f16 v12, v12, v13, v9
	v_pk_fma_f16 v8, v11, v13, v8
	v_cndmask_b32_e64 v9, v9, v12, s1
	s_andn2_b32 exec_lo, exec_lo, s10
	s_cbranch_execz .LBB110_15
.LBB110_13:                             ; =>This Inner Loop Header: Depth=1
	global_load_dword v11, v[5:6], off
	s_andn2_b32 vcc_lo, exec_lo, s1
	s_cbranch_vccz .LBB110_11
; %bb.14:                               ;   in Loop: Header=BB110_13 Depth=1
	v_mov_b32_e32 v12, 0
	s_branch .LBB110_12
.LBB110_15:
	s_inst_prefetch 0x2
	s_or_b32 exec_lo, exec_lo, s10
	v_cvt_f32_f16_sdwa v4, v9 dst_sel:DWORD dst_unused:UNUSED_PAD src0_sel:WORD_1
	v_cvt_f32_f16_e32 v5, v9
.LBB110_16:
	s_or_b32 exec_lo, exec_lo, s8
	v_mbcnt_lo_u32_b32 v1, -1, 0
	v_cvt_f32_f16_e32 v3, v8
	v_cvt_f32_f16_sdwa v6, v8 dst_sel:DWORD dst_unused:UNUSED_PAD src0_sel:WORD_1
	s_load_dword s10, s[4:5], 0x30
	s_mov_b32 s3, -1
	v_xor_b32_e32 v2, 16, v1
	v_add_f32_e32 v8, v3, v6
	v_xor_b32_e32 v6, 8, v1
	v_cmp_gt_i32_e32 vcc_lo, 32, v2
	v_cndmask_b32_e32 v2, v1, v2, vcc_lo
	v_cmp_gt_i32_e32 vcc_lo, 32, v6
	v_lshlrev_b32_e32 v3, 2, v2
	v_cndmask_b32_e32 v6, v1, v6, vcc_lo
	ds_bpermute_b32 v2, v3, v8
	v_lshlrev_b32_e32 v6, 2, v6
	s_waitcnt lgkmcnt(0)
	v_add_f32_e32 v2, v8, v2
	v_xor_b32_e32 v8, 4, v1
	ds_bpermute_b32 v9, v6, v2
	v_cmp_gt_i32_e32 vcc_lo, 32, v8
	v_cndmask_b32_e32 v8, v1, v8, vcc_lo
	v_lshlrev_b32_e32 v8, 2, v8
	s_waitcnt lgkmcnt(0)
	v_add_f32_e32 v2, v2, v9
	v_xor_b32_e32 v9, 2, v1
	ds_bpermute_b32 v10, v8, v2
	v_cmp_gt_i32_e32 vcc_lo, 32, v9
	v_cndmask_b32_e32 v9, v1, v9, vcc_lo
	v_lshlrev_b32_e32 v9, 2, v9
	s_waitcnt lgkmcnt(0)
	v_add_f32_e32 v2, v2, v10
	v_xor_b32_e32 v10, 1, v1
	ds_bpermute_b32 v11, v9, v2
	v_cmp_gt_i32_e32 vcc_lo, 32, v10
	v_cndmask_b32_e32 v1, v1, v10, vcc_lo
	s_and_b32 vcc_lo, exec_lo, s9
	v_lshlrev_b32_e32 v10, 2, v1
	s_waitcnt lgkmcnt(0)
	v_add_f32_e32 v1, v2, v11
	v_lshrrev_b32_e32 v11, 5, v0
	ds_bpermute_b32 v2, v10, v1
	v_lshl_add_u32 v11, v11, 2, 0
	s_waitcnt lgkmcnt(0)
	v_add_f32_e32 v1, v1, v2
	s_cbranch_vccz .LBB110_18
; %bb.17:
	s_mov_b32 s3, 0
	ds_write_b32 v11, v1
.LBB110_18:
	v_mov_b32_e32 v2, 0
	s_andn2_b32 vcc_lo, exec_lo, s3
	s_cbranch_vccnz .LBB110_20
; %bb.19:
	v_add_f32_e32 v2, v5, v4
	ds_bpermute_b32 v4, v3, v2
	s_waitcnt lgkmcnt(0)
	v_add_f32_e32 v2, v2, v4
	ds_bpermute_b32 v4, v6, v2
	s_waitcnt lgkmcnt(0)
	;; [unrolled: 3-line block ×5, first 2 shown]
	v_add_f32_e32 v2, v2, v4
	ds_write2_b32 v11, v1, v2 offset1:32
.LBB110_20:
	s_waitcnt lgkmcnt(0)
	s_barrier
	buffer_gl0_inv
	s_and_saveexec_b32 s3, s2
	s_cbranch_execz .LBB110_24
; %bb.21:
	ds_read_b32 v1, v7
	s_andn2_b32 vcc_lo, exec_lo, s1
	s_waitcnt lgkmcnt(0)
	ds_bpermute_b32 v4, v3, v1
	s_waitcnt lgkmcnt(0)
	v_add_f32_e32 v1, v1, v4
	ds_bpermute_b32 v4, v6, v1
	s_waitcnt lgkmcnt(0)
	v_add_f32_e32 v1, v1, v4
	;; [unrolled: 3-line block ×4, first 2 shown]
	ds_bpermute_b32 v4, v10, v1
	s_cbranch_vccnz .LBB110_23
; %bb.22:
	ds_read_b32 v2, v7 offset:128
	s_waitcnt lgkmcnt(0)
	ds_bpermute_b32 v3, v3, v2
	s_waitcnt lgkmcnt(0)
	v_add_f32_e32 v2, v2, v3
	ds_bpermute_b32 v3, v6, v2
	s_waitcnt lgkmcnt(0)
	v_add_f32_e32 v2, v2, v3
	;; [unrolled: 3-line block ×5, first 2 shown]
.LBB110_23:
	s_waitcnt lgkmcnt(0)
	v_add_f32_e32 v1, v1, v4
.LBB110_24:
	s_or_b32 exec_lo, exec_lo, s3
	s_barrier
	buffer_gl0_inv
	s_mov_b32 s2, exec_lo
	v_cmpx_eq_u32_e32 0, v0
	s_cbranch_execz .LBB110_48
; %bb.25:
	s_cmp_eq_u64 s[18:19], 0
	s_mul_i32 s8, s7, s22
	s_cselect_b32 s2, -1, 0
	s_ashr_i32 s9, s8, 31
	s_mul_hi_i32 s3, s30, s11
	s_and_b32 vcc_lo, exec_lo, s2
	s_mul_i32 s2, s30, s11
	s_cbranch_vccnz .LBB110_27
; %bb.26:
	s_cselect_b32 s7, 0, s19
	s_cselect_b32 s11, 0, s18
	s_lshl_b64 s[12:13], s[2:3], 2
	s_add_u32 s11, s11, s12
	s_addc_u32 s7, s7, s13
	s_lshl_b64 s[12:13], s[8:9], 2
	s_add_u32 s11, s11, s12
	s_addc_u32 s14, s7, s13
	s_ashr_i32 s7, s6, 31
	s_lshl_b64 s[12:13], s[6:7], 2
	s_add_u32 s12, s11, s12
	s_addc_u32 s13, s14, s13
	s_load_dword s7, s[12:13], 0x0
	s_waitcnt lgkmcnt(0)
	v_add_f32_e32 v1, s7, v1
.LBB110_27:
	s_andn2_b32 vcc_lo, exec_lo, s1
	s_cbranch_vccnz .LBB110_47
; %bb.28:
	s_cmp_lg_u64 s[26:27], 0
	s_cselect_b32 s7, -1, 0
	s_and_b32 s1, s7, s1
	s_andn2_b32 vcc_lo, exec_lo, s1
	s_cbranch_vccnz .LBB110_30
; %bb.29:
	s_and_b32 s1, s7, exec_lo
	s_cselect_b32 s1, s27, 0
	s_cselect_b32 s7, s26, 0
	s_lshl_b64 s[12:13], s[2:3], 2
	s_add_u32 s7, s7, s12
	s_addc_u32 s1, s1, s13
	s_lshl_b64 s[8:9], s[8:9], 2
	s_add_u32 s11, s7, s8
	s_addc_u32 s1, s1, s9
	s_ashr_i32 s7, s6, 31
	s_lshl_b64 s[8:9], s[6:7], 2
	s_add_u32 s8, s11, s8
	s_addc_u32 s9, s1, s9
	s_load_dword s1, s[8:9], 0x0
	s_waitcnt lgkmcnt(0)
	v_add_f32_e32 v2, s1, v2
.LBB110_30:
	s_cmp_lt_i32 s10, 2
	s_cbranch_scc1 .LBB110_35
; %bb.31:
	s_cmp_lt_i32 s10, 3
	s_cbranch_scc1 .LBB110_36
; %bb.32:
	v_mov_b32_e32 v0, v1
	s_cmp_eq_u32 s10, 3
	s_cbranch_scc0 .LBB110_34
; %bb.33:
	v_max_f32_e32 v0, v2, v2
	v_min_f32_e32 v0, 0x40e00000, v0
	v_mul_f32_e32 v3, 0xbfd9db23, v0
	v_mul_f32_e32 v4, 0x3fb8aa3b, v3
	v_cmp_ngt_f32_e32 vcc_lo, 0xc2ce8ed0, v3
	v_fma_f32 v5, 0x3fb8aa3b, v3, -v4
	v_rndne_f32_e32 v6, v4
	v_fmamk_f32 v5, v3, 0x32a5705f, v5
	v_sub_f32_e32 v4, v4, v6
	v_add_f32_e32 v4, v4, v5
	v_cvt_i32_f32_e32 v5, v6
	v_exp_f32_e32 v4, v4
	v_ldexp_f32 v4, v4, v5
	v_cndmask_b32_e32 v4, 0, v4, vcc_lo
	v_cmp_nlt_f32_e32 vcc_lo, 0x42b17218, v3
	v_cndmask_b32_e32 v3, 0x7f800000, v4, vcc_lo
	v_add_f32_e32 v3, 1.0, v3
	v_div_scale_f32 v4, null, v3, v3, v0
	v_div_scale_f32 v7, vcc_lo, v0, v3, v0
	v_rcp_f32_e32 v5, v4
	v_fma_f32 v6, -v4, v5, 1.0
	v_fmac_f32_e32 v5, v6, v5
	v_mul_f32_e32 v6, v7, v5
	v_fma_f32 v8, -v4, v6, v7
	v_fmac_f32_e32 v6, v8, v5
	v_max_f32_e32 v8, v1, v1
	v_fma_f32 v4, -v4, v6, v7
	v_min_f32_e32 v7, 0x40e00000, v8
	v_div_fmas_f32 v4, v4, v5, v6
	v_max_f32_e32 v5, 0xc0e00000, v7
	v_div_fixup_f32 v0, v4, v3, v0
	v_add_f32_e32 v3, 1.0, v5
	v_mul_f32_e32 v0, v3, v0
.LBB110_34:
	s_cbranch_execz .LBB110_37
	s_branch .LBB110_38
.LBB110_35:
                                        ; implicit-def: $vgpr0
	s_branch .LBB110_39
.LBB110_36:
                                        ; implicit-def: $vgpr0
.LBB110_37:
	v_mul_f32_e32 v0, 0xbfb8aa3b, v2
	v_cmp_nlt_f32_e32 vcc_lo, 0x42ce8ed0, v2
	v_rndne_f32_e32 v3, v0
	v_fma_f32 v4, 0xbfb8aa3b, v2, -v0
	v_sub_f32_e32 v0, v0, v3
	v_fmamk_f32 v4, v2, 0xb2a5705f, v4
	v_cvt_i32_f32_e32 v3, v3
	v_add_f32_e32 v0, v0, v4
	v_exp_f32_e32 v0, v0
	v_ldexp_f32 v0, v0, v3
	v_cndmask_b32_e32 v0, 0, v0, vcc_lo
	v_cmp_ngt_f32_e32 vcc_lo, 0xc2b17218, v2
	v_cndmask_b32_e32 v0, 0x7f800000, v0, vcc_lo
	v_add_f32_e32 v0, 1.0, v0
	v_div_scale_f32 v3, null, v0, v0, v2
	v_rcp_f32_e32 v4, v3
	v_fma_f32 v5, -v3, v4, 1.0
	v_fmac_f32_e32 v4, v5, v4
	v_div_scale_f32 v5, vcc_lo, v2, v0, v2
	v_mul_f32_e32 v6, v5, v4
	v_fma_f32 v7, -v3, v6, v5
	v_fmac_f32_e32 v6, v7, v4
	v_fma_f32 v3, -v3, v6, v5
	v_div_fmas_f32 v3, v3, v4, v6
	v_div_fixup_f32 v0, v3, v0, v2
	v_mul_f32_e32 v0, v1, v0
.LBB110_38:
	s_cbranch_execnz .LBB110_46
.LBB110_39:
	s_cmp_eq_u32 s10, 1
	s_cbranch_scc0 .LBB110_45
; %bb.40:
	v_mul_f32_e32 v0, 0x3d372713, v2
	v_mul_f32_e32 v3, 0x3f4c422a, v2
	v_fma_f32 v0, v2, v0, 1.0
	v_mul_f32_e32 v0, v3, v0
                                        ; implicit-def: $vgpr3
	v_cmp_ngt_f32_e64 s1, 0x3f200000, |v0|
	s_and_saveexec_b32 s7, s1
	s_xor_b32 s1, exec_lo, s7
	s_cbranch_execz .LBB110_42
; %bb.41:
	v_add_f32_e64 v3, |v0|, |v0|
	v_mul_f32_e32 v4, 0x3fb8aa3b, v3
	v_cmp_ngt_f32_e32 vcc_lo, 0xc2ce8ed0, v3
	v_rndne_f32_e32 v5, v4
	v_fma_f32 v6, 0x3fb8aa3b, v3, -v4
	v_sub_f32_e32 v4, v4, v5
	v_fmamk_f32 v6, v3, 0x32a5705f, v6
	v_cvt_i32_f32_e32 v5, v5
	v_add_f32_e32 v4, v4, v6
	v_exp_f32_e32 v4, v4
	v_ldexp_f32 v4, v4, v5
	v_cndmask_b32_e32 v4, 0, v4, vcc_lo
	v_cmp_nlt_f32_e32 vcc_lo, 0x42b17218, v3
	v_cndmask_b32_e32 v3, 0x7f800000, v4, vcc_lo
	v_add_f32_e32 v3, 1.0, v3
	v_rcp_f32_e32 v3, v3
	v_fma_f32 v3, v3, -2.0, 1.0
.LBB110_42:
	s_andn2_saveexec_b32 s1, s1
	s_cbranch_execz .LBB110_44
; %bb.43:
	v_mul_f32_e32 v3, v0, v0
	s_mov_b32 s7, 0xbbbac73d
	v_fmaak_f32 v4, s7, v3, 0x3ca908c9
	v_fmaak_f32 v4, v3, v4, 0xbd5c1c4e
	;; [unrolled: 1-line block ×4, first 2 shown]
	v_mul_f32_e64 v4, |v0|, v4
	v_fma_f32 v3, v3, v4, |v0|
.LBB110_44:
	s_or_b32 exec_lo, exec_lo, s1
	v_bfi_b32 v0, 0x7fffffff, v3, v0
	v_mul_f32_e32 v2, 0.5, v2
	v_add_f32_e32 v0, 1.0, v0
	v_mul_f32_e32 v0, v2, v0
	v_mul_f32_e32 v1, v1, v0
.LBB110_45:
	v_mov_b32_e32 v0, v1
.LBB110_46:
	v_mov_b32_e32 v1, v0
.LBB110_47:
	s_load_dwordx2 s[4:5], s[4:5], 0x38
	s_mul_i32 s0, s22, s0
	s_lshl_b64 s[2:3], s[2:3], 2
	s_ashr_i32 s1, s0, 31
	v_mov_b32_e32 v0, 0
	s_waitcnt lgkmcnt(0)
	s_add_u32 s2, s4, s2
	s_addc_u32 s3, s5, s3
	s_lshl_b64 s[0:1], s[0:1], 2
	s_add_u32 s2, s2, s0
	s_addc_u32 s3, s3, s1
	s_ashr_i32 s7, s6, 31
	s_lshl_b64 s[0:1], s[6:7], 2
	s_add_u32 s0, s2, s0
	s_addc_u32 s1, s3, s1
	global_store_dword v0, v1, s[0:1]
.LBB110_48:
	s_endpgm
	.section	.rodata,"a",@progbits
	.p2align	6, 0x0
	.amdhsa_kernel _ZL13mul_mat_vec_fI6__halfS0_Li1ELi128ELb1ELb0EEvPKT_PKfPKi31ggml_cuda_mm_fusion_args_devicePfi15HIP_vector_typeIjLj3EEiiiSB_iiiSB_iiii
		.amdhsa_group_segment_fixed_size 0
		.amdhsa_private_segment_fixed_size 0
		.amdhsa_kernarg_size 144
		.amdhsa_user_sgpr_count 6
		.amdhsa_user_sgpr_private_segment_buffer 1
		.amdhsa_user_sgpr_dispatch_ptr 0
		.amdhsa_user_sgpr_queue_ptr 0
		.amdhsa_user_sgpr_kernarg_segment_ptr 1
		.amdhsa_user_sgpr_dispatch_id 0
		.amdhsa_user_sgpr_flat_scratch_init 0
		.amdhsa_user_sgpr_private_segment_size 0
		.amdhsa_wavefront_size32 1
		.amdhsa_uses_dynamic_stack 0
		.amdhsa_system_sgpr_private_segment_wavefront_offset 0
		.amdhsa_system_sgpr_workgroup_id_x 1
		.amdhsa_system_sgpr_workgroup_id_y 1
		.amdhsa_system_sgpr_workgroup_id_z 1
		.amdhsa_system_sgpr_workgroup_info 0
		.amdhsa_system_vgpr_workitem_id 0
		.amdhsa_next_free_vgpr 15
		.amdhsa_next_free_sgpr 40
		.amdhsa_reserve_vcc 1
		.amdhsa_reserve_flat_scratch 0
		.amdhsa_float_round_mode_32 0
		.amdhsa_float_round_mode_16_64 0
		.amdhsa_float_denorm_mode_32 3
		.amdhsa_float_denorm_mode_16_64 3
		.amdhsa_dx10_clamp 1
		.amdhsa_ieee_mode 1
		.amdhsa_fp16_overflow 0
		.amdhsa_workgroup_processor_mode 1
		.amdhsa_memory_ordered 1
		.amdhsa_forward_progress 1
		.amdhsa_shared_vgpr_count 0
		.amdhsa_exception_fp_ieee_invalid_op 0
		.amdhsa_exception_fp_denorm_src 0
		.amdhsa_exception_fp_ieee_div_zero 0
		.amdhsa_exception_fp_ieee_overflow 0
		.amdhsa_exception_fp_ieee_underflow 0
		.amdhsa_exception_fp_ieee_inexact 0
		.amdhsa_exception_int_div_zero 0
	.end_amdhsa_kernel
	.section	.text._ZL13mul_mat_vec_fI6__halfS0_Li1ELi128ELb1ELb0EEvPKT_PKfPKi31ggml_cuda_mm_fusion_args_devicePfi15HIP_vector_typeIjLj3EEiiiSB_iiiSB_iiii,"axG",@progbits,_ZL13mul_mat_vec_fI6__halfS0_Li1ELi128ELb1ELb0EEvPKT_PKfPKi31ggml_cuda_mm_fusion_args_devicePfi15HIP_vector_typeIjLj3EEiiiSB_iiiSB_iiii,comdat
.Lfunc_end110:
	.size	_ZL13mul_mat_vec_fI6__halfS0_Li1ELi128ELb1ELb0EEvPKT_PKfPKi31ggml_cuda_mm_fusion_args_devicePfi15HIP_vector_typeIjLj3EEiiiSB_iiiSB_iiii, .Lfunc_end110-_ZL13mul_mat_vec_fI6__halfS0_Li1ELi128ELb1ELb0EEvPKT_PKfPKi31ggml_cuda_mm_fusion_args_devicePfi15HIP_vector_typeIjLj3EEiiiSB_iiiSB_iiii
                                        ; -- End function
	.set _ZL13mul_mat_vec_fI6__halfS0_Li1ELi128ELb1ELb0EEvPKT_PKfPKi31ggml_cuda_mm_fusion_args_devicePfi15HIP_vector_typeIjLj3EEiiiSB_iiiSB_iiii.num_vgpr, 15
	.set _ZL13mul_mat_vec_fI6__halfS0_Li1ELi128ELb1ELb0EEvPKT_PKfPKi31ggml_cuda_mm_fusion_args_devicePfi15HIP_vector_typeIjLj3EEiiiSB_iiiSB_iiii.num_agpr, 0
	.set _ZL13mul_mat_vec_fI6__halfS0_Li1ELi128ELb1ELb0EEvPKT_PKfPKi31ggml_cuda_mm_fusion_args_devicePfi15HIP_vector_typeIjLj3EEiiiSB_iiiSB_iiii.numbered_sgpr, 40
	.set _ZL13mul_mat_vec_fI6__halfS0_Li1ELi128ELb1ELb0EEvPKT_PKfPKi31ggml_cuda_mm_fusion_args_devicePfi15HIP_vector_typeIjLj3EEiiiSB_iiiSB_iiii.num_named_barrier, 0
	.set _ZL13mul_mat_vec_fI6__halfS0_Li1ELi128ELb1ELb0EEvPKT_PKfPKi31ggml_cuda_mm_fusion_args_devicePfi15HIP_vector_typeIjLj3EEiiiSB_iiiSB_iiii.private_seg_size, 0
	.set _ZL13mul_mat_vec_fI6__halfS0_Li1ELi128ELb1ELb0EEvPKT_PKfPKi31ggml_cuda_mm_fusion_args_devicePfi15HIP_vector_typeIjLj3EEiiiSB_iiiSB_iiii.uses_vcc, 1
	.set _ZL13mul_mat_vec_fI6__halfS0_Li1ELi128ELb1ELb0EEvPKT_PKfPKi31ggml_cuda_mm_fusion_args_devicePfi15HIP_vector_typeIjLj3EEiiiSB_iiiSB_iiii.uses_flat_scratch, 0
	.set _ZL13mul_mat_vec_fI6__halfS0_Li1ELi128ELb1ELb0EEvPKT_PKfPKi31ggml_cuda_mm_fusion_args_devicePfi15HIP_vector_typeIjLj3EEiiiSB_iiiSB_iiii.has_dyn_sized_stack, 0
	.set _ZL13mul_mat_vec_fI6__halfS0_Li1ELi128ELb1ELb0EEvPKT_PKfPKi31ggml_cuda_mm_fusion_args_devicePfi15HIP_vector_typeIjLj3EEiiiSB_iiiSB_iiii.has_recursion, 0
	.set _ZL13mul_mat_vec_fI6__halfS0_Li1ELi128ELb1ELb0EEvPKT_PKfPKi31ggml_cuda_mm_fusion_args_devicePfi15HIP_vector_typeIjLj3EEiiiSB_iiiSB_iiii.has_indirect_call, 0
	.section	.AMDGPU.csdata,"",@progbits
; Kernel info:
; codeLenInByte = 2304
; TotalNumSgprs: 42
; NumVgprs: 15
; ScratchSize: 0
; MemoryBound: 0
; FloatMode: 240
; IeeeMode: 1
; LDSByteSize: 0 bytes/workgroup (compile time only)
; SGPRBlocks: 0
; VGPRBlocks: 1
; NumSGPRsForWavesPerEU: 42
; NumVGPRsForWavesPerEU: 15
; Occupancy: 16
; WaveLimiterHint : 1
; COMPUTE_PGM_RSRC2:SCRATCH_EN: 0
; COMPUTE_PGM_RSRC2:USER_SGPR: 6
; COMPUTE_PGM_RSRC2:TRAP_HANDLER: 0
; COMPUTE_PGM_RSRC2:TGID_X_EN: 1
; COMPUTE_PGM_RSRC2:TGID_Y_EN: 1
; COMPUTE_PGM_RSRC2:TGID_Z_EN: 1
; COMPUTE_PGM_RSRC2:TIDIG_COMP_CNT: 0
	.section	.text._ZL13mul_mat_vec_fI6__halfS0_Li1ELi128ELb0ELb0EEvPKT_PKfPKi31ggml_cuda_mm_fusion_args_devicePfi15HIP_vector_typeIjLj3EEiiiSB_iiiSB_iiii,"axG",@progbits,_ZL13mul_mat_vec_fI6__halfS0_Li1ELi128ELb0ELb0EEvPKT_PKfPKi31ggml_cuda_mm_fusion_args_devicePfi15HIP_vector_typeIjLj3EEiiiSB_iiiSB_iiii,comdat
	.globl	_ZL13mul_mat_vec_fI6__halfS0_Li1ELi128ELb0ELb0EEvPKT_PKfPKi31ggml_cuda_mm_fusion_args_devicePfi15HIP_vector_typeIjLj3EEiiiSB_iiiSB_iiii ; -- Begin function _ZL13mul_mat_vec_fI6__halfS0_Li1ELi128ELb0ELb0EEvPKT_PKfPKi31ggml_cuda_mm_fusion_args_devicePfi15HIP_vector_typeIjLj3EEiiiSB_iiiSB_iiii
	.p2align	8
	.type	_ZL13mul_mat_vec_fI6__halfS0_Li1ELi128ELb0ELb0EEvPKT_PKfPKi31ggml_cuda_mm_fusion_args_devicePfi15HIP_vector_typeIjLj3EEiiiSB_iiiSB_iiii,@function
_ZL13mul_mat_vec_fI6__halfS0_Li1ELi128ELb0ELb0EEvPKT_PKfPKi31ggml_cuda_mm_fusion_args_devicePfi15HIP_vector_typeIjLj3EEiiiSB_iiiSB_iiii: ; @_ZL13mul_mat_vec_fI6__halfS0_Li1ELi128ELb0ELb0EEvPKT_PKfPKi31ggml_cuda_mm_fusion_args_devicePfi15HIP_vector_typeIjLj3EEiiiSB_iiiSB_iiii
; %bb.0:
	s_clause 0x2
	s_load_dwordx2 s[2:3], s[4:5], 0x10
	s_load_dwordx4 s[20:23], s[4:5], 0x40
	s_load_dwordx4 s[12:15], s[4:5], 0x80
	s_waitcnt lgkmcnt(0)
	s_cmp_eq_u64 s[2:3], 0
	s_cselect_b32 s9, -1, 0
	s_cmp_lg_u64 s[2:3], 0
	s_cselect_b32 s10, -1, 0
	s_and_b32 vcc_lo, exec_lo, s9
	s_cbranch_vccnz .LBB111_2
; %bb.1:
	s_mul_i32 s0, s15, s8
	s_mov_b32 s1, 0
	s_add_i32 s0, s0, s7
	s_lshl_b64 s[16:17], s[0:1], 2
	s_add_u32 s2, s2, s16
	s_addc_u32 s3, s3, s17
	s_load_dword s15, s[2:3], 0x0
	s_load_dword s24, s[4:5], 0x50
	s_cbranch_execz .LBB111_3
	s_branch .LBB111_4
.LBB111_2:
                                        ; implicit-def: $sgpr15
	s_load_dword s24, s[4:5], 0x50
.LBB111_3:
	s_load_dwordx2 s[0:1], s[4:5], 0x5c
	s_waitcnt lgkmcnt(0)
	s_mul_hi_u32 s0, s0, s7
	s_add_i32 s0, s7, s0
	s_lshr_b32 s15, s0, s1
.LBB111_4:
	s_load_dwordx4 s[16:19], s[4:5], 0x68
	s_andn2_b32 vcc_lo, exec_lo, s10
	s_mov_b32 s25, s7
	s_cbranch_vccnz .LBB111_6
; %bb.5:
	s_mul_hi_u32 s0, s21, s7
	s_add_i32 s0, s7, s0
	s_lshr_b32 s0, s0, s22
	s_mul_i32 s0, s0, s23
	s_sub_i32 s25, s7, s0
.LBB111_6:
	s_load_dword s1, s[4:5], 0x78
	v_cmp_gt_u32_e32 vcc_lo, 32, v0
	v_lshl_add_u32 v5, v0, 2, 0
	s_and_saveexec_b32 s0, vcc_lo
; %bb.7:
	v_mov_b32_e32 v1, 0
	ds_write_b32 v5, v1
; %bb.8:
	s_or_b32 exec_lo, exec_lo, s0
	v_mov_b32_e32 v1, 0
	v_mov_b32_e32 v2, 0
	s_and_b32 s0, exec_lo, s9
	s_cselect_b32 s2, s8, 0
	s_mov_b32 s3, exec_lo
	s_waitcnt lgkmcnt(0)
	s_barrier
	buffer_gl0_inv
	v_cmpx_gt_i32_e64 s20, v0
	s_cbranch_execz .LBB111_12
; %bb.9:
	s_load_dwordx4 s[8:11], s[4:5], 0x0
	s_mul_hi_u32 s0, s19, s2
	s_mul_i32 s22, s24, s6
	s_mul_i32 s24, s25, s17
	s_add_i32 s0, s2, s0
	s_ashr_i32 s25, s24, 31
	s_mul_i32 s16, s15, s16
	s_mul_hi_i32 s27, s2, s13
	s_mul_i32 s26, s2, s13
	s_lshr_b32 s15, s0, s1
	s_lshl_b64 s[0:1], s[24:25], 2
	v_lshlrev_b32_e32 v1, 3, v0
	s_ashr_i32 s17, s16, 31
	s_ashr_i32 s23, s22, 31
	s_lshl_b64 s[26:27], s[26:27], 2
	s_mul_hi_i32 s13, s15, s12
	s_mul_i32 s12, s15, s12
	v_lshlrev_b32_e32 v3, 2, v0
	v_mov_b32_e32 v6, 0
	v_mov_b32_e32 v7, v0
	s_waitcnt lgkmcnt(0)
	s_add_u32 s0, s10, s0
	s_addc_u32 s1, s11, s1
	s_add_u32 s0, s0, s26
	s_addc_u32 s1, s1, s27
	v_add_co_u32 v1, s0, s0, v1
	v_add_co_ci_u32_e64 v2, null, s1, 0, s0
	s_lshl_b64 s[10:11], s[12:13], 1
	v_add_co_u32 v1, s0, v1, 4
	v_add_co_ci_u32_e64 v2, null, 0, v2, s0
	s_lshl_b64 s[0:1], s[16:17], 1
	s_lshl_b64 s[12:13], s[22:23], 1
	s_add_u32 s0, s8, s0
	s_addc_u32 s1, s9, s1
	s_add_u32 s0, s0, s12
	s_addc_u32 s1, s1, s13
	;; [unrolled: 2-line block ×3, first 2 shown]
	v_add_co_u32 v3, s0, s0, v3
	v_add_co_ci_u32_e64 v4, null, s1, 0, s0
	s_mov_b32 s8, 0
	.p2align	6
.LBB111_10:                             ; =>This Inner Loop Header: Depth=1
	global_load_dwordx2 v[8:9], v[1:2], off offset:-4
	global_load_dword v10, v[3:4], off
	v_add_nc_u32_e32 v7, 0x80, v7
	v_add_co_u32 v1, s0, 0x400, v1
	v_add_co_ci_u32_e64 v2, null, 0, v2, s0
	v_add_co_u32 v3, s0, 0x200, v3
	v_cmp_le_i32_e64 s1, s20, v7
	v_add_co_ci_u32_e64 v4, null, 0, v4, s0
	s_or_b32 s8, s1, s8
	s_waitcnt vmcnt(1)
	v_cvt_f16_f32_e32 v8, v8
	v_cvt_f16_f32_e32 v9, v9
	v_pack_b32_f16 v8, v8, v9
	s_waitcnt vmcnt(0)
	v_pk_fma_f16 v6, v10, v8, v6
	s_andn2_b32 exec_lo, exec_lo, s8
	s_cbranch_execnz .LBB111_10
; %bb.11:
	s_or_b32 exec_lo, exec_lo, s8
	v_cvt_f32_f16_sdwa v1, v6 dst_sel:DWORD dst_unused:UNUSED_PAD src0_sel:WORD_1
	v_cvt_f32_f16_e32 v2, v6
.LBB111_12:
	s_or_b32 exec_lo, exec_lo, s3
	v_mbcnt_lo_u32_b32 v7, -1, 0
	v_add_f32_e32 v2, v2, v1
	v_xor_b32_e32 v3, 16, v7
	v_xor_b32_e32 v9, 1, v7
	v_cmp_gt_i32_e64 s0, 32, v3
	v_cndmask_b32_e64 v3, v7, v3, s0
	v_lshlrev_b32_e32 v1, 2, v3
	v_xor_b32_e32 v3, 8, v7
	ds_bpermute_b32 v4, v1, v2
	v_cmp_gt_i32_e64 s0, 32, v3
	v_cndmask_b32_e64 v3, v7, v3, s0
	v_lshlrev_b32_e32 v3, 2, v3
	s_waitcnt lgkmcnt(0)
	v_add_f32_e32 v2, v2, v4
	v_xor_b32_e32 v4, 4, v7
	ds_bpermute_b32 v6, v3, v2
	v_cmp_gt_i32_e64 s0, 32, v4
	v_cndmask_b32_e64 v4, v7, v4, s0
	v_lshlrev_b32_e32 v4, 2, v4
	s_waitcnt lgkmcnt(0)
	v_add_f32_e32 v2, v2, v6
	v_xor_b32_e32 v6, 2, v7
	ds_bpermute_b32 v8, v4, v2
	v_cmp_gt_i32_e64 s0, 32, v6
	v_cndmask_b32_e64 v6, v7, v6, s0
	v_cmp_gt_i32_e64 s0, 32, v9
	v_lshlrev_b32_e32 v6, 2, v6
	v_cndmask_b32_e64 v7, v7, v9, s0
	v_lshrrev_b32_e32 v9, 3, v0
	v_lshlrev_b32_e32 v7, 2, v7
	v_and_b32_e32 v9, 0x7c, v9
	s_waitcnt lgkmcnt(0)
	v_add_f32_e32 v2, v2, v8
	v_add_nc_u32_e32 v9, 0, v9
	ds_bpermute_b32 v8, v6, v2
	s_waitcnt lgkmcnt(0)
	v_add_f32_e32 v2, v2, v8
	ds_bpermute_b32 v8, v7, v2
	s_waitcnt lgkmcnt(0)
	v_add_f32_e32 v2, v2, v8
	ds_write_b32 v9, v2
	s_waitcnt lgkmcnt(0)
	s_barrier
	buffer_gl0_inv
	s_and_saveexec_b32 s0, vcc_lo
	s_cbranch_execz .LBB111_14
; %bb.13:
	ds_read_b32 v2, v5
	s_waitcnt lgkmcnt(0)
	ds_bpermute_b32 v1, v1, v2
	s_waitcnt lgkmcnt(0)
	v_add_f32_e32 v1, v2, v1
	ds_bpermute_b32 v2, v3, v1
	s_waitcnt lgkmcnt(0)
	v_add_f32_e32 v1, v1, v2
	;; [unrolled: 3-line block ×5, first 2 shown]
.LBB111_14:
	s_or_b32 exec_lo, exec_lo, s0
	s_barrier
	buffer_gl0_inv
	s_mov_b32 s0, exec_lo
	v_cmpx_eq_u32_e32 0, v0
	s_cbranch_execz .LBB111_16
; %bb.15:
	s_load_dwordx2 s[0:1], s[4:5], 0x38
	s_mul_hi_i32 s3, s14, s2
	s_mul_i32 s2, s14, s2
	s_mul_i32 s4, s18, s7
	s_lshl_b64 s[2:3], s[2:3], 2
	s_ashr_i32 s5, s4, 31
	v_mov_b32_e32 v0, 0
	s_waitcnt lgkmcnt(0)
	s_add_u32 s2, s0, s2
	s_addc_u32 s3, s1, s3
	s_lshl_b64 s[0:1], s[4:5], 2
	s_add_u32 s2, s2, s0
	s_addc_u32 s3, s3, s1
	s_ashr_i32 s7, s6, 31
	s_lshl_b64 s[0:1], s[6:7], 2
	s_add_u32 s0, s2, s0
	s_addc_u32 s1, s3, s1
	global_store_dword v0, v2, s[0:1]
.LBB111_16:
	s_endpgm
	.section	.rodata,"a",@progbits
	.p2align	6, 0x0
	.amdhsa_kernel _ZL13mul_mat_vec_fI6__halfS0_Li1ELi128ELb0ELb0EEvPKT_PKfPKi31ggml_cuda_mm_fusion_args_devicePfi15HIP_vector_typeIjLj3EEiiiSB_iiiSB_iiii
		.amdhsa_group_segment_fixed_size 0
		.amdhsa_private_segment_fixed_size 0
		.amdhsa_kernarg_size 144
		.amdhsa_user_sgpr_count 6
		.amdhsa_user_sgpr_private_segment_buffer 1
		.amdhsa_user_sgpr_dispatch_ptr 0
		.amdhsa_user_sgpr_queue_ptr 0
		.amdhsa_user_sgpr_kernarg_segment_ptr 1
		.amdhsa_user_sgpr_dispatch_id 0
		.amdhsa_user_sgpr_flat_scratch_init 0
		.amdhsa_user_sgpr_private_segment_size 0
		.amdhsa_wavefront_size32 1
		.amdhsa_uses_dynamic_stack 0
		.amdhsa_system_sgpr_private_segment_wavefront_offset 0
		.amdhsa_system_sgpr_workgroup_id_x 1
		.amdhsa_system_sgpr_workgroup_id_y 1
		.amdhsa_system_sgpr_workgroup_id_z 1
		.amdhsa_system_sgpr_workgroup_info 0
		.amdhsa_system_vgpr_workitem_id 0
		.amdhsa_next_free_vgpr 11
		.amdhsa_next_free_sgpr 28
		.amdhsa_reserve_vcc 1
		.amdhsa_reserve_flat_scratch 0
		.amdhsa_float_round_mode_32 0
		.amdhsa_float_round_mode_16_64 0
		.amdhsa_float_denorm_mode_32 3
		.amdhsa_float_denorm_mode_16_64 3
		.amdhsa_dx10_clamp 1
		.amdhsa_ieee_mode 1
		.amdhsa_fp16_overflow 0
		.amdhsa_workgroup_processor_mode 1
		.amdhsa_memory_ordered 1
		.amdhsa_forward_progress 1
		.amdhsa_shared_vgpr_count 0
		.amdhsa_exception_fp_ieee_invalid_op 0
		.amdhsa_exception_fp_denorm_src 0
		.amdhsa_exception_fp_ieee_div_zero 0
		.amdhsa_exception_fp_ieee_overflow 0
		.amdhsa_exception_fp_ieee_underflow 0
		.amdhsa_exception_fp_ieee_inexact 0
		.amdhsa_exception_int_div_zero 0
	.end_amdhsa_kernel
	.section	.text._ZL13mul_mat_vec_fI6__halfS0_Li1ELi128ELb0ELb0EEvPKT_PKfPKi31ggml_cuda_mm_fusion_args_devicePfi15HIP_vector_typeIjLj3EEiiiSB_iiiSB_iiii,"axG",@progbits,_ZL13mul_mat_vec_fI6__halfS0_Li1ELi128ELb0ELb0EEvPKT_PKfPKi31ggml_cuda_mm_fusion_args_devicePfi15HIP_vector_typeIjLj3EEiiiSB_iiiSB_iiii,comdat
.Lfunc_end111:
	.size	_ZL13mul_mat_vec_fI6__halfS0_Li1ELi128ELb0ELb0EEvPKT_PKfPKi31ggml_cuda_mm_fusion_args_devicePfi15HIP_vector_typeIjLj3EEiiiSB_iiiSB_iiii, .Lfunc_end111-_ZL13mul_mat_vec_fI6__halfS0_Li1ELi128ELb0ELb0EEvPKT_PKfPKi31ggml_cuda_mm_fusion_args_devicePfi15HIP_vector_typeIjLj3EEiiiSB_iiiSB_iiii
                                        ; -- End function
	.set _ZL13mul_mat_vec_fI6__halfS0_Li1ELi128ELb0ELb0EEvPKT_PKfPKi31ggml_cuda_mm_fusion_args_devicePfi15HIP_vector_typeIjLj3EEiiiSB_iiiSB_iiii.num_vgpr, 11
	.set _ZL13mul_mat_vec_fI6__halfS0_Li1ELi128ELb0ELb0EEvPKT_PKfPKi31ggml_cuda_mm_fusion_args_devicePfi15HIP_vector_typeIjLj3EEiiiSB_iiiSB_iiii.num_agpr, 0
	.set _ZL13mul_mat_vec_fI6__halfS0_Li1ELi128ELb0ELb0EEvPKT_PKfPKi31ggml_cuda_mm_fusion_args_devicePfi15HIP_vector_typeIjLj3EEiiiSB_iiiSB_iiii.numbered_sgpr, 28
	.set _ZL13mul_mat_vec_fI6__halfS0_Li1ELi128ELb0ELb0EEvPKT_PKfPKi31ggml_cuda_mm_fusion_args_devicePfi15HIP_vector_typeIjLj3EEiiiSB_iiiSB_iiii.num_named_barrier, 0
	.set _ZL13mul_mat_vec_fI6__halfS0_Li1ELi128ELb0ELb0EEvPKT_PKfPKi31ggml_cuda_mm_fusion_args_devicePfi15HIP_vector_typeIjLj3EEiiiSB_iiiSB_iiii.private_seg_size, 0
	.set _ZL13mul_mat_vec_fI6__halfS0_Li1ELi128ELb0ELb0EEvPKT_PKfPKi31ggml_cuda_mm_fusion_args_devicePfi15HIP_vector_typeIjLj3EEiiiSB_iiiSB_iiii.uses_vcc, 1
	.set _ZL13mul_mat_vec_fI6__halfS0_Li1ELi128ELb0ELb0EEvPKT_PKfPKi31ggml_cuda_mm_fusion_args_devicePfi15HIP_vector_typeIjLj3EEiiiSB_iiiSB_iiii.uses_flat_scratch, 0
	.set _ZL13mul_mat_vec_fI6__halfS0_Li1ELi128ELb0ELb0EEvPKT_PKfPKi31ggml_cuda_mm_fusion_args_devicePfi15HIP_vector_typeIjLj3EEiiiSB_iiiSB_iiii.has_dyn_sized_stack, 0
	.set _ZL13mul_mat_vec_fI6__halfS0_Li1ELi128ELb0ELb0EEvPKT_PKfPKi31ggml_cuda_mm_fusion_args_devicePfi15HIP_vector_typeIjLj3EEiiiSB_iiiSB_iiii.has_recursion, 0
	.set _ZL13mul_mat_vec_fI6__halfS0_Li1ELi128ELb0ELb0EEvPKT_PKfPKi31ggml_cuda_mm_fusion_args_devicePfi15HIP_vector_typeIjLj3EEiiiSB_iiiSB_iiii.has_indirect_call, 0
	.section	.AMDGPU.csdata,"",@progbits
; Kernel info:
; codeLenInByte = 1112
; TotalNumSgprs: 30
; NumVgprs: 11
; ScratchSize: 0
; MemoryBound: 0
; FloatMode: 240
; IeeeMode: 1
; LDSByteSize: 0 bytes/workgroup (compile time only)
; SGPRBlocks: 0
; VGPRBlocks: 1
; NumSGPRsForWavesPerEU: 30
; NumVGPRsForWavesPerEU: 11
; Occupancy: 16
; WaveLimiterHint : 0
; COMPUTE_PGM_RSRC2:SCRATCH_EN: 0
; COMPUTE_PGM_RSRC2:USER_SGPR: 6
; COMPUTE_PGM_RSRC2:TRAP_HANDLER: 0
; COMPUTE_PGM_RSRC2:TGID_X_EN: 1
; COMPUTE_PGM_RSRC2:TGID_Y_EN: 1
; COMPUTE_PGM_RSRC2:TGID_Z_EN: 1
; COMPUTE_PGM_RSRC2:TIDIG_COMP_CNT: 0
	.section	.text._ZL13mul_mat_vec_fI6__halfS0_Li1ELi160ELb1ELb0EEvPKT_PKfPKi31ggml_cuda_mm_fusion_args_devicePfi15HIP_vector_typeIjLj3EEiiiSB_iiiSB_iiii,"axG",@progbits,_ZL13mul_mat_vec_fI6__halfS0_Li1ELi160ELb1ELb0EEvPKT_PKfPKi31ggml_cuda_mm_fusion_args_devicePfi15HIP_vector_typeIjLj3EEiiiSB_iiiSB_iiii,comdat
	.globl	_ZL13mul_mat_vec_fI6__halfS0_Li1ELi160ELb1ELb0EEvPKT_PKfPKi31ggml_cuda_mm_fusion_args_devicePfi15HIP_vector_typeIjLj3EEiiiSB_iiiSB_iiii ; -- Begin function _ZL13mul_mat_vec_fI6__halfS0_Li1ELi160ELb1ELb0EEvPKT_PKfPKi31ggml_cuda_mm_fusion_args_devicePfi15HIP_vector_typeIjLj3EEiiiSB_iiiSB_iiii
	.p2align	8
	.type	_ZL13mul_mat_vec_fI6__halfS0_Li1ELi160ELb1ELb0EEvPKT_PKfPKi31ggml_cuda_mm_fusion_args_devicePfi15HIP_vector_typeIjLj3EEiiiSB_iiiSB_iiii,@function
_ZL13mul_mat_vec_fI6__halfS0_Li1ELi160ELb1ELb0EEvPKT_PKfPKi31ggml_cuda_mm_fusion_args_devicePfi15HIP_vector_typeIjLj3EEiiiSB_iiiSB_iiii: ; @_ZL13mul_mat_vec_fI6__halfS0_Li1ELi160ELb1ELb0EEvPKT_PKfPKi31ggml_cuda_mm_fusion_args_devicePfi15HIP_vector_typeIjLj3EEiiiSB_iiiSB_iiii
; %bb.0:
	s_clause 0x3
	s_load_dwordx8 s[12:19], s[4:5], 0x0
	s_load_dwordx4 s[24:27], s[4:5], 0x20
	s_load_dwordx4 s[36:39], s[4:5], 0x40
	;; [unrolled: 1-line block ×3, first 2 shown]
	s_mov_b32 s0, s7
	s_waitcnt lgkmcnt(0)
	s_cmp_eq_u64 s[16:17], 0
	s_cselect_b32 s10, -1, 0
	s_cmp_lg_u64 s[16:17], 0
	s_cselect_b32 s1, -1, 0
	s_and_b32 vcc_lo, exec_lo, s10
	s_cbranch_vccnz .LBB112_2
; %bb.1:
	s_mul_i32 s2, s31, s8
	s_mov_b32 s3, 0
	s_add_i32 s2, s2, s0
	s_lshl_b64 s[20:21], s[2:3], 2
	s_add_u32 s16, s16, s20
	s_addc_u32 s17, s17, s21
	s_load_dword s7, s[16:17], 0x0
	s_load_dword s16, s[4:5], 0x50
	s_waitcnt lgkmcnt(0)
	s_mov_b32 s3, s7
	s_cbranch_execz .LBB112_3
	s_branch .LBB112_4
.LBB112_2:
                                        ; implicit-def: $sgpr7
	s_load_dword s16, s[4:5], 0x50
	s_mov_b32 s3, s7
.LBB112_3:
	s_load_dwordx2 s[2:3], s[4:5], 0x5c
	s_mov_b32 s7, s0
	s_waitcnt lgkmcnt(0)
	s_mul_hi_u32 s2, s2, s0
	s_add_i32 s2, s0, s2
	s_lshr_b32 s3, s2, s3
.LBB112_4:
	s_load_dwordx4 s[20:23], s[4:5], 0x68
	s_andn2_b32 vcc_lo, exec_lo, s1
	s_mov_b32 s17, s0
	s_cbranch_vccnz .LBB112_6
; %bb.5:
	s_mul_hi_u32 s1, s37, s0
	s_add_i32 s1, s0, s1
	s_lshr_b32 s1, s1, s38
	s_mul_i32 s1, s1, s39
	s_sub_i32 s17, s0, s1
.LBB112_6:
	s_load_dword s31, s[4:5], 0x78
	s_cmp_lg_u64 s[24:25], 0
	v_cmp_gt_u32_e64 s2, 32, v0
	v_lshl_add_u32 v7, v0, 2, 0
	s_cselect_b32 s1, -1, 0
	s_cmp_eq_u64 s[24:25], 0
	s_cselect_b32 s9, -1, 0
	s_and_saveexec_b32 s11, s2
	s_cbranch_execz .LBB112_9
; %bb.7:
	v_mov_b32_e32 v1, 0
	s_andn2_b32 vcc_lo, exec_lo, s1
	ds_write_b32 v7, v1
	s_cbranch_vccnz .LBB112_9
; %bb.8:
	ds_write_b32 v7, v1 offset:128
.LBB112_9:
	s_or_b32 exec_lo, exec_lo, s11
	v_mov_b32_e32 v8, 0
	v_mov_b32_e32 v4, 0
	;; [unrolled: 1-line block ×3, first 2 shown]
	s_and_b32 s10, exec_lo, s10
	s_cselect_b32 s11, s8, 0
	s_mov_b32 s10, 0
	s_mov_b32 s8, exec_lo
	s_waitcnt lgkmcnt(0)
	s_barrier
	buffer_gl0_inv
	v_cmpx_gt_i32_e64 s36, v0
	s_cbranch_execz .LBB112_16
; %bb.10:
	s_mul_hi_u32 s23, s23, s11
	s_mul_i32 s3, s3, s20
	s_add_i32 s23, s11, s23
	s_mul_i32 s16, s16, s6
	s_lshr_b32 s20, s23, s31
	s_ashr_i32 s31, s16, 31
	s_mul_hi_i32 s23, s20, s28
	s_mul_i32 s20, s20, s28
	s_ashr_i32 s28, s3, 31
	s_add_u32 s16, s20, s16
	s_addc_u32 s23, s23, s31
	s_mul_i32 s20, s17, s21
	s_add_u32 s16, s16, s3
	s_addc_u32 s17, s23, s28
	s_ashr_i32 s21, s20, 31
	s_and_b32 s3, s1, exec_lo
	s_cselect_b32 s35, s17, 0
	s_cselect_b32 s34, s16, 0
	v_lshlrev_b32_e32 v5, 2, v0
	s_cselect_b32 s3, s25, 0
	s_cselect_b32 s23, s24, 0
	s_lshl_b64 s[24:25], s[34:35], 1
	v_lshlrev_b32_e32 v3, 3, v0
	s_add_u32 s23, s23, s24
	s_addc_u32 s3, s3, s25
	s_mul_hi_i32 s25, s11, s29
	s_mul_i32 s24, s11, s29
	v_add_co_u32 v1, s23, s23, v5
	s_lshl_b64 s[20:21], s[20:21], 2
	s_lshl_b64 s[24:25], s[24:25], 2
	v_add_co_ci_u32_e64 v2, null, s3, 0, s23
	s_add_u32 s3, s14, s20
	s_addc_u32 s14, s15, s21
	s_add_u32 s3, s3, s24
	s_addc_u32 s14, s14, s25
	v_add_co_u32 v3, s3, s3, v3
	v_add_co_ci_u32_e64 v4, null, s14, 0, s3
	s_lshl_b64 s[14:15], s[16:17], 1
	v_add_co_u32 v3, vcc_lo, v3, 4
	s_add_u32 s3, s12, s14
	s_addc_u32 s12, s13, s15
	v_add_co_u32 v5, s3, s3, v5
	v_add_co_ci_u32_e64 v4, null, 0, v4, vcc_lo
	v_add_co_ci_u32_e64 v6, null, s12, 0, s3
	v_mov_b32_e32 v8, 0
	v_mov_b32_e32 v10, v0
	;; [unrolled: 1-line block ×3, first 2 shown]
	s_inst_prefetch 0x1
	s_branch .LBB112_13
	.p2align	6
.LBB112_11:                             ;   in Loop: Header=BB112_13 Depth=1
	global_load_dword v12, v[1:2], off
.LBB112_12:                             ;   in Loop: Header=BB112_13 Depth=1
	global_load_dwordx2 v[13:14], v[3:4], off offset:-4
	v_add_nc_u32_e32 v10, 0xa0, v10
	v_add_co_u32 v1, vcc_lo, 0x280, v1
	v_add_co_ci_u32_e64 v2, null, 0, v2, vcc_lo
	v_add_co_u32 v3, vcc_lo, 0x500, v3
	v_add_co_ci_u32_e64 v4, null, 0, v4, vcc_lo
	v_cmp_le_i32_e32 vcc_lo, s36, v10
	v_add_co_u32 v5, s3, 0x280, v5
	v_add_co_ci_u32_e64 v6, null, 0, v6, s3
	s_or_b32 s10, vcc_lo, s10
	s_waitcnt vmcnt(0)
	v_cvt_f16_f32_e32 v13, v13
	v_cvt_f16_f32_e32 v14, v14
	v_pack_b32_f16 v13, v13, v14
	v_pk_fma_f16 v12, v12, v13, v9
	v_pk_fma_f16 v8, v11, v13, v8
	v_cndmask_b32_e64 v9, v9, v12, s1
	s_andn2_b32 exec_lo, exec_lo, s10
	s_cbranch_execz .LBB112_15
.LBB112_13:                             ; =>This Inner Loop Header: Depth=1
	global_load_dword v11, v[5:6], off
	s_andn2_b32 vcc_lo, exec_lo, s1
	s_cbranch_vccz .LBB112_11
; %bb.14:                               ;   in Loop: Header=BB112_13 Depth=1
	v_mov_b32_e32 v12, 0
	s_branch .LBB112_12
.LBB112_15:
	s_inst_prefetch 0x2
	s_or_b32 exec_lo, exec_lo, s10
	v_cvt_f32_f16_sdwa v4, v9 dst_sel:DWORD dst_unused:UNUSED_PAD src0_sel:WORD_1
	v_cvt_f32_f16_e32 v5, v9
.LBB112_16:
	s_or_b32 exec_lo, exec_lo, s8
	v_mbcnt_lo_u32_b32 v1, -1, 0
	v_cvt_f32_f16_e32 v3, v8
	v_cvt_f32_f16_sdwa v6, v8 dst_sel:DWORD dst_unused:UNUSED_PAD src0_sel:WORD_1
	s_load_dword s10, s[4:5], 0x30
	s_mov_b32 s3, -1
	v_xor_b32_e32 v2, 16, v1
	v_add_f32_e32 v8, v3, v6
	v_xor_b32_e32 v6, 8, v1
	v_cmp_gt_i32_e32 vcc_lo, 32, v2
	v_cndmask_b32_e32 v2, v1, v2, vcc_lo
	v_cmp_gt_i32_e32 vcc_lo, 32, v6
	v_lshlrev_b32_e32 v3, 2, v2
	v_cndmask_b32_e32 v6, v1, v6, vcc_lo
	ds_bpermute_b32 v2, v3, v8
	v_lshlrev_b32_e32 v6, 2, v6
	s_waitcnt lgkmcnt(0)
	v_add_f32_e32 v2, v8, v2
	v_xor_b32_e32 v8, 4, v1
	ds_bpermute_b32 v9, v6, v2
	v_cmp_gt_i32_e32 vcc_lo, 32, v8
	v_cndmask_b32_e32 v8, v1, v8, vcc_lo
	v_lshlrev_b32_e32 v8, 2, v8
	s_waitcnt lgkmcnt(0)
	v_add_f32_e32 v2, v2, v9
	v_xor_b32_e32 v9, 2, v1
	ds_bpermute_b32 v10, v8, v2
	v_cmp_gt_i32_e32 vcc_lo, 32, v9
	v_cndmask_b32_e32 v9, v1, v9, vcc_lo
	v_lshlrev_b32_e32 v9, 2, v9
	s_waitcnt lgkmcnt(0)
	v_add_f32_e32 v2, v2, v10
	v_xor_b32_e32 v10, 1, v1
	ds_bpermute_b32 v11, v9, v2
	v_cmp_gt_i32_e32 vcc_lo, 32, v10
	v_cndmask_b32_e32 v1, v1, v10, vcc_lo
	s_and_b32 vcc_lo, exec_lo, s9
	v_lshlrev_b32_e32 v10, 2, v1
	s_waitcnt lgkmcnt(0)
	v_add_f32_e32 v1, v2, v11
	v_lshrrev_b32_e32 v11, 5, v0
	ds_bpermute_b32 v2, v10, v1
	v_lshl_add_u32 v11, v11, 2, 0
	s_waitcnt lgkmcnt(0)
	v_add_f32_e32 v1, v1, v2
	s_cbranch_vccz .LBB112_18
; %bb.17:
	s_mov_b32 s3, 0
	ds_write_b32 v11, v1
.LBB112_18:
	v_mov_b32_e32 v2, 0
	s_andn2_b32 vcc_lo, exec_lo, s3
	s_cbranch_vccnz .LBB112_20
; %bb.19:
	v_add_f32_e32 v2, v5, v4
	ds_bpermute_b32 v4, v3, v2
	s_waitcnt lgkmcnt(0)
	v_add_f32_e32 v2, v2, v4
	ds_bpermute_b32 v4, v6, v2
	s_waitcnt lgkmcnt(0)
	;; [unrolled: 3-line block ×5, first 2 shown]
	v_add_f32_e32 v2, v2, v4
	ds_write2_b32 v11, v1, v2 offset1:32
.LBB112_20:
	s_waitcnt lgkmcnt(0)
	s_barrier
	buffer_gl0_inv
	s_and_saveexec_b32 s3, s2
	s_cbranch_execz .LBB112_24
; %bb.21:
	ds_read_b32 v1, v7
	s_andn2_b32 vcc_lo, exec_lo, s1
	s_waitcnt lgkmcnt(0)
	ds_bpermute_b32 v4, v3, v1
	s_waitcnt lgkmcnt(0)
	v_add_f32_e32 v1, v1, v4
	ds_bpermute_b32 v4, v6, v1
	s_waitcnt lgkmcnt(0)
	v_add_f32_e32 v1, v1, v4
	;; [unrolled: 3-line block ×4, first 2 shown]
	ds_bpermute_b32 v4, v10, v1
	s_cbranch_vccnz .LBB112_23
; %bb.22:
	ds_read_b32 v2, v7 offset:128
	s_waitcnt lgkmcnt(0)
	ds_bpermute_b32 v3, v3, v2
	s_waitcnt lgkmcnt(0)
	v_add_f32_e32 v2, v2, v3
	ds_bpermute_b32 v3, v6, v2
	s_waitcnt lgkmcnt(0)
	v_add_f32_e32 v2, v2, v3
	;; [unrolled: 3-line block ×5, first 2 shown]
.LBB112_23:
	s_waitcnt lgkmcnt(0)
	v_add_f32_e32 v1, v1, v4
.LBB112_24:
	s_or_b32 exec_lo, exec_lo, s3
	s_barrier
	buffer_gl0_inv
	s_mov_b32 s2, exec_lo
	v_cmpx_eq_u32_e32 0, v0
	s_cbranch_execz .LBB112_48
; %bb.25:
	s_cmp_eq_u64 s[18:19], 0
	s_mul_i32 s8, s7, s22
	s_cselect_b32 s2, -1, 0
	s_ashr_i32 s9, s8, 31
	s_mul_hi_i32 s3, s30, s11
	s_and_b32 vcc_lo, exec_lo, s2
	s_mul_i32 s2, s30, s11
	s_cbranch_vccnz .LBB112_27
; %bb.26:
	s_cselect_b32 s7, 0, s19
	s_cselect_b32 s11, 0, s18
	s_lshl_b64 s[12:13], s[2:3], 2
	s_add_u32 s11, s11, s12
	s_addc_u32 s7, s7, s13
	s_lshl_b64 s[12:13], s[8:9], 2
	s_add_u32 s11, s11, s12
	s_addc_u32 s14, s7, s13
	s_ashr_i32 s7, s6, 31
	s_lshl_b64 s[12:13], s[6:7], 2
	s_add_u32 s12, s11, s12
	s_addc_u32 s13, s14, s13
	s_load_dword s7, s[12:13], 0x0
	s_waitcnt lgkmcnt(0)
	v_add_f32_e32 v1, s7, v1
.LBB112_27:
	s_andn2_b32 vcc_lo, exec_lo, s1
	s_cbranch_vccnz .LBB112_47
; %bb.28:
	s_cmp_lg_u64 s[26:27], 0
	s_cselect_b32 s7, -1, 0
	s_and_b32 s1, s7, s1
	s_andn2_b32 vcc_lo, exec_lo, s1
	s_cbranch_vccnz .LBB112_30
; %bb.29:
	s_and_b32 s1, s7, exec_lo
	s_cselect_b32 s1, s27, 0
	s_cselect_b32 s7, s26, 0
	s_lshl_b64 s[12:13], s[2:3], 2
	s_add_u32 s7, s7, s12
	s_addc_u32 s1, s1, s13
	s_lshl_b64 s[8:9], s[8:9], 2
	s_add_u32 s11, s7, s8
	s_addc_u32 s1, s1, s9
	s_ashr_i32 s7, s6, 31
	s_lshl_b64 s[8:9], s[6:7], 2
	s_add_u32 s8, s11, s8
	s_addc_u32 s9, s1, s9
	s_load_dword s1, s[8:9], 0x0
	s_waitcnt lgkmcnt(0)
	v_add_f32_e32 v2, s1, v2
.LBB112_30:
	s_cmp_lt_i32 s10, 2
	s_cbranch_scc1 .LBB112_35
; %bb.31:
	s_cmp_lt_i32 s10, 3
	s_cbranch_scc1 .LBB112_36
; %bb.32:
	v_mov_b32_e32 v0, v1
	s_cmp_eq_u32 s10, 3
	s_cbranch_scc0 .LBB112_34
; %bb.33:
	v_max_f32_e32 v0, v2, v2
	v_min_f32_e32 v0, 0x40e00000, v0
	v_mul_f32_e32 v3, 0xbfd9db23, v0
	v_mul_f32_e32 v4, 0x3fb8aa3b, v3
	v_cmp_ngt_f32_e32 vcc_lo, 0xc2ce8ed0, v3
	v_fma_f32 v5, 0x3fb8aa3b, v3, -v4
	v_rndne_f32_e32 v6, v4
	v_fmamk_f32 v5, v3, 0x32a5705f, v5
	v_sub_f32_e32 v4, v4, v6
	v_add_f32_e32 v4, v4, v5
	v_cvt_i32_f32_e32 v5, v6
	v_exp_f32_e32 v4, v4
	v_ldexp_f32 v4, v4, v5
	v_cndmask_b32_e32 v4, 0, v4, vcc_lo
	v_cmp_nlt_f32_e32 vcc_lo, 0x42b17218, v3
	v_cndmask_b32_e32 v3, 0x7f800000, v4, vcc_lo
	v_add_f32_e32 v3, 1.0, v3
	v_div_scale_f32 v4, null, v3, v3, v0
	v_div_scale_f32 v7, vcc_lo, v0, v3, v0
	v_rcp_f32_e32 v5, v4
	v_fma_f32 v6, -v4, v5, 1.0
	v_fmac_f32_e32 v5, v6, v5
	v_mul_f32_e32 v6, v7, v5
	v_fma_f32 v8, -v4, v6, v7
	v_fmac_f32_e32 v6, v8, v5
	v_max_f32_e32 v8, v1, v1
	v_fma_f32 v4, -v4, v6, v7
	v_min_f32_e32 v7, 0x40e00000, v8
	v_div_fmas_f32 v4, v4, v5, v6
	v_max_f32_e32 v5, 0xc0e00000, v7
	v_div_fixup_f32 v0, v4, v3, v0
	v_add_f32_e32 v3, 1.0, v5
	v_mul_f32_e32 v0, v3, v0
.LBB112_34:
	s_cbranch_execz .LBB112_37
	s_branch .LBB112_38
.LBB112_35:
                                        ; implicit-def: $vgpr0
	s_branch .LBB112_39
.LBB112_36:
                                        ; implicit-def: $vgpr0
.LBB112_37:
	v_mul_f32_e32 v0, 0xbfb8aa3b, v2
	v_cmp_nlt_f32_e32 vcc_lo, 0x42ce8ed0, v2
	v_rndne_f32_e32 v3, v0
	v_fma_f32 v4, 0xbfb8aa3b, v2, -v0
	v_sub_f32_e32 v0, v0, v3
	v_fmamk_f32 v4, v2, 0xb2a5705f, v4
	v_cvt_i32_f32_e32 v3, v3
	v_add_f32_e32 v0, v0, v4
	v_exp_f32_e32 v0, v0
	v_ldexp_f32 v0, v0, v3
	v_cndmask_b32_e32 v0, 0, v0, vcc_lo
	v_cmp_ngt_f32_e32 vcc_lo, 0xc2b17218, v2
	v_cndmask_b32_e32 v0, 0x7f800000, v0, vcc_lo
	v_add_f32_e32 v0, 1.0, v0
	v_div_scale_f32 v3, null, v0, v0, v2
	v_rcp_f32_e32 v4, v3
	v_fma_f32 v5, -v3, v4, 1.0
	v_fmac_f32_e32 v4, v5, v4
	v_div_scale_f32 v5, vcc_lo, v2, v0, v2
	v_mul_f32_e32 v6, v5, v4
	v_fma_f32 v7, -v3, v6, v5
	v_fmac_f32_e32 v6, v7, v4
	v_fma_f32 v3, -v3, v6, v5
	v_div_fmas_f32 v3, v3, v4, v6
	v_div_fixup_f32 v0, v3, v0, v2
	v_mul_f32_e32 v0, v1, v0
.LBB112_38:
	s_cbranch_execnz .LBB112_46
.LBB112_39:
	s_cmp_eq_u32 s10, 1
	s_cbranch_scc0 .LBB112_45
; %bb.40:
	v_mul_f32_e32 v0, 0x3d372713, v2
	v_mul_f32_e32 v3, 0x3f4c422a, v2
	v_fma_f32 v0, v2, v0, 1.0
	v_mul_f32_e32 v0, v3, v0
                                        ; implicit-def: $vgpr3
	v_cmp_ngt_f32_e64 s1, 0x3f200000, |v0|
	s_and_saveexec_b32 s7, s1
	s_xor_b32 s1, exec_lo, s7
	s_cbranch_execz .LBB112_42
; %bb.41:
	v_add_f32_e64 v3, |v0|, |v0|
	v_mul_f32_e32 v4, 0x3fb8aa3b, v3
	v_cmp_ngt_f32_e32 vcc_lo, 0xc2ce8ed0, v3
	v_rndne_f32_e32 v5, v4
	v_fma_f32 v6, 0x3fb8aa3b, v3, -v4
	v_sub_f32_e32 v4, v4, v5
	v_fmamk_f32 v6, v3, 0x32a5705f, v6
	v_cvt_i32_f32_e32 v5, v5
	v_add_f32_e32 v4, v4, v6
	v_exp_f32_e32 v4, v4
	v_ldexp_f32 v4, v4, v5
	v_cndmask_b32_e32 v4, 0, v4, vcc_lo
	v_cmp_nlt_f32_e32 vcc_lo, 0x42b17218, v3
	v_cndmask_b32_e32 v3, 0x7f800000, v4, vcc_lo
	v_add_f32_e32 v3, 1.0, v3
	v_rcp_f32_e32 v3, v3
	v_fma_f32 v3, v3, -2.0, 1.0
.LBB112_42:
	s_andn2_saveexec_b32 s1, s1
	s_cbranch_execz .LBB112_44
; %bb.43:
	v_mul_f32_e32 v3, v0, v0
	s_mov_b32 s7, 0xbbbac73d
	v_fmaak_f32 v4, s7, v3, 0x3ca908c9
	v_fmaak_f32 v4, v3, v4, 0xbd5c1c4e
	;; [unrolled: 1-line block ×4, first 2 shown]
	v_mul_f32_e64 v4, |v0|, v4
	v_fma_f32 v3, v3, v4, |v0|
.LBB112_44:
	s_or_b32 exec_lo, exec_lo, s1
	v_bfi_b32 v0, 0x7fffffff, v3, v0
	v_mul_f32_e32 v2, 0.5, v2
	v_add_f32_e32 v0, 1.0, v0
	v_mul_f32_e32 v0, v2, v0
	v_mul_f32_e32 v1, v1, v0
.LBB112_45:
	v_mov_b32_e32 v0, v1
.LBB112_46:
	v_mov_b32_e32 v1, v0
.LBB112_47:
	s_load_dwordx2 s[4:5], s[4:5], 0x38
	s_mul_i32 s0, s22, s0
	s_lshl_b64 s[2:3], s[2:3], 2
	s_ashr_i32 s1, s0, 31
	v_mov_b32_e32 v0, 0
	s_waitcnt lgkmcnt(0)
	s_add_u32 s2, s4, s2
	s_addc_u32 s3, s5, s3
	s_lshl_b64 s[0:1], s[0:1], 2
	s_add_u32 s2, s2, s0
	s_addc_u32 s3, s3, s1
	s_ashr_i32 s7, s6, 31
	s_lshl_b64 s[0:1], s[6:7], 2
	s_add_u32 s0, s2, s0
	s_addc_u32 s1, s3, s1
	global_store_dword v0, v1, s[0:1]
.LBB112_48:
	s_endpgm
	.section	.rodata,"a",@progbits
	.p2align	6, 0x0
	.amdhsa_kernel _ZL13mul_mat_vec_fI6__halfS0_Li1ELi160ELb1ELb0EEvPKT_PKfPKi31ggml_cuda_mm_fusion_args_devicePfi15HIP_vector_typeIjLj3EEiiiSB_iiiSB_iiii
		.amdhsa_group_segment_fixed_size 0
		.amdhsa_private_segment_fixed_size 0
		.amdhsa_kernarg_size 144
		.amdhsa_user_sgpr_count 6
		.amdhsa_user_sgpr_private_segment_buffer 1
		.amdhsa_user_sgpr_dispatch_ptr 0
		.amdhsa_user_sgpr_queue_ptr 0
		.amdhsa_user_sgpr_kernarg_segment_ptr 1
		.amdhsa_user_sgpr_dispatch_id 0
		.amdhsa_user_sgpr_flat_scratch_init 0
		.amdhsa_user_sgpr_private_segment_size 0
		.amdhsa_wavefront_size32 1
		.amdhsa_uses_dynamic_stack 0
		.amdhsa_system_sgpr_private_segment_wavefront_offset 0
		.amdhsa_system_sgpr_workgroup_id_x 1
		.amdhsa_system_sgpr_workgroup_id_y 1
		.amdhsa_system_sgpr_workgroup_id_z 1
		.amdhsa_system_sgpr_workgroup_info 0
		.amdhsa_system_vgpr_workitem_id 0
		.amdhsa_next_free_vgpr 15
		.amdhsa_next_free_sgpr 40
		.amdhsa_reserve_vcc 1
		.amdhsa_reserve_flat_scratch 0
		.amdhsa_float_round_mode_32 0
		.amdhsa_float_round_mode_16_64 0
		.amdhsa_float_denorm_mode_32 3
		.amdhsa_float_denorm_mode_16_64 3
		.amdhsa_dx10_clamp 1
		.amdhsa_ieee_mode 1
		.amdhsa_fp16_overflow 0
		.amdhsa_workgroup_processor_mode 1
		.amdhsa_memory_ordered 1
		.amdhsa_forward_progress 1
		.amdhsa_shared_vgpr_count 0
		.amdhsa_exception_fp_ieee_invalid_op 0
		.amdhsa_exception_fp_denorm_src 0
		.amdhsa_exception_fp_ieee_div_zero 0
		.amdhsa_exception_fp_ieee_overflow 0
		.amdhsa_exception_fp_ieee_underflow 0
		.amdhsa_exception_fp_ieee_inexact 0
		.amdhsa_exception_int_div_zero 0
	.end_amdhsa_kernel
	.section	.text._ZL13mul_mat_vec_fI6__halfS0_Li1ELi160ELb1ELb0EEvPKT_PKfPKi31ggml_cuda_mm_fusion_args_devicePfi15HIP_vector_typeIjLj3EEiiiSB_iiiSB_iiii,"axG",@progbits,_ZL13mul_mat_vec_fI6__halfS0_Li1ELi160ELb1ELb0EEvPKT_PKfPKi31ggml_cuda_mm_fusion_args_devicePfi15HIP_vector_typeIjLj3EEiiiSB_iiiSB_iiii,comdat
.Lfunc_end112:
	.size	_ZL13mul_mat_vec_fI6__halfS0_Li1ELi160ELb1ELb0EEvPKT_PKfPKi31ggml_cuda_mm_fusion_args_devicePfi15HIP_vector_typeIjLj3EEiiiSB_iiiSB_iiii, .Lfunc_end112-_ZL13mul_mat_vec_fI6__halfS0_Li1ELi160ELb1ELb0EEvPKT_PKfPKi31ggml_cuda_mm_fusion_args_devicePfi15HIP_vector_typeIjLj3EEiiiSB_iiiSB_iiii
                                        ; -- End function
	.set _ZL13mul_mat_vec_fI6__halfS0_Li1ELi160ELb1ELb0EEvPKT_PKfPKi31ggml_cuda_mm_fusion_args_devicePfi15HIP_vector_typeIjLj3EEiiiSB_iiiSB_iiii.num_vgpr, 15
	.set _ZL13mul_mat_vec_fI6__halfS0_Li1ELi160ELb1ELb0EEvPKT_PKfPKi31ggml_cuda_mm_fusion_args_devicePfi15HIP_vector_typeIjLj3EEiiiSB_iiiSB_iiii.num_agpr, 0
	.set _ZL13mul_mat_vec_fI6__halfS0_Li1ELi160ELb1ELb0EEvPKT_PKfPKi31ggml_cuda_mm_fusion_args_devicePfi15HIP_vector_typeIjLj3EEiiiSB_iiiSB_iiii.numbered_sgpr, 40
	.set _ZL13mul_mat_vec_fI6__halfS0_Li1ELi160ELb1ELb0EEvPKT_PKfPKi31ggml_cuda_mm_fusion_args_devicePfi15HIP_vector_typeIjLj3EEiiiSB_iiiSB_iiii.num_named_barrier, 0
	.set _ZL13mul_mat_vec_fI6__halfS0_Li1ELi160ELb1ELb0EEvPKT_PKfPKi31ggml_cuda_mm_fusion_args_devicePfi15HIP_vector_typeIjLj3EEiiiSB_iiiSB_iiii.private_seg_size, 0
	.set _ZL13mul_mat_vec_fI6__halfS0_Li1ELi160ELb1ELb0EEvPKT_PKfPKi31ggml_cuda_mm_fusion_args_devicePfi15HIP_vector_typeIjLj3EEiiiSB_iiiSB_iiii.uses_vcc, 1
	.set _ZL13mul_mat_vec_fI6__halfS0_Li1ELi160ELb1ELb0EEvPKT_PKfPKi31ggml_cuda_mm_fusion_args_devicePfi15HIP_vector_typeIjLj3EEiiiSB_iiiSB_iiii.uses_flat_scratch, 0
	.set _ZL13mul_mat_vec_fI6__halfS0_Li1ELi160ELb1ELb0EEvPKT_PKfPKi31ggml_cuda_mm_fusion_args_devicePfi15HIP_vector_typeIjLj3EEiiiSB_iiiSB_iiii.has_dyn_sized_stack, 0
	.set _ZL13mul_mat_vec_fI6__halfS0_Li1ELi160ELb1ELb0EEvPKT_PKfPKi31ggml_cuda_mm_fusion_args_devicePfi15HIP_vector_typeIjLj3EEiiiSB_iiiSB_iiii.has_recursion, 0
	.set _ZL13mul_mat_vec_fI6__halfS0_Li1ELi160ELb1ELb0EEvPKT_PKfPKi31ggml_cuda_mm_fusion_args_devicePfi15HIP_vector_typeIjLj3EEiiiSB_iiiSB_iiii.has_indirect_call, 0
	.section	.AMDGPU.csdata,"",@progbits
; Kernel info:
; codeLenInByte = 2304
; TotalNumSgprs: 42
; NumVgprs: 15
; ScratchSize: 0
; MemoryBound: 0
; FloatMode: 240
; IeeeMode: 1
; LDSByteSize: 0 bytes/workgroup (compile time only)
; SGPRBlocks: 0
; VGPRBlocks: 1
; NumSGPRsForWavesPerEU: 42
; NumVGPRsForWavesPerEU: 15
; Occupancy: 16
; WaveLimiterHint : 1
; COMPUTE_PGM_RSRC2:SCRATCH_EN: 0
; COMPUTE_PGM_RSRC2:USER_SGPR: 6
; COMPUTE_PGM_RSRC2:TRAP_HANDLER: 0
; COMPUTE_PGM_RSRC2:TGID_X_EN: 1
; COMPUTE_PGM_RSRC2:TGID_Y_EN: 1
; COMPUTE_PGM_RSRC2:TGID_Z_EN: 1
; COMPUTE_PGM_RSRC2:TIDIG_COMP_CNT: 0
	.section	.text._ZL13mul_mat_vec_fI6__halfS0_Li1ELi160ELb0ELb0EEvPKT_PKfPKi31ggml_cuda_mm_fusion_args_devicePfi15HIP_vector_typeIjLj3EEiiiSB_iiiSB_iiii,"axG",@progbits,_ZL13mul_mat_vec_fI6__halfS0_Li1ELi160ELb0ELb0EEvPKT_PKfPKi31ggml_cuda_mm_fusion_args_devicePfi15HIP_vector_typeIjLj3EEiiiSB_iiiSB_iiii,comdat
	.globl	_ZL13mul_mat_vec_fI6__halfS0_Li1ELi160ELb0ELb0EEvPKT_PKfPKi31ggml_cuda_mm_fusion_args_devicePfi15HIP_vector_typeIjLj3EEiiiSB_iiiSB_iiii ; -- Begin function _ZL13mul_mat_vec_fI6__halfS0_Li1ELi160ELb0ELb0EEvPKT_PKfPKi31ggml_cuda_mm_fusion_args_devicePfi15HIP_vector_typeIjLj3EEiiiSB_iiiSB_iiii
	.p2align	8
	.type	_ZL13mul_mat_vec_fI6__halfS0_Li1ELi160ELb0ELb0EEvPKT_PKfPKi31ggml_cuda_mm_fusion_args_devicePfi15HIP_vector_typeIjLj3EEiiiSB_iiiSB_iiii,@function
_ZL13mul_mat_vec_fI6__halfS0_Li1ELi160ELb0ELb0EEvPKT_PKfPKi31ggml_cuda_mm_fusion_args_devicePfi15HIP_vector_typeIjLj3EEiiiSB_iiiSB_iiii: ; @_ZL13mul_mat_vec_fI6__halfS0_Li1ELi160ELb0ELb0EEvPKT_PKfPKi31ggml_cuda_mm_fusion_args_devicePfi15HIP_vector_typeIjLj3EEiiiSB_iiiSB_iiii
; %bb.0:
	s_clause 0x2
	s_load_dwordx2 s[2:3], s[4:5], 0x10
	s_load_dwordx4 s[20:23], s[4:5], 0x40
	s_load_dwordx4 s[12:15], s[4:5], 0x80
	s_waitcnt lgkmcnt(0)
	s_cmp_eq_u64 s[2:3], 0
	s_cselect_b32 s9, -1, 0
	s_cmp_lg_u64 s[2:3], 0
	s_cselect_b32 s10, -1, 0
	s_and_b32 vcc_lo, exec_lo, s9
	s_cbranch_vccnz .LBB113_2
; %bb.1:
	s_mul_i32 s0, s15, s8
	s_mov_b32 s1, 0
	s_add_i32 s0, s0, s7
	s_lshl_b64 s[16:17], s[0:1], 2
	s_add_u32 s2, s2, s16
	s_addc_u32 s3, s3, s17
	s_load_dword s15, s[2:3], 0x0
	s_load_dword s24, s[4:5], 0x50
	s_cbranch_execz .LBB113_3
	s_branch .LBB113_4
.LBB113_2:
                                        ; implicit-def: $sgpr15
	s_load_dword s24, s[4:5], 0x50
.LBB113_3:
	s_load_dwordx2 s[0:1], s[4:5], 0x5c
	s_waitcnt lgkmcnt(0)
	s_mul_hi_u32 s0, s0, s7
	s_add_i32 s0, s7, s0
	s_lshr_b32 s15, s0, s1
.LBB113_4:
	s_load_dwordx4 s[16:19], s[4:5], 0x68
	s_andn2_b32 vcc_lo, exec_lo, s10
	s_mov_b32 s25, s7
	s_cbranch_vccnz .LBB113_6
; %bb.5:
	s_mul_hi_u32 s0, s21, s7
	s_add_i32 s0, s7, s0
	s_lshr_b32 s0, s0, s22
	s_mul_i32 s0, s0, s23
	s_sub_i32 s25, s7, s0
.LBB113_6:
	s_load_dword s1, s[4:5], 0x78
	v_cmp_gt_u32_e32 vcc_lo, 32, v0
	v_lshl_add_u32 v5, v0, 2, 0
	s_and_saveexec_b32 s0, vcc_lo
; %bb.7:
	v_mov_b32_e32 v1, 0
	ds_write_b32 v5, v1
; %bb.8:
	s_or_b32 exec_lo, exec_lo, s0
	v_mov_b32_e32 v1, 0
	v_mov_b32_e32 v2, 0
	s_and_b32 s0, exec_lo, s9
	s_cselect_b32 s2, s8, 0
	s_mov_b32 s3, exec_lo
	s_waitcnt lgkmcnt(0)
	s_barrier
	buffer_gl0_inv
	v_cmpx_gt_i32_e64 s20, v0
	s_cbranch_execz .LBB113_12
; %bb.9:
	s_load_dwordx4 s[8:11], s[4:5], 0x0
	s_mul_hi_u32 s0, s19, s2
	s_mul_i32 s22, s24, s6
	s_mul_i32 s24, s25, s17
	s_add_i32 s0, s2, s0
	s_ashr_i32 s25, s24, 31
	s_mul_i32 s16, s15, s16
	s_mul_hi_i32 s27, s2, s13
	s_mul_i32 s26, s2, s13
	s_lshr_b32 s15, s0, s1
	s_lshl_b64 s[0:1], s[24:25], 2
	v_lshlrev_b32_e32 v1, 3, v0
	s_ashr_i32 s17, s16, 31
	s_ashr_i32 s23, s22, 31
	s_lshl_b64 s[26:27], s[26:27], 2
	s_mul_hi_i32 s13, s15, s12
	s_mul_i32 s12, s15, s12
	v_lshlrev_b32_e32 v3, 2, v0
	v_mov_b32_e32 v6, 0
	v_mov_b32_e32 v7, v0
	s_waitcnt lgkmcnt(0)
	s_add_u32 s0, s10, s0
	s_addc_u32 s1, s11, s1
	s_add_u32 s0, s0, s26
	s_addc_u32 s1, s1, s27
	v_add_co_u32 v1, s0, s0, v1
	v_add_co_ci_u32_e64 v2, null, s1, 0, s0
	s_lshl_b64 s[10:11], s[12:13], 1
	v_add_co_u32 v1, s0, v1, 4
	v_add_co_ci_u32_e64 v2, null, 0, v2, s0
	s_lshl_b64 s[0:1], s[16:17], 1
	s_lshl_b64 s[12:13], s[22:23], 1
	s_add_u32 s0, s8, s0
	s_addc_u32 s1, s9, s1
	s_add_u32 s0, s0, s12
	s_addc_u32 s1, s1, s13
	s_add_u32 s0, s0, s10
	s_addc_u32 s1, s1, s11
	v_add_co_u32 v3, s0, s0, v3
	v_add_co_ci_u32_e64 v4, null, s1, 0, s0
	s_mov_b32 s8, 0
	.p2align	6
.LBB113_10:                             ; =>This Inner Loop Header: Depth=1
	global_load_dwordx2 v[8:9], v[1:2], off offset:-4
	global_load_dword v10, v[3:4], off
	v_add_nc_u32_e32 v7, 0xa0, v7
	v_add_co_u32 v1, s0, 0x500, v1
	v_add_co_ci_u32_e64 v2, null, 0, v2, s0
	v_add_co_u32 v3, s0, 0x280, v3
	v_cmp_le_i32_e64 s1, s20, v7
	v_add_co_ci_u32_e64 v4, null, 0, v4, s0
	s_or_b32 s8, s1, s8
	s_waitcnt vmcnt(1)
	v_cvt_f16_f32_e32 v8, v8
	v_cvt_f16_f32_e32 v9, v9
	v_pack_b32_f16 v8, v8, v9
	s_waitcnt vmcnt(0)
	v_pk_fma_f16 v6, v10, v8, v6
	s_andn2_b32 exec_lo, exec_lo, s8
	s_cbranch_execnz .LBB113_10
; %bb.11:
	s_or_b32 exec_lo, exec_lo, s8
	v_cvt_f32_f16_sdwa v1, v6 dst_sel:DWORD dst_unused:UNUSED_PAD src0_sel:WORD_1
	v_cvt_f32_f16_e32 v2, v6
.LBB113_12:
	s_or_b32 exec_lo, exec_lo, s3
	v_mbcnt_lo_u32_b32 v7, -1, 0
	v_add_f32_e32 v2, v2, v1
	v_xor_b32_e32 v3, 16, v7
	v_xor_b32_e32 v9, 1, v7
	v_cmp_gt_i32_e64 s0, 32, v3
	v_cndmask_b32_e64 v3, v7, v3, s0
	v_lshlrev_b32_e32 v1, 2, v3
	v_xor_b32_e32 v3, 8, v7
	ds_bpermute_b32 v4, v1, v2
	v_cmp_gt_i32_e64 s0, 32, v3
	v_cndmask_b32_e64 v3, v7, v3, s0
	v_lshlrev_b32_e32 v3, 2, v3
	s_waitcnt lgkmcnt(0)
	v_add_f32_e32 v2, v2, v4
	v_xor_b32_e32 v4, 4, v7
	ds_bpermute_b32 v6, v3, v2
	v_cmp_gt_i32_e64 s0, 32, v4
	v_cndmask_b32_e64 v4, v7, v4, s0
	v_lshlrev_b32_e32 v4, 2, v4
	s_waitcnt lgkmcnt(0)
	v_add_f32_e32 v2, v2, v6
	v_xor_b32_e32 v6, 2, v7
	ds_bpermute_b32 v8, v4, v2
	v_cmp_gt_i32_e64 s0, 32, v6
	v_cndmask_b32_e64 v6, v7, v6, s0
	v_cmp_gt_i32_e64 s0, 32, v9
	v_lshlrev_b32_e32 v6, 2, v6
	v_cndmask_b32_e64 v7, v7, v9, s0
	v_lshrrev_b32_e32 v9, 3, v0
	v_lshlrev_b32_e32 v7, 2, v7
	v_and_b32_e32 v9, 0x7c, v9
	s_waitcnt lgkmcnt(0)
	v_add_f32_e32 v2, v2, v8
	v_add_nc_u32_e32 v9, 0, v9
	ds_bpermute_b32 v8, v6, v2
	s_waitcnt lgkmcnt(0)
	v_add_f32_e32 v2, v2, v8
	ds_bpermute_b32 v8, v7, v2
	s_waitcnt lgkmcnt(0)
	v_add_f32_e32 v2, v2, v8
	ds_write_b32 v9, v2
	s_waitcnt lgkmcnt(0)
	s_barrier
	buffer_gl0_inv
	s_and_saveexec_b32 s0, vcc_lo
	s_cbranch_execz .LBB113_14
; %bb.13:
	ds_read_b32 v2, v5
	s_waitcnt lgkmcnt(0)
	ds_bpermute_b32 v1, v1, v2
	s_waitcnt lgkmcnt(0)
	v_add_f32_e32 v1, v2, v1
	ds_bpermute_b32 v2, v3, v1
	s_waitcnt lgkmcnt(0)
	v_add_f32_e32 v1, v1, v2
	;; [unrolled: 3-line block ×5, first 2 shown]
.LBB113_14:
	s_or_b32 exec_lo, exec_lo, s0
	s_barrier
	buffer_gl0_inv
	s_mov_b32 s0, exec_lo
	v_cmpx_eq_u32_e32 0, v0
	s_cbranch_execz .LBB113_16
; %bb.15:
	s_load_dwordx2 s[0:1], s[4:5], 0x38
	s_mul_hi_i32 s3, s14, s2
	s_mul_i32 s2, s14, s2
	s_mul_i32 s4, s18, s7
	s_lshl_b64 s[2:3], s[2:3], 2
	s_ashr_i32 s5, s4, 31
	v_mov_b32_e32 v0, 0
	s_waitcnt lgkmcnt(0)
	s_add_u32 s2, s0, s2
	s_addc_u32 s3, s1, s3
	s_lshl_b64 s[0:1], s[4:5], 2
	s_add_u32 s2, s2, s0
	s_addc_u32 s3, s3, s1
	s_ashr_i32 s7, s6, 31
	s_lshl_b64 s[0:1], s[6:7], 2
	s_add_u32 s0, s2, s0
	s_addc_u32 s1, s3, s1
	global_store_dword v0, v2, s[0:1]
.LBB113_16:
	s_endpgm
	.section	.rodata,"a",@progbits
	.p2align	6, 0x0
	.amdhsa_kernel _ZL13mul_mat_vec_fI6__halfS0_Li1ELi160ELb0ELb0EEvPKT_PKfPKi31ggml_cuda_mm_fusion_args_devicePfi15HIP_vector_typeIjLj3EEiiiSB_iiiSB_iiii
		.amdhsa_group_segment_fixed_size 0
		.amdhsa_private_segment_fixed_size 0
		.amdhsa_kernarg_size 144
		.amdhsa_user_sgpr_count 6
		.amdhsa_user_sgpr_private_segment_buffer 1
		.amdhsa_user_sgpr_dispatch_ptr 0
		.amdhsa_user_sgpr_queue_ptr 0
		.amdhsa_user_sgpr_kernarg_segment_ptr 1
		.amdhsa_user_sgpr_dispatch_id 0
		.amdhsa_user_sgpr_flat_scratch_init 0
		.amdhsa_user_sgpr_private_segment_size 0
		.amdhsa_wavefront_size32 1
		.amdhsa_uses_dynamic_stack 0
		.amdhsa_system_sgpr_private_segment_wavefront_offset 0
		.amdhsa_system_sgpr_workgroup_id_x 1
		.amdhsa_system_sgpr_workgroup_id_y 1
		.amdhsa_system_sgpr_workgroup_id_z 1
		.amdhsa_system_sgpr_workgroup_info 0
		.amdhsa_system_vgpr_workitem_id 0
		.amdhsa_next_free_vgpr 11
		.amdhsa_next_free_sgpr 28
		.amdhsa_reserve_vcc 1
		.amdhsa_reserve_flat_scratch 0
		.amdhsa_float_round_mode_32 0
		.amdhsa_float_round_mode_16_64 0
		.amdhsa_float_denorm_mode_32 3
		.amdhsa_float_denorm_mode_16_64 3
		.amdhsa_dx10_clamp 1
		.amdhsa_ieee_mode 1
		.amdhsa_fp16_overflow 0
		.amdhsa_workgroup_processor_mode 1
		.amdhsa_memory_ordered 1
		.amdhsa_forward_progress 1
		.amdhsa_shared_vgpr_count 0
		.amdhsa_exception_fp_ieee_invalid_op 0
		.amdhsa_exception_fp_denorm_src 0
		.amdhsa_exception_fp_ieee_div_zero 0
		.amdhsa_exception_fp_ieee_overflow 0
		.amdhsa_exception_fp_ieee_underflow 0
		.amdhsa_exception_fp_ieee_inexact 0
		.amdhsa_exception_int_div_zero 0
	.end_amdhsa_kernel
	.section	.text._ZL13mul_mat_vec_fI6__halfS0_Li1ELi160ELb0ELb0EEvPKT_PKfPKi31ggml_cuda_mm_fusion_args_devicePfi15HIP_vector_typeIjLj3EEiiiSB_iiiSB_iiii,"axG",@progbits,_ZL13mul_mat_vec_fI6__halfS0_Li1ELi160ELb0ELb0EEvPKT_PKfPKi31ggml_cuda_mm_fusion_args_devicePfi15HIP_vector_typeIjLj3EEiiiSB_iiiSB_iiii,comdat
.Lfunc_end113:
	.size	_ZL13mul_mat_vec_fI6__halfS0_Li1ELi160ELb0ELb0EEvPKT_PKfPKi31ggml_cuda_mm_fusion_args_devicePfi15HIP_vector_typeIjLj3EEiiiSB_iiiSB_iiii, .Lfunc_end113-_ZL13mul_mat_vec_fI6__halfS0_Li1ELi160ELb0ELb0EEvPKT_PKfPKi31ggml_cuda_mm_fusion_args_devicePfi15HIP_vector_typeIjLj3EEiiiSB_iiiSB_iiii
                                        ; -- End function
	.set _ZL13mul_mat_vec_fI6__halfS0_Li1ELi160ELb0ELb0EEvPKT_PKfPKi31ggml_cuda_mm_fusion_args_devicePfi15HIP_vector_typeIjLj3EEiiiSB_iiiSB_iiii.num_vgpr, 11
	.set _ZL13mul_mat_vec_fI6__halfS0_Li1ELi160ELb0ELb0EEvPKT_PKfPKi31ggml_cuda_mm_fusion_args_devicePfi15HIP_vector_typeIjLj3EEiiiSB_iiiSB_iiii.num_agpr, 0
	.set _ZL13mul_mat_vec_fI6__halfS0_Li1ELi160ELb0ELb0EEvPKT_PKfPKi31ggml_cuda_mm_fusion_args_devicePfi15HIP_vector_typeIjLj3EEiiiSB_iiiSB_iiii.numbered_sgpr, 28
	.set _ZL13mul_mat_vec_fI6__halfS0_Li1ELi160ELb0ELb0EEvPKT_PKfPKi31ggml_cuda_mm_fusion_args_devicePfi15HIP_vector_typeIjLj3EEiiiSB_iiiSB_iiii.num_named_barrier, 0
	.set _ZL13mul_mat_vec_fI6__halfS0_Li1ELi160ELb0ELb0EEvPKT_PKfPKi31ggml_cuda_mm_fusion_args_devicePfi15HIP_vector_typeIjLj3EEiiiSB_iiiSB_iiii.private_seg_size, 0
	.set _ZL13mul_mat_vec_fI6__halfS0_Li1ELi160ELb0ELb0EEvPKT_PKfPKi31ggml_cuda_mm_fusion_args_devicePfi15HIP_vector_typeIjLj3EEiiiSB_iiiSB_iiii.uses_vcc, 1
	.set _ZL13mul_mat_vec_fI6__halfS0_Li1ELi160ELb0ELb0EEvPKT_PKfPKi31ggml_cuda_mm_fusion_args_devicePfi15HIP_vector_typeIjLj3EEiiiSB_iiiSB_iiii.uses_flat_scratch, 0
	.set _ZL13mul_mat_vec_fI6__halfS0_Li1ELi160ELb0ELb0EEvPKT_PKfPKi31ggml_cuda_mm_fusion_args_devicePfi15HIP_vector_typeIjLj3EEiiiSB_iiiSB_iiii.has_dyn_sized_stack, 0
	.set _ZL13mul_mat_vec_fI6__halfS0_Li1ELi160ELb0ELb0EEvPKT_PKfPKi31ggml_cuda_mm_fusion_args_devicePfi15HIP_vector_typeIjLj3EEiiiSB_iiiSB_iiii.has_recursion, 0
	.set _ZL13mul_mat_vec_fI6__halfS0_Li1ELi160ELb0ELb0EEvPKT_PKfPKi31ggml_cuda_mm_fusion_args_devicePfi15HIP_vector_typeIjLj3EEiiiSB_iiiSB_iiii.has_indirect_call, 0
	.section	.AMDGPU.csdata,"",@progbits
; Kernel info:
; codeLenInByte = 1112
; TotalNumSgprs: 30
; NumVgprs: 11
; ScratchSize: 0
; MemoryBound: 0
; FloatMode: 240
; IeeeMode: 1
; LDSByteSize: 0 bytes/workgroup (compile time only)
; SGPRBlocks: 0
; VGPRBlocks: 1
; NumSGPRsForWavesPerEU: 30
; NumVGPRsForWavesPerEU: 11
; Occupancy: 16
; WaveLimiterHint : 0
; COMPUTE_PGM_RSRC2:SCRATCH_EN: 0
; COMPUTE_PGM_RSRC2:USER_SGPR: 6
; COMPUTE_PGM_RSRC2:TRAP_HANDLER: 0
; COMPUTE_PGM_RSRC2:TGID_X_EN: 1
; COMPUTE_PGM_RSRC2:TGID_Y_EN: 1
; COMPUTE_PGM_RSRC2:TGID_Z_EN: 1
; COMPUTE_PGM_RSRC2:TIDIG_COMP_CNT: 0
	.section	.text._ZL13mul_mat_vec_fI6__halfS0_Li1ELi192ELb1ELb0EEvPKT_PKfPKi31ggml_cuda_mm_fusion_args_devicePfi15HIP_vector_typeIjLj3EEiiiSB_iiiSB_iiii,"axG",@progbits,_ZL13mul_mat_vec_fI6__halfS0_Li1ELi192ELb1ELb0EEvPKT_PKfPKi31ggml_cuda_mm_fusion_args_devicePfi15HIP_vector_typeIjLj3EEiiiSB_iiiSB_iiii,comdat
	.globl	_ZL13mul_mat_vec_fI6__halfS0_Li1ELi192ELb1ELb0EEvPKT_PKfPKi31ggml_cuda_mm_fusion_args_devicePfi15HIP_vector_typeIjLj3EEiiiSB_iiiSB_iiii ; -- Begin function _ZL13mul_mat_vec_fI6__halfS0_Li1ELi192ELb1ELb0EEvPKT_PKfPKi31ggml_cuda_mm_fusion_args_devicePfi15HIP_vector_typeIjLj3EEiiiSB_iiiSB_iiii
	.p2align	8
	.type	_ZL13mul_mat_vec_fI6__halfS0_Li1ELi192ELb1ELb0EEvPKT_PKfPKi31ggml_cuda_mm_fusion_args_devicePfi15HIP_vector_typeIjLj3EEiiiSB_iiiSB_iiii,@function
_ZL13mul_mat_vec_fI6__halfS0_Li1ELi192ELb1ELb0EEvPKT_PKfPKi31ggml_cuda_mm_fusion_args_devicePfi15HIP_vector_typeIjLj3EEiiiSB_iiiSB_iiii: ; @_ZL13mul_mat_vec_fI6__halfS0_Li1ELi192ELb1ELb0EEvPKT_PKfPKi31ggml_cuda_mm_fusion_args_devicePfi15HIP_vector_typeIjLj3EEiiiSB_iiiSB_iiii
; %bb.0:
	s_clause 0x3
	s_load_dwordx8 s[12:19], s[4:5], 0x0
	s_load_dwordx4 s[24:27], s[4:5], 0x20
	s_load_dwordx4 s[36:39], s[4:5], 0x40
	;; [unrolled: 1-line block ×3, first 2 shown]
	s_mov_b32 s0, s7
	s_waitcnt lgkmcnt(0)
	s_cmp_eq_u64 s[16:17], 0
	s_cselect_b32 s10, -1, 0
	s_cmp_lg_u64 s[16:17], 0
	s_cselect_b32 s1, -1, 0
	s_and_b32 vcc_lo, exec_lo, s10
	s_cbranch_vccnz .LBB114_2
; %bb.1:
	s_mul_i32 s2, s31, s8
	s_mov_b32 s3, 0
	s_add_i32 s2, s2, s0
	s_lshl_b64 s[20:21], s[2:3], 2
	s_add_u32 s16, s16, s20
	s_addc_u32 s17, s17, s21
	s_load_dword s7, s[16:17], 0x0
	s_load_dword s16, s[4:5], 0x50
	s_waitcnt lgkmcnt(0)
	s_mov_b32 s3, s7
	s_cbranch_execz .LBB114_3
	s_branch .LBB114_4
.LBB114_2:
                                        ; implicit-def: $sgpr7
	s_load_dword s16, s[4:5], 0x50
	s_mov_b32 s3, s7
.LBB114_3:
	s_load_dwordx2 s[2:3], s[4:5], 0x5c
	s_mov_b32 s7, s0
	s_waitcnt lgkmcnt(0)
	s_mul_hi_u32 s2, s2, s0
	s_add_i32 s2, s0, s2
	s_lshr_b32 s3, s2, s3
.LBB114_4:
	s_load_dwordx4 s[20:23], s[4:5], 0x68
	s_andn2_b32 vcc_lo, exec_lo, s1
	s_mov_b32 s17, s0
	s_cbranch_vccnz .LBB114_6
; %bb.5:
	s_mul_hi_u32 s1, s37, s0
	s_add_i32 s1, s0, s1
	s_lshr_b32 s1, s1, s38
	s_mul_i32 s1, s1, s39
	s_sub_i32 s17, s0, s1
.LBB114_6:
	s_load_dword s31, s[4:5], 0x78
	s_cmp_lg_u64 s[24:25], 0
	v_cmp_gt_u32_e64 s2, 32, v0
	v_lshl_add_u32 v7, v0, 2, 0
	s_cselect_b32 s1, -1, 0
	s_cmp_eq_u64 s[24:25], 0
	s_cselect_b32 s9, -1, 0
	s_and_saveexec_b32 s11, s2
	s_cbranch_execz .LBB114_9
; %bb.7:
	v_mov_b32_e32 v1, 0
	s_andn2_b32 vcc_lo, exec_lo, s1
	ds_write_b32 v7, v1
	s_cbranch_vccnz .LBB114_9
; %bb.8:
	ds_write_b32 v7, v1 offset:128
.LBB114_9:
	s_or_b32 exec_lo, exec_lo, s11
	v_mov_b32_e32 v8, 0
	v_mov_b32_e32 v4, 0
	;; [unrolled: 1-line block ×3, first 2 shown]
	s_and_b32 s10, exec_lo, s10
	s_cselect_b32 s11, s8, 0
	s_mov_b32 s10, 0
	s_mov_b32 s8, exec_lo
	s_waitcnt lgkmcnt(0)
	s_barrier
	buffer_gl0_inv
	v_cmpx_gt_i32_e64 s36, v0
	s_cbranch_execz .LBB114_16
; %bb.10:
	s_mul_hi_u32 s23, s23, s11
	s_mul_i32 s3, s3, s20
	s_add_i32 s23, s11, s23
	s_mul_i32 s16, s16, s6
	s_lshr_b32 s20, s23, s31
	s_ashr_i32 s31, s16, 31
	s_mul_hi_i32 s23, s20, s28
	s_mul_i32 s20, s20, s28
	s_ashr_i32 s28, s3, 31
	s_add_u32 s16, s20, s16
	s_addc_u32 s23, s23, s31
	s_mul_i32 s20, s17, s21
	s_add_u32 s16, s16, s3
	s_addc_u32 s17, s23, s28
	s_ashr_i32 s21, s20, 31
	s_and_b32 s3, s1, exec_lo
	s_cselect_b32 s35, s17, 0
	s_cselect_b32 s34, s16, 0
	v_lshlrev_b32_e32 v5, 2, v0
	s_cselect_b32 s3, s25, 0
	s_cselect_b32 s23, s24, 0
	s_lshl_b64 s[24:25], s[34:35], 1
	v_lshlrev_b32_e32 v3, 3, v0
	s_add_u32 s23, s23, s24
	s_addc_u32 s3, s3, s25
	s_mul_hi_i32 s25, s11, s29
	s_mul_i32 s24, s11, s29
	v_add_co_u32 v1, s23, s23, v5
	s_lshl_b64 s[20:21], s[20:21], 2
	s_lshl_b64 s[24:25], s[24:25], 2
	v_add_co_ci_u32_e64 v2, null, s3, 0, s23
	s_add_u32 s3, s14, s20
	s_addc_u32 s14, s15, s21
	s_add_u32 s3, s3, s24
	s_addc_u32 s14, s14, s25
	v_add_co_u32 v3, s3, s3, v3
	v_add_co_ci_u32_e64 v4, null, s14, 0, s3
	s_lshl_b64 s[14:15], s[16:17], 1
	v_add_co_u32 v3, vcc_lo, v3, 4
	s_add_u32 s3, s12, s14
	s_addc_u32 s12, s13, s15
	v_add_co_u32 v5, s3, s3, v5
	v_add_co_ci_u32_e64 v4, null, 0, v4, vcc_lo
	v_add_co_ci_u32_e64 v6, null, s12, 0, s3
	v_mov_b32_e32 v8, 0
	v_mov_b32_e32 v10, v0
	;; [unrolled: 1-line block ×3, first 2 shown]
	s_inst_prefetch 0x1
	s_branch .LBB114_13
	.p2align	6
.LBB114_11:                             ;   in Loop: Header=BB114_13 Depth=1
	global_load_dword v12, v[1:2], off
.LBB114_12:                             ;   in Loop: Header=BB114_13 Depth=1
	global_load_dwordx2 v[13:14], v[3:4], off offset:-4
	v_add_nc_u32_e32 v10, 0xc0, v10
	v_add_co_u32 v1, vcc_lo, 0x300, v1
	v_add_co_ci_u32_e64 v2, null, 0, v2, vcc_lo
	v_add_co_u32 v3, vcc_lo, 0x600, v3
	v_add_co_ci_u32_e64 v4, null, 0, v4, vcc_lo
	v_cmp_le_i32_e32 vcc_lo, s36, v10
	v_add_co_u32 v5, s3, 0x300, v5
	v_add_co_ci_u32_e64 v6, null, 0, v6, s3
	s_or_b32 s10, vcc_lo, s10
	s_waitcnt vmcnt(0)
	v_cvt_f16_f32_e32 v13, v13
	v_cvt_f16_f32_e32 v14, v14
	v_pack_b32_f16 v13, v13, v14
	v_pk_fma_f16 v12, v12, v13, v9
	v_pk_fma_f16 v8, v11, v13, v8
	v_cndmask_b32_e64 v9, v9, v12, s1
	s_andn2_b32 exec_lo, exec_lo, s10
	s_cbranch_execz .LBB114_15
.LBB114_13:                             ; =>This Inner Loop Header: Depth=1
	global_load_dword v11, v[5:6], off
	s_andn2_b32 vcc_lo, exec_lo, s1
	s_cbranch_vccz .LBB114_11
; %bb.14:                               ;   in Loop: Header=BB114_13 Depth=1
	v_mov_b32_e32 v12, 0
	s_branch .LBB114_12
.LBB114_15:
	s_inst_prefetch 0x2
	s_or_b32 exec_lo, exec_lo, s10
	v_cvt_f32_f16_sdwa v4, v9 dst_sel:DWORD dst_unused:UNUSED_PAD src0_sel:WORD_1
	v_cvt_f32_f16_e32 v5, v9
.LBB114_16:
	s_or_b32 exec_lo, exec_lo, s8
	v_mbcnt_lo_u32_b32 v1, -1, 0
	v_cvt_f32_f16_e32 v3, v8
	v_cvt_f32_f16_sdwa v6, v8 dst_sel:DWORD dst_unused:UNUSED_PAD src0_sel:WORD_1
	s_load_dword s10, s[4:5], 0x30
	s_mov_b32 s3, -1
	v_xor_b32_e32 v2, 16, v1
	v_add_f32_e32 v8, v3, v6
	v_xor_b32_e32 v6, 8, v1
	v_cmp_gt_i32_e32 vcc_lo, 32, v2
	v_cndmask_b32_e32 v2, v1, v2, vcc_lo
	v_cmp_gt_i32_e32 vcc_lo, 32, v6
	v_lshlrev_b32_e32 v3, 2, v2
	v_cndmask_b32_e32 v6, v1, v6, vcc_lo
	ds_bpermute_b32 v2, v3, v8
	v_lshlrev_b32_e32 v6, 2, v6
	s_waitcnt lgkmcnt(0)
	v_add_f32_e32 v2, v8, v2
	v_xor_b32_e32 v8, 4, v1
	ds_bpermute_b32 v9, v6, v2
	v_cmp_gt_i32_e32 vcc_lo, 32, v8
	v_cndmask_b32_e32 v8, v1, v8, vcc_lo
	v_lshlrev_b32_e32 v8, 2, v8
	s_waitcnt lgkmcnt(0)
	v_add_f32_e32 v2, v2, v9
	v_xor_b32_e32 v9, 2, v1
	ds_bpermute_b32 v10, v8, v2
	v_cmp_gt_i32_e32 vcc_lo, 32, v9
	v_cndmask_b32_e32 v9, v1, v9, vcc_lo
	;; [unrolled: 7-line block ×3, first 2 shown]
	s_and_b32 vcc_lo, exec_lo, s9
	v_lshlrev_b32_e32 v10, 2, v1
	s_waitcnt lgkmcnt(0)
	v_add_f32_e32 v1, v2, v11
	v_lshrrev_b32_e32 v11, 5, v0
	ds_bpermute_b32 v2, v10, v1
	v_lshl_add_u32 v11, v11, 2, 0
	s_waitcnt lgkmcnt(0)
	v_add_f32_e32 v1, v1, v2
	s_cbranch_vccz .LBB114_18
; %bb.17:
	s_mov_b32 s3, 0
	ds_write_b32 v11, v1
.LBB114_18:
	v_mov_b32_e32 v2, 0
	s_andn2_b32 vcc_lo, exec_lo, s3
	s_cbranch_vccnz .LBB114_20
; %bb.19:
	v_add_f32_e32 v2, v5, v4
	ds_bpermute_b32 v4, v3, v2
	s_waitcnt lgkmcnt(0)
	v_add_f32_e32 v2, v2, v4
	ds_bpermute_b32 v4, v6, v2
	s_waitcnt lgkmcnt(0)
	;; [unrolled: 3-line block ×5, first 2 shown]
	v_add_f32_e32 v2, v2, v4
	ds_write2_b32 v11, v1, v2 offset1:32
.LBB114_20:
	s_waitcnt lgkmcnt(0)
	s_barrier
	buffer_gl0_inv
	s_and_saveexec_b32 s3, s2
	s_cbranch_execz .LBB114_24
; %bb.21:
	ds_read_b32 v1, v7
	s_andn2_b32 vcc_lo, exec_lo, s1
	s_waitcnt lgkmcnt(0)
	ds_bpermute_b32 v4, v3, v1
	s_waitcnt lgkmcnt(0)
	v_add_f32_e32 v1, v1, v4
	ds_bpermute_b32 v4, v6, v1
	s_waitcnt lgkmcnt(0)
	v_add_f32_e32 v1, v1, v4
	;; [unrolled: 3-line block ×4, first 2 shown]
	ds_bpermute_b32 v4, v10, v1
	s_cbranch_vccnz .LBB114_23
; %bb.22:
	ds_read_b32 v2, v7 offset:128
	s_waitcnt lgkmcnt(0)
	ds_bpermute_b32 v3, v3, v2
	s_waitcnt lgkmcnt(0)
	v_add_f32_e32 v2, v2, v3
	ds_bpermute_b32 v3, v6, v2
	s_waitcnt lgkmcnt(0)
	v_add_f32_e32 v2, v2, v3
	;; [unrolled: 3-line block ×5, first 2 shown]
.LBB114_23:
	s_waitcnt lgkmcnt(0)
	v_add_f32_e32 v1, v1, v4
.LBB114_24:
	s_or_b32 exec_lo, exec_lo, s3
	s_barrier
	buffer_gl0_inv
	s_mov_b32 s2, exec_lo
	v_cmpx_eq_u32_e32 0, v0
	s_cbranch_execz .LBB114_48
; %bb.25:
	s_cmp_eq_u64 s[18:19], 0
	s_mul_i32 s8, s7, s22
	s_cselect_b32 s2, -1, 0
	s_ashr_i32 s9, s8, 31
	s_mul_hi_i32 s3, s30, s11
	s_and_b32 vcc_lo, exec_lo, s2
	s_mul_i32 s2, s30, s11
	s_cbranch_vccnz .LBB114_27
; %bb.26:
	s_cselect_b32 s7, 0, s19
	s_cselect_b32 s11, 0, s18
	s_lshl_b64 s[12:13], s[2:3], 2
	s_add_u32 s11, s11, s12
	s_addc_u32 s7, s7, s13
	s_lshl_b64 s[12:13], s[8:9], 2
	s_add_u32 s11, s11, s12
	s_addc_u32 s14, s7, s13
	s_ashr_i32 s7, s6, 31
	s_lshl_b64 s[12:13], s[6:7], 2
	s_add_u32 s12, s11, s12
	s_addc_u32 s13, s14, s13
	s_load_dword s7, s[12:13], 0x0
	s_waitcnt lgkmcnt(0)
	v_add_f32_e32 v1, s7, v1
.LBB114_27:
	s_andn2_b32 vcc_lo, exec_lo, s1
	s_cbranch_vccnz .LBB114_47
; %bb.28:
	s_cmp_lg_u64 s[26:27], 0
	s_cselect_b32 s7, -1, 0
	s_and_b32 s1, s7, s1
	s_andn2_b32 vcc_lo, exec_lo, s1
	s_cbranch_vccnz .LBB114_30
; %bb.29:
	s_and_b32 s1, s7, exec_lo
	s_cselect_b32 s1, s27, 0
	s_cselect_b32 s7, s26, 0
	s_lshl_b64 s[12:13], s[2:3], 2
	s_add_u32 s7, s7, s12
	s_addc_u32 s1, s1, s13
	s_lshl_b64 s[8:9], s[8:9], 2
	s_add_u32 s11, s7, s8
	s_addc_u32 s1, s1, s9
	s_ashr_i32 s7, s6, 31
	s_lshl_b64 s[8:9], s[6:7], 2
	s_add_u32 s8, s11, s8
	s_addc_u32 s9, s1, s9
	s_load_dword s1, s[8:9], 0x0
	s_waitcnt lgkmcnt(0)
	v_add_f32_e32 v2, s1, v2
.LBB114_30:
	s_cmp_lt_i32 s10, 2
	s_cbranch_scc1 .LBB114_35
; %bb.31:
	s_cmp_lt_i32 s10, 3
	s_cbranch_scc1 .LBB114_36
; %bb.32:
	v_mov_b32_e32 v0, v1
	s_cmp_eq_u32 s10, 3
	s_cbranch_scc0 .LBB114_34
; %bb.33:
	v_max_f32_e32 v0, v2, v2
	v_min_f32_e32 v0, 0x40e00000, v0
	v_mul_f32_e32 v3, 0xbfd9db23, v0
	v_mul_f32_e32 v4, 0x3fb8aa3b, v3
	v_cmp_ngt_f32_e32 vcc_lo, 0xc2ce8ed0, v3
	v_fma_f32 v5, 0x3fb8aa3b, v3, -v4
	v_rndne_f32_e32 v6, v4
	v_fmamk_f32 v5, v3, 0x32a5705f, v5
	v_sub_f32_e32 v4, v4, v6
	v_add_f32_e32 v4, v4, v5
	v_cvt_i32_f32_e32 v5, v6
	v_exp_f32_e32 v4, v4
	v_ldexp_f32 v4, v4, v5
	v_cndmask_b32_e32 v4, 0, v4, vcc_lo
	v_cmp_nlt_f32_e32 vcc_lo, 0x42b17218, v3
	v_cndmask_b32_e32 v3, 0x7f800000, v4, vcc_lo
	v_add_f32_e32 v3, 1.0, v3
	v_div_scale_f32 v4, null, v3, v3, v0
	v_div_scale_f32 v7, vcc_lo, v0, v3, v0
	v_rcp_f32_e32 v5, v4
	v_fma_f32 v6, -v4, v5, 1.0
	v_fmac_f32_e32 v5, v6, v5
	v_mul_f32_e32 v6, v7, v5
	v_fma_f32 v8, -v4, v6, v7
	v_fmac_f32_e32 v6, v8, v5
	v_max_f32_e32 v8, v1, v1
	v_fma_f32 v4, -v4, v6, v7
	v_min_f32_e32 v7, 0x40e00000, v8
	v_div_fmas_f32 v4, v4, v5, v6
	v_max_f32_e32 v5, 0xc0e00000, v7
	v_div_fixup_f32 v0, v4, v3, v0
	v_add_f32_e32 v3, 1.0, v5
	v_mul_f32_e32 v0, v3, v0
.LBB114_34:
	s_cbranch_execz .LBB114_37
	s_branch .LBB114_38
.LBB114_35:
                                        ; implicit-def: $vgpr0
	s_branch .LBB114_39
.LBB114_36:
                                        ; implicit-def: $vgpr0
.LBB114_37:
	v_mul_f32_e32 v0, 0xbfb8aa3b, v2
	v_cmp_nlt_f32_e32 vcc_lo, 0x42ce8ed0, v2
	v_rndne_f32_e32 v3, v0
	v_fma_f32 v4, 0xbfb8aa3b, v2, -v0
	v_sub_f32_e32 v0, v0, v3
	v_fmamk_f32 v4, v2, 0xb2a5705f, v4
	v_cvt_i32_f32_e32 v3, v3
	v_add_f32_e32 v0, v0, v4
	v_exp_f32_e32 v0, v0
	v_ldexp_f32 v0, v0, v3
	v_cndmask_b32_e32 v0, 0, v0, vcc_lo
	v_cmp_ngt_f32_e32 vcc_lo, 0xc2b17218, v2
	v_cndmask_b32_e32 v0, 0x7f800000, v0, vcc_lo
	v_add_f32_e32 v0, 1.0, v0
	v_div_scale_f32 v3, null, v0, v0, v2
	v_rcp_f32_e32 v4, v3
	v_fma_f32 v5, -v3, v4, 1.0
	v_fmac_f32_e32 v4, v5, v4
	v_div_scale_f32 v5, vcc_lo, v2, v0, v2
	v_mul_f32_e32 v6, v5, v4
	v_fma_f32 v7, -v3, v6, v5
	v_fmac_f32_e32 v6, v7, v4
	v_fma_f32 v3, -v3, v6, v5
	v_div_fmas_f32 v3, v3, v4, v6
	v_div_fixup_f32 v0, v3, v0, v2
	v_mul_f32_e32 v0, v1, v0
.LBB114_38:
	s_cbranch_execnz .LBB114_46
.LBB114_39:
	s_cmp_eq_u32 s10, 1
	s_cbranch_scc0 .LBB114_45
; %bb.40:
	v_mul_f32_e32 v0, 0x3d372713, v2
	v_mul_f32_e32 v3, 0x3f4c422a, v2
	v_fma_f32 v0, v2, v0, 1.0
	v_mul_f32_e32 v0, v3, v0
                                        ; implicit-def: $vgpr3
	v_cmp_ngt_f32_e64 s1, 0x3f200000, |v0|
	s_and_saveexec_b32 s7, s1
	s_xor_b32 s1, exec_lo, s7
	s_cbranch_execz .LBB114_42
; %bb.41:
	v_add_f32_e64 v3, |v0|, |v0|
	v_mul_f32_e32 v4, 0x3fb8aa3b, v3
	v_cmp_ngt_f32_e32 vcc_lo, 0xc2ce8ed0, v3
	v_rndne_f32_e32 v5, v4
	v_fma_f32 v6, 0x3fb8aa3b, v3, -v4
	v_sub_f32_e32 v4, v4, v5
	v_fmamk_f32 v6, v3, 0x32a5705f, v6
	v_cvt_i32_f32_e32 v5, v5
	v_add_f32_e32 v4, v4, v6
	v_exp_f32_e32 v4, v4
	v_ldexp_f32 v4, v4, v5
	v_cndmask_b32_e32 v4, 0, v4, vcc_lo
	v_cmp_nlt_f32_e32 vcc_lo, 0x42b17218, v3
	v_cndmask_b32_e32 v3, 0x7f800000, v4, vcc_lo
	v_add_f32_e32 v3, 1.0, v3
	v_rcp_f32_e32 v3, v3
	v_fma_f32 v3, v3, -2.0, 1.0
.LBB114_42:
	s_andn2_saveexec_b32 s1, s1
	s_cbranch_execz .LBB114_44
; %bb.43:
	v_mul_f32_e32 v3, v0, v0
	s_mov_b32 s7, 0xbbbac73d
	v_fmaak_f32 v4, s7, v3, 0x3ca908c9
	v_fmaak_f32 v4, v3, v4, 0xbd5c1c4e
	;; [unrolled: 1-line block ×4, first 2 shown]
	v_mul_f32_e64 v4, |v0|, v4
	v_fma_f32 v3, v3, v4, |v0|
.LBB114_44:
	s_or_b32 exec_lo, exec_lo, s1
	v_bfi_b32 v0, 0x7fffffff, v3, v0
	v_mul_f32_e32 v2, 0.5, v2
	v_add_f32_e32 v0, 1.0, v0
	v_mul_f32_e32 v0, v2, v0
	v_mul_f32_e32 v1, v1, v0
.LBB114_45:
	v_mov_b32_e32 v0, v1
.LBB114_46:
	v_mov_b32_e32 v1, v0
.LBB114_47:
	s_load_dwordx2 s[4:5], s[4:5], 0x38
	s_mul_i32 s0, s22, s0
	s_lshl_b64 s[2:3], s[2:3], 2
	s_ashr_i32 s1, s0, 31
	v_mov_b32_e32 v0, 0
	s_waitcnt lgkmcnt(0)
	s_add_u32 s2, s4, s2
	s_addc_u32 s3, s5, s3
	s_lshl_b64 s[0:1], s[0:1], 2
	s_add_u32 s2, s2, s0
	s_addc_u32 s3, s3, s1
	s_ashr_i32 s7, s6, 31
	s_lshl_b64 s[0:1], s[6:7], 2
	s_add_u32 s0, s2, s0
	s_addc_u32 s1, s3, s1
	global_store_dword v0, v1, s[0:1]
.LBB114_48:
	s_endpgm
	.section	.rodata,"a",@progbits
	.p2align	6, 0x0
	.amdhsa_kernel _ZL13mul_mat_vec_fI6__halfS0_Li1ELi192ELb1ELb0EEvPKT_PKfPKi31ggml_cuda_mm_fusion_args_devicePfi15HIP_vector_typeIjLj3EEiiiSB_iiiSB_iiii
		.amdhsa_group_segment_fixed_size 0
		.amdhsa_private_segment_fixed_size 0
		.amdhsa_kernarg_size 144
		.amdhsa_user_sgpr_count 6
		.amdhsa_user_sgpr_private_segment_buffer 1
		.amdhsa_user_sgpr_dispatch_ptr 0
		.amdhsa_user_sgpr_queue_ptr 0
		.amdhsa_user_sgpr_kernarg_segment_ptr 1
		.amdhsa_user_sgpr_dispatch_id 0
		.amdhsa_user_sgpr_flat_scratch_init 0
		.amdhsa_user_sgpr_private_segment_size 0
		.amdhsa_wavefront_size32 1
		.amdhsa_uses_dynamic_stack 0
		.amdhsa_system_sgpr_private_segment_wavefront_offset 0
		.amdhsa_system_sgpr_workgroup_id_x 1
		.amdhsa_system_sgpr_workgroup_id_y 1
		.amdhsa_system_sgpr_workgroup_id_z 1
		.amdhsa_system_sgpr_workgroup_info 0
		.amdhsa_system_vgpr_workitem_id 0
		.amdhsa_next_free_vgpr 15
		.amdhsa_next_free_sgpr 40
		.amdhsa_reserve_vcc 1
		.amdhsa_reserve_flat_scratch 0
		.amdhsa_float_round_mode_32 0
		.amdhsa_float_round_mode_16_64 0
		.amdhsa_float_denorm_mode_32 3
		.amdhsa_float_denorm_mode_16_64 3
		.amdhsa_dx10_clamp 1
		.amdhsa_ieee_mode 1
		.amdhsa_fp16_overflow 0
		.amdhsa_workgroup_processor_mode 1
		.amdhsa_memory_ordered 1
		.amdhsa_forward_progress 1
		.amdhsa_shared_vgpr_count 0
		.amdhsa_exception_fp_ieee_invalid_op 0
		.amdhsa_exception_fp_denorm_src 0
		.amdhsa_exception_fp_ieee_div_zero 0
		.amdhsa_exception_fp_ieee_overflow 0
		.amdhsa_exception_fp_ieee_underflow 0
		.amdhsa_exception_fp_ieee_inexact 0
		.amdhsa_exception_int_div_zero 0
	.end_amdhsa_kernel
	.section	.text._ZL13mul_mat_vec_fI6__halfS0_Li1ELi192ELb1ELb0EEvPKT_PKfPKi31ggml_cuda_mm_fusion_args_devicePfi15HIP_vector_typeIjLj3EEiiiSB_iiiSB_iiii,"axG",@progbits,_ZL13mul_mat_vec_fI6__halfS0_Li1ELi192ELb1ELb0EEvPKT_PKfPKi31ggml_cuda_mm_fusion_args_devicePfi15HIP_vector_typeIjLj3EEiiiSB_iiiSB_iiii,comdat
.Lfunc_end114:
	.size	_ZL13mul_mat_vec_fI6__halfS0_Li1ELi192ELb1ELb0EEvPKT_PKfPKi31ggml_cuda_mm_fusion_args_devicePfi15HIP_vector_typeIjLj3EEiiiSB_iiiSB_iiii, .Lfunc_end114-_ZL13mul_mat_vec_fI6__halfS0_Li1ELi192ELb1ELb0EEvPKT_PKfPKi31ggml_cuda_mm_fusion_args_devicePfi15HIP_vector_typeIjLj3EEiiiSB_iiiSB_iiii
                                        ; -- End function
	.set _ZL13mul_mat_vec_fI6__halfS0_Li1ELi192ELb1ELb0EEvPKT_PKfPKi31ggml_cuda_mm_fusion_args_devicePfi15HIP_vector_typeIjLj3EEiiiSB_iiiSB_iiii.num_vgpr, 15
	.set _ZL13mul_mat_vec_fI6__halfS0_Li1ELi192ELb1ELb0EEvPKT_PKfPKi31ggml_cuda_mm_fusion_args_devicePfi15HIP_vector_typeIjLj3EEiiiSB_iiiSB_iiii.num_agpr, 0
	.set _ZL13mul_mat_vec_fI6__halfS0_Li1ELi192ELb1ELb0EEvPKT_PKfPKi31ggml_cuda_mm_fusion_args_devicePfi15HIP_vector_typeIjLj3EEiiiSB_iiiSB_iiii.numbered_sgpr, 40
	.set _ZL13mul_mat_vec_fI6__halfS0_Li1ELi192ELb1ELb0EEvPKT_PKfPKi31ggml_cuda_mm_fusion_args_devicePfi15HIP_vector_typeIjLj3EEiiiSB_iiiSB_iiii.num_named_barrier, 0
	.set _ZL13mul_mat_vec_fI6__halfS0_Li1ELi192ELb1ELb0EEvPKT_PKfPKi31ggml_cuda_mm_fusion_args_devicePfi15HIP_vector_typeIjLj3EEiiiSB_iiiSB_iiii.private_seg_size, 0
	.set _ZL13mul_mat_vec_fI6__halfS0_Li1ELi192ELb1ELb0EEvPKT_PKfPKi31ggml_cuda_mm_fusion_args_devicePfi15HIP_vector_typeIjLj3EEiiiSB_iiiSB_iiii.uses_vcc, 1
	.set _ZL13mul_mat_vec_fI6__halfS0_Li1ELi192ELb1ELb0EEvPKT_PKfPKi31ggml_cuda_mm_fusion_args_devicePfi15HIP_vector_typeIjLj3EEiiiSB_iiiSB_iiii.uses_flat_scratch, 0
	.set _ZL13mul_mat_vec_fI6__halfS0_Li1ELi192ELb1ELb0EEvPKT_PKfPKi31ggml_cuda_mm_fusion_args_devicePfi15HIP_vector_typeIjLj3EEiiiSB_iiiSB_iiii.has_dyn_sized_stack, 0
	.set _ZL13mul_mat_vec_fI6__halfS0_Li1ELi192ELb1ELb0EEvPKT_PKfPKi31ggml_cuda_mm_fusion_args_devicePfi15HIP_vector_typeIjLj3EEiiiSB_iiiSB_iiii.has_recursion, 0
	.set _ZL13mul_mat_vec_fI6__halfS0_Li1ELi192ELb1ELb0EEvPKT_PKfPKi31ggml_cuda_mm_fusion_args_devicePfi15HIP_vector_typeIjLj3EEiiiSB_iiiSB_iiii.has_indirect_call, 0
	.section	.AMDGPU.csdata,"",@progbits
; Kernel info:
; codeLenInByte = 2304
; TotalNumSgprs: 42
; NumVgprs: 15
; ScratchSize: 0
; MemoryBound: 0
; FloatMode: 240
; IeeeMode: 1
; LDSByteSize: 0 bytes/workgroup (compile time only)
; SGPRBlocks: 0
; VGPRBlocks: 1
; NumSGPRsForWavesPerEU: 42
; NumVGPRsForWavesPerEU: 15
; Occupancy: 16
; WaveLimiterHint : 1
; COMPUTE_PGM_RSRC2:SCRATCH_EN: 0
; COMPUTE_PGM_RSRC2:USER_SGPR: 6
; COMPUTE_PGM_RSRC2:TRAP_HANDLER: 0
; COMPUTE_PGM_RSRC2:TGID_X_EN: 1
; COMPUTE_PGM_RSRC2:TGID_Y_EN: 1
; COMPUTE_PGM_RSRC2:TGID_Z_EN: 1
; COMPUTE_PGM_RSRC2:TIDIG_COMP_CNT: 0
	.section	.text._ZL13mul_mat_vec_fI6__halfS0_Li1ELi192ELb0ELb0EEvPKT_PKfPKi31ggml_cuda_mm_fusion_args_devicePfi15HIP_vector_typeIjLj3EEiiiSB_iiiSB_iiii,"axG",@progbits,_ZL13mul_mat_vec_fI6__halfS0_Li1ELi192ELb0ELb0EEvPKT_PKfPKi31ggml_cuda_mm_fusion_args_devicePfi15HIP_vector_typeIjLj3EEiiiSB_iiiSB_iiii,comdat
	.globl	_ZL13mul_mat_vec_fI6__halfS0_Li1ELi192ELb0ELb0EEvPKT_PKfPKi31ggml_cuda_mm_fusion_args_devicePfi15HIP_vector_typeIjLj3EEiiiSB_iiiSB_iiii ; -- Begin function _ZL13mul_mat_vec_fI6__halfS0_Li1ELi192ELb0ELb0EEvPKT_PKfPKi31ggml_cuda_mm_fusion_args_devicePfi15HIP_vector_typeIjLj3EEiiiSB_iiiSB_iiii
	.p2align	8
	.type	_ZL13mul_mat_vec_fI6__halfS0_Li1ELi192ELb0ELb0EEvPKT_PKfPKi31ggml_cuda_mm_fusion_args_devicePfi15HIP_vector_typeIjLj3EEiiiSB_iiiSB_iiii,@function
_ZL13mul_mat_vec_fI6__halfS0_Li1ELi192ELb0ELb0EEvPKT_PKfPKi31ggml_cuda_mm_fusion_args_devicePfi15HIP_vector_typeIjLj3EEiiiSB_iiiSB_iiii: ; @_ZL13mul_mat_vec_fI6__halfS0_Li1ELi192ELb0ELb0EEvPKT_PKfPKi31ggml_cuda_mm_fusion_args_devicePfi15HIP_vector_typeIjLj3EEiiiSB_iiiSB_iiii
; %bb.0:
	s_clause 0x2
	s_load_dwordx2 s[2:3], s[4:5], 0x10
	s_load_dwordx4 s[20:23], s[4:5], 0x40
	s_load_dwordx4 s[12:15], s[4:5], 0x80
	s_waitcnt lgkmcnt(0)
	s_cmp_eq_u64 s[2:3], 0
	s_cselect_b32 s9, -1, 0
	s_cmp_lg_u64 s[2:3], 0
	s_cselect_b32 s10, -1, 0
	s_and_b32 vcc_lo, exec_lo, s9
	s_cbranch_vccnz .LBB115_2
; %bb.1:
	s_mul_i32 s0, s15, s8
	s_mov_b32 s1, 0
	s_add_i32 s0, s0, s7
	s_lshl_b64 s[16:17], s[0:1], 2
	s_add_u32 s2, s2, s16
	s_addc_u32 s3, s3, s17
	s_load_dword s15, s[2:3], 0x0
	s_load_dword s24, s[4:5], 0x50
	s_cbranch_execz .LBB115_3
	s_branch .LBB115_4
.LBB115_2:
                                        ; implicit-def: $sgpr15
	s_load_dword s24, s[4:5], 0x50
.LBB115_3:
	s_load_dwordx2 s[0:1], s[4:5], 0x5c
	s_waitcnt lgkmcnt(0)
	s_mul_hi_u32 s0, s0, s7
	s_add_i32 s0, s7, s0
	s_lshr_b32 s15, s0, s1
.LBB115_4:
	s_load_dwordx4 s[16:19], s[4:5], 0x68
	s_andn2_b32 vcc_lo, exec_lo, s10
	s_mov_b32 s25, s7
	s_cbranch_vccnz .LBB115_6
; %bb.5:
	s_mul_hi_u32 s0, s21, s7
	s_add_i32 s0, s7, s0
	s_lshr_b32 s0, s0, s22
	s_mul_i32 s0, s0, s23
	s_sub_i32 s25, s7, s0
.LBB115_6:
	s_load_dword s1, s[4:5], 0x78
	v_cmp_gt_u32_e32 vcc_lo, 32, v0
	v_lshl_add_u32 v5, v0, 2, 0
	s_and_saveexec_b32 s0, vcc_lo
; %bb.7:
	v_mov_b32_e32 v1, 0
	ds_write_b32 v5, v1
; %bb.8:
	s_or_b32 exec_lo, exec_lo, s0
	v_mov_b32_e32 v1, 0
	v_mov_b32_e32 v2, 0
	s_and_b32 s0, exec_lo, s9
	s_cselect_b32 s2, s8, 0
	s_mov_b32 s3, exec_lo
	s_waitcnt lgkmcnt(0)
	s_barrier
	buffer_gl0_inv
	v_cmpx_gt_i32_e64 s20, v0
	s_cbranch_execz .LBB115_12
; %bb.9:
	s_load_dwordx4 s[8:11], s[4:5], 0x0
	s_mul_hi_u32 s0, s19, s2
	s_mul_i32 s22, s24, s6
	s_mul_i32 s24, s25, s17
	s_add_i32 s0, s2, s0
	s_ashr_i32 s25, s24, 31
	s_mul_i32 s16, s15, s16
	s_mul_hi_i32 s27, s2, s13
	s_mul_i32 s26, s2, s13
	s_lshr_b32 s15, s0, s1
	s_lshl_b64 s[0:1], s[24:25], 2
	v_lshlrev_b32_e32 v1, 3, v0
	s_ashr_i32 s17, s16, 31
	s_ashr_i32 s23, s22, 31
	s_lshl_b64 s[26:27], s[26:27], 2
	s_mul_hi_i32 s13, s15, s12
	s_mul_i32 s12, s15, s12
	v_lshlrev_b32_e32 v3, 2, v0
	v_mov_b32_e32 v6, 0
	v_mov_b32_e32 v7, v0
	s_waitcnt lgkmcnt(0)
	s_add_u32 s0, s10, s0
	s_addc_u32 s1, s11, s1
	s_add_u32 s0, s0, s26
	s_addc_u32 s1, s1, s27
	v_add_co_u32 v1, s0, s0, v1
	v_add_co_ci_u32_e64 v2, null, s1, 0, s0
	s_lshl_b64 s[10:11], s[12:13], 1
	v_add_co_u32 v1, s0, v1, 4
	v_add_co_ci_u32_e64 v2, null, 0, v2, s0
	s_lshl_b64 s[0:1], s[16:17], 1
	s_lshl_b64 s[12:13], s[22:23], 1
	s_add_u32 s0, s8, s0
	s_addc_u32 s1, s9, s1
	s_add_u32 s0, s0, s12
	s_addc_u32 s1, s1, s13
	;; [unrolled: 2-line block ×3, first 2 shown]
	v_add_co_u32 v3, s0, s0, v3
	v_add_co_ci_u32_e64 v4, null, s1, 0, s0
	s_mov_b32 s8, 0
	.p2align	6
.LBB115_10:                             ; =>This Inner Loop Header: Depth=1
	global_load_dwordx2 v[8:9], v[1:2], off offset:-4
	global_load_dword v10, v[3:4], off
	v_add_nc_u32_e32 v7, 0xc0, v7
	v_add_co_u32 v1, s0, 0x600, v1
	v_add_co_ci_u32_e64 v2, null, 0, v2, s0
	v_add_co_u32 v3, s0, 0x300, v3
	v_cmp_le_i32_e64 s1, s20, v7
	v_add_co_ci_u32_e64 v4, null, 0, v4, s0
	s_or_b32 s8, s1, s8
	s_waitcnt vmcnt(1)
	v_cvt_f16_f32_e32 v8, v8
	v_cvt_f16_f32_e32 v9, v9
	v_pack_b32_f16 v8, v8, v9
	s_waitcnt vmcnt(0)
	v_pk_fma_f16 v6, v10, v8, v6
	s_andn2_b32 exec_lo, exec_lo, s8
	s_cbranch_execnz .LBB115_10
; %bb.11:
	s_or_b32 exec_lo, exec_lo, s8
	v_cvt_f32_f16_sdwa v1, v6 dst_sel:DWORD dst_unused:UNUSED_PAD src0_sel:WORD_1
	v_cvt_f32_f16_e32 v2, v6
.LBB115_12:
	s_or_b32 exec_lo, exec_lo, s3
	v_mbcnt_lo_u32_b32 v7, -1, 0
	v_add_f32_e32 v2, v2, v1
	v_xor_b32_e32 v3, 16, v7
	v_xor_b32_e32 v9, 1, v7
	v_cmp_gt_i32_e64 s0, 32, v3
	v_cndmask_b32_e64 v3, v7, v3, s0
	v_lshlrev_b32_e32 v1, 2, v3
	v_xor_b32_e32 v3, 8, v7
	ds_bpermute_b32 v4, v1, v2
	v_cmp_gt_i32_e64 s0, 32, v3
	v_cndmask_b32_e64 v3, v7, v3, s0
	v_lshlrev_b32_e32 v3, 2, v3
	s_waitcnt lgkmcnt(0)
	v_add_f32_e32 v2, v2, v4
	v_xor_b32_e32 v4, 4, v7
	ds_bpermute_b32 v6, v3, v2
	v_cmp_gt_i32_e64 s0, 32, v4
	v_cndmask_b32_e64 v4, v7, v4, s0
	v_lshlrev_b32_e32 v4, 2, v4
	s_waitcnt lgkmcnt(0)
	v_add_f32_e32 v2, v2, v6
	v_xor_b32_e32 v6, 2, v7
	ds_bpermute_b32 v8, v4, v2
	v_cmp_gt_i32_e64 s0, 32, v6
	v_cndmask_b32_e64 v6, v7, v6, s0
	v_cmp_gt_i32_e64 s0, 32, v9
	v_lshlrev_b32_e32 v6, 2, v6
	v_cndmask_b32_e64 v7, v7, v9, s0
	v_lshrrev_b32_e32 v9, 3, v0
	v_lshlrev_b32_e32 v7, 2, v7
	v_and_b32_e32 v9, 0x7c, v9
	s_waitcnt lgkmcnt(0)
	v_add_f32_e32 v2, v2, v8
	v_add_nc_u32_e32 v9, 0, v9
	ds_bpermute_b32 v8, v6, v2
	s_waitcnt lgkmcnt(0)
	v_add_f32_e32 v2, v2, v8
	ds_bpermute_b32 v8, v7, v2
	s_waitcnt lgkmcnt(0)
	v_add_f32_e32 v2, v2, v8
	ds_write_b32 v9, v2
	s_waitcnt lgkmcnt(0)
	s_barrier
	buffer_gl0_inv
	s_and_saveexec_b32 s0, vcc_lo
	s_cbranch_execz .LBB115_14
; %bb.13:
	ds_read_b32 v2, v5
	s_waitcnt lgkmcnt(0)
	ds_bpermute_b32 v1, v1, v2
	s_waitcnt lgkmcnt(0)
	v_add_f32_e32 v1, v2, v1
	ds_bpermute_b32 v2, v3, v1
	s_waitcnt lgkmcnt(0)
	v_add_f32_e32 v1, v1, v2
	ds_bpermute_b32 v2, v4, v1
	s_waitcnt lgkmcnt(0)
	v_add_f32_e32 v1, v1, v2
	ds_bpermute_b32 v2, v6, v1
	s_waitcnt lgkmcnt(0)
	v_add_f32_e32 v1, v1, v2
	ds_bpermute_b32 v2, v7, v1
	s_waitcnt lgkmcnt(0)
	v_add_f32_e32 v2, v1, v2
.LBB115_14:
	s_or_b32 exec_lo, exec_lo, s0
	s_barrier
	buffer_gl0_inv
	s_mov_b32 s0, exec_lo
	v_cmpx_eq_u32_e32 0, v0
	s_cbranch_execz .LBB115_16
; %bb.15:
	s_load_dwordx2 s[0:1], s[4:5], 0x38
	s_mul_hi_i32 s3, s14, s2
	s_mul_i32 s2, s14, s2
	s_mul_i32 s4, s18, s7
	s_lshl_b64 s[2:3], s[2:3], 2
	s_ashr_i32 s5, s4, 31
	v_mov_b32_e32 v0, 0
	s_waitcnt lgkmcnt(0)
	s_add_u32 s2, s0, s2
	s_addc_u32 s3, s1, s3
	s_lshl_b64 s[0:1], s[4:5], 2
	s_add_u32 s2, s2, s0
	s_addc_u32 s3, s3, s1
	s_ashr_i32 s7, s6, 31
	s_lshl_b64 s[0:1], s[6:7], 2
	s_add_u32 s0, s2, s0
	s_addc_u32 s1, s3, s1
	global_store_dword v0, v2, s[0:1]
.LBB115_16:
	s_endpgm
	.section	.rodata,"a",@progbits
	.p2align	6, 0x0
	.amdhsa_kernel _ZL13mul_mat_vec_fI6__halfS0_Li1ELi192ELb0ELb0EEvPKT_PKfPKi31ggml_cuda_mm_fusion_args_devicePfi15HIP_vector_typeIjLj3EEiiiSB_iiiSB_iiii
		.amdhsa_group_segment_fixed_size 0
		.amdhsa_private_segment_fixed_size 0
		.amdhsa_kernarg_size 144
		.amdhsa_user_sgpr_count 6
		.amdhsa_user_sgpr_private_segment_buffer 1
		.amdhsa_user_sgpr_dispatch_ptr 0
		.amdhsa_user_sgpr_queue_ptr 0
		.amdhsa_user_sgpr_kernarg_segment_ptr 1
		.amdhsa_user_sgpr_dispatch_id 0
		.amdhsa_user_sgpr_flat_scratch_init 0
		.amdhsa_user_sgpr_private_segment_size 0
		.amdhsa_wavefront_size32 1
		.amdhsa_uses_dynamic_stack 0
		.amdhsa_system_sgpr_private_segment_wavefront_offset 0
		.amdhsa_system_sgpr_workgroup_id_x 1
		.amdhsa_system_sgpr_workgroup_id_y 1
		.amdhsa_system_sgpr_workgroup_id_z 1
		.amdhsa_system_sgpr_workgroup_info 0
		.amdhsa_system_vgpr_workitem_id 0
		.amdhsa_next_free_vgpr 11
		.amdhsa_next_free_sgpr 28
		.amdhsa_reserve_vcc 1
		.amdhsa_reserve_flat_scratch 0
		.amdhsa_float_round_mode_32 0
		.amdhsa_float_round_mode_16_64 0
		.amdhsa_float_denorm_mode_32 3
		.amdhsa_float_denorm_mode_16_64 3
		.amdhsa_dx10_clamp 1
		.amdhsa_ieee_mode 1
		.amdhsa_fp16_overflow 0
		.amdhsa_workgroup_processor_mode 1
		.amdhsa_memory_ordered 1
		.amdhsa_forward_progress 1
		.amdhsa_shared_vgpr_count 0
		.amdhsa_exception_fp_ieee_invalid_op 0
		.amdhsa_exception_fp_denorm_src 0
		.amdhsa_exception_fp_ieee_div_zero 0
		.amdhsa_exception_fp_ieee_overflow 0
		.amdhsa_exception_fp_ieee_underflow 0
		.amdhsa_exception_fp_ieee_inexact 0
		.amdhsa_exception_int_div_zero 0
	.end_amdhsa_kernel
	.section	.text._ZL13mul_mat_vec_fI6__halfS0_Li1ELi192ELb0ELb0EEvPKT_PKfPKi31ggml_cuda_mm_fusion_args_devicePfi15HIP_vector_typeIjLj3EEiiiSB_iiiSB_iiii,"axG",@progbits,_ZL13mul_mat_vec_fI6__halfS0_Li1ELi192ELb0ELb0EEvPKT_PKfPKi31ggml_cuda_mm_fusion_args_devicePfi15HIP_vector_typeIjLj3EEiiiSB_iiiSB_iiii,comdat
.Lfunc_end115:
	.size	_ZL13mul_mat_vec_fI6__halfS0_Li1ELi192ELb0ELb0EEvPKT_PKfPKi31ggml_cuda_mm_fusion_args_devicePfi15HIP_vector_typeIjLj3EEiiiSB_iiiSB_iiii, .Lfunc_end115-_ZL13mul_mat_vec_fI6__halfS0_Li1ELi192ELb0ELb0EEvPKT_PKfPKi31ggml_cuda_mm_fusion_args_devicePfi15HIP_vector_typeIjLj3EEiiiSB_iiiSB_iiii
                                        ; -- End function
	.set _ZL13mul_mat_vec_fI6__halfS0_Li1ELi192ELb0ELb0EEvPKT_PKfPKi31ggml_cuda_mm_fusion_args_devicePfi15HIP_vector_typeIjLj3EEiiiSB_iiiSB_iiii.num_vgpr, 11
	.set _ZL13mul_mat_vec_fI6__halfS0_Li1ELi192ELb0ELb0EEvPKT_PKfPKi31ggml_cuda_mm_fusion_args_devicePfi15HIP_vector_typeIjLj3EEiiiSB_iiiSB_iiii.num_agpr, 0
	.set _ZL13mul_mat_vec_fI6__halfS0_Li1ELi192ELb0ELb0EEvPKT_PKfPKi31ggml_cuda_mm_fusion_args_devicePfi15HIP_vector_typeIjLj3EEiiiSB_iiiSB_iiii.numbered_sgpr, 28
	.set _ZL13mul_mat_vec_fI6__halfS0_Li1ELi192ELb0ELb0EEvPKT_PKfPKi31ggml_cuda_mm_fusion_args_devicePfi15HIP_vector_typeIjLj3EEiiiSB_iiiSB_iiii.num_named_barrier, 0
	.set _ZL13mul_mat_vec_fI6__halfS0_Li1ELi192ELb0ELb0EEvPKT_PKfPKi31ggml_cuda_mm_fusion_args_devicePfi15HIP_vector_typeIjLj3EEiiiSB_iiiSB_iiii.private_seg_size, 0
	.set _ZL13mul_mat_vec_fI6__halfS0_Li1ELi192ELb0ELb0EEvPKT_PKfPKi31ggml_cuda_mm_fusion_args_devicePfi15HIP_vector_typeIjLj3EEiiiSB_iiiSB_iiii.uses_vcc, 1
	.set _ZL13mul_mat_vec_fI6__halfS0_Li1ELi192ELb0ELb0EEvPKT_PKfPKi31ggml_cuda_mm_fusion_args_devicePfi15HIP_vector_typeIjLj3EEiiiSB_iiiSB_iiii.uses_flat_scratch, 0
	.set _ZL13mul_mat_vec_fI6__halfS0_Li1ELi192ELb0ELb0EEvPKT_PKfPKi31ggml_cuda_mm_fusion_args_devicePfi15HIP_vector_typeIjLj3EEiiiSB_iiiSB_iiii.has_dyn_sized_stack, 0
	.set _ZL13mul_mat_vec_fI6__halfS0_Li1ELi192ELb0ELb0EEvPKT_PKfPKi31ggml_cuda_mm_fusion_args_devicePfi15HIP_vector_typeIjLj3EEiiiSB_iiiSB_iiii.has_recursion, 0
	.set _ZL13mul_mat_vec_fI6__halfS0_Li1ELi192ELb0ELb0EEvPKT_PKfPKi31ggml_cuda_mm_fusion_args_devicePfi15HIP_vector_typeIjLj3EEiiiSB_iiiSB_iiii.has_indirect_call, 0
	.section	.AMDGPU.csdata,"",@progbits
; Kernel info:
; codeLenInByte = 1112
; TotalNumSgprs: 30
; NumVgprs: 11
; ScratchSize: 0
; MemoryBound: 0
; FloatMode: 240
; IeeeMode: 1
; LDSByteSize: 0 bytes/workgroup (compile time only)
; SGPRBlocks: 0
; VGPRBlocks: 1
; NumSGPRsForWavesPerEU: 30
; NumVGPRsForWavesPerEU: 11
; Occupancy: 16
; WaveLimiterHint : 0
; COMPUTE_PGM_RSRC2:SCRATCH_EN: 0
; COMPUTE_PGM_RSRC2:USER_SGPR: 6
; COMPUTE_PGM_RSRC2:TRAP_HANDLER: 0
; COMPUTE_PGM_RSRC2:TGID_X_EN: 1
; COMPUTE_PGM_RSRC2:TGID_Y_EN: 1
; COMPUTE_PGM_RSRC2:TGID_Z_EN: 1
; COMPUTE_PGM_RSRC2:TIDIG_COMP_CNT: 0
	.section	.text._ZL13mul_mat_vec_fI6__halfS0_Li1ELi224ELb1ELb0EEvPKT_PKfPKi31ggml_cuda_mm_fusion_args_devicePfi15HIP_vector_typeIjLj3EEiiiSB_iiiSB_iiii,"axG",@progbits,_ZL13mul_mat_vec_fI6__halfS0_Li1ELi224ELb1ELb0EEvPKT_PKfPKi31ggml_cuda_mm_fusion_args_devicePfi15HIP_vector_typeIjLj3EEiiiSB_iiiSB_iiii,comdat
	.globl	_ZL13mul_mat_vec_fI6__halfS0_Li1ELi224ELb1ELb0EEvPKT_PKfPKi31ggml_cuda_mm_fusion_args_devicePfi15HIP_vector_typeIjLj3EEiiiSB_iiiSB_iiii ; -- Begin function _ZL13mul_mat_vec_fI6__halfS0_Li1ELi224ELb1ELb0EEvPKT_PKfPKi31ggml_cuda_mm_fusion_args_devicePfi15HIP_vector_typeIjLj3EEiiiSB_iiiSB_iiii
	.p2align	8
	.type	_ZL13mul_mat_vec_fI6__halfS0_Li1ELi224ELb1ELb0EEvPKT_PKfPKi31ggml_cuda_mm_fusion_args_devicePfi15HIP_vector_typeIjLj3EEiiiSB_iiiSB_iiii,@function
_ZL13mul_mat_vec_fI6__halfS0_Li1ELi224ELb1ELb0EEvPKT_PKfPKi31ggml_cuda_mm_fusion_args_devicePfi15HIP_vector_typeIjLj3EEiiiSB_iiiSB_iiii: ; @_ZL13mul_mat_vec_fI6__halfS0_Li1ELi224ELb1ELb0EEvPKT_PKfPKi31ggml_cuda_mm_fusion_args_devicePfi15HIP_vector_typeIjLj3EEiiiSB_iiiSB_iiii
; %bb.0:
	s_clause 0x3
	s_load_dwordx8 s[12:19], s[4:5], 0x0
	s_load_dwordx4 s[24:27], s[4:5], 0x20
	s_load_dwordx4 s[36:39], s[4:5], 0x40
	;; [unrolled: 1-line block ×3, first 2 shown]
	s_mov_b32 s0, s7
	s_waitcnt lgkmcnt(0)
	s_cmp_eq_u64 s[16:17], 0
	s_cselect_b32 s10, -1, 0
	s_cmp_lg_u64 s[16:17], 0
	s_cselect_b32 s1, -1, 0
	s_and_b32 vcc_lo, exec_lo, s10
	s_cbranch_vccnz .LBB116_2
; %bb.1:
	s_mul_i32 s2, s31, s8
	s_mov_b32 s3, 0
	s_add_i32 s2, s2, s0
	s_lshl_b64 s[20:21], s[2:3], 2
	s_add_u32 s16, s16, s20
	s_addc_u32 s17, s17, s21
	s_load_dword s7, s[16:17], 0x0
	s_load_dword s16, s[4:5], 0x50
	s_waitcnt lgkmcnt(0)
	s_mov_b32 s3, s7
	s_cbranch_execz .LBB116_3
	s_branch .LBB116_4
.LBB116_2:
                                        ; implicit-def: $sgpr7
	s_load_dword s16, s[4:5], 0x50
	s_mov_b32 s3, s7
.LBB116_3:
	s_load_dwordx2 s[2:3], s[4:5], 0x5c
	s_mov_b32 s7, s0
	s_waitcnt lgkmcnt(0)
	s_mul_hi_u32 s2, s2, s0
	s_add_i32 s2, s0, s2
	s_lshr_b32 s3, s2, s3
.LBB116_4:
	s_load_dwordx4 s[20:23], s[4:5], 0x68
	s_andn2_b32 vcc_lo, exec_lo, s1
	s_mov_b32 s17, s0
	s_cbranch_vccnz .LBB116_6
; %bb.5:
	s_mul_hi_u32 s1, s37, s0
	s_add_i32 s1, s0, s1
	s_lshr_b32 s1, s1, s38
	s_mul_i32 s1, s1, s39
	s_sub_i32 s17, s0, s1
.LBB116_6:
	s_load_dword s31, s[4:5], 0x78
	s_cmp_lg_u64 s[24:25], 0
	v_cmp_gt_u32_e64 s2, 32, v0
	v_lshl_add_u32 v7, v0, 2, 0
	s_cselect_b32 s1, -1, 0
	s_cmp_eq_u64 s[24:25], 0
	s_cselect_b32 s9, -1, 0
	s_and_saveexec_b32 s11, s2
	s_cbranch_execz .LBB116_9
; %bb.7:
	v_mov_b32_e32 v1, 0
	s_andn2_b32 vcc_lo, exec_lo, s1
	ds_write_b32 v7, v1
	s_cbranch_vccnz .LBB116_9
; %bb.8:
	ds_write_b32 v7, v1 offset:128
.LBB116_9:
	s_or_b32 exec_lo, exec_lo, s11
	v_mov_b32_e32 v8, 0
	v_mov_b32_e32 v4, 0
	;; [unrolled: 1-line block ×3, first 2 shown]
	s_and_b32 s10, exec_lo, s10
	s_cselect_b32 s11, s8, 0
	s_mov_b32 s10, 0
	s_mov_b32 s8, exec_lo
	s_waitcnt lgkmcnt(0)
	s_barrier
	buffer_gl0_inv
	v_cmpx_gt_i32_e64 s36, v0
	s_cbranch_execz .LBB116_16
; %bb.10:
	s_mul_hi_u32 s23, s23, s11
	s_mul_i32 s3, s3, s20
	s_add_i32 s23, s11, s23
	s_mul_i32 s16, s16, s6
	s_lshr_b32 s20, s23, s31
	s_ashr_i32 s31, s16, 31
	s_mul_hi_i32 s23, s20, s28
	s_mul_i32 s20, s20, s28
	s_ashr_i32 s28, s3, 31
	s_add_u32 s16, s20, s16
	s_addc_u32 s23, s23, s31
	s_mul_i32 s20, s17, s21
	s_add_u32 s16, s16, s3
	s_addc_u32 s17, s23, s28
	s_ashr_i32 s21, s20, 31
	s_and_b32 s3, s1, exec_lo
	s_cselect_b32 s35, s17, 0
	s_cselect_b32 s34, s16, 0
	v_lshlrev_b32_e32 v5, 2, v0
	s_cselect_b32 s3, s25, 0
	s_cselect_b32 s23, s24, 0
	s_lshl_b64 s[24:25], s[34:35], 1
	v_lshlrev_b32_e32 v3, 3, v0
	s_add_u32 s23, s23, s24
	s_addc_u32 s3, s3, s25
	s_mul_hi_i32 s25, s11, s29
	s_mul_i32 s24, s11, s29
	v_add_co_u32 v1, s23, s23, v5
	s_lshl_b64 s[20:21], s[20:21], 2
	s_lshl_b64 s[24:25], s[24:25], 2
	v_add_co_ci_u32_e64 v2, null, s3, 0, s23
	s_add_u32 s3, s14, s20
	s_addc_u32 s14, s15, s21
	s_add_u32 s3, s3, s24
	s_addc_u32 s14, s14, s25
	v_add_co_u32 v3, s3, s3, v3
	v_add_co_ci_u32_e64 v4, null, s14, 0, s3
	s_lshl_b64 s[14:15], s[16:17], 1
	v_add_co_u32 v3, vcc_lo, v3, 4
	s_add_u32 s3, s12, s14
	s_addc_u32 s12, s13, s15
	v_add_co_u32 v5, s3, s3, v5
	v_add_co_ci_u32_e64 v4, null, 0, v4, vcc_lo
	v_add_co_ci_u32_e64 v6, null, s12, 0, s3
	v_mov_b32_e32 v8, 0
	v_mov_b32_e32 v10, v0
	;; [unrolled: 1-line block ×3, first 2 shown]
	s_inst_prefetch 0x1
	s_branch .LBB116_13
	.p2align	6
.LBB116_11:                             ;   in Loop: Header=BB116_13 Depth=1
	global_load_dword v12, v[1:2], off
.LBB116_12:                             ;   in Loop: Header=BB116_13 Depth=1
	global_load_dwordx2 v[13:14], v[3:4], off offset:-4
	v_add_nc_u32_e32 v10, 0xe0, v10
	v_add_co_u32 v1, vcc_lo, 0x380, v1
	v_add_co_ci_u32_e64 v2, null, 0, v2, vcc_lo
	v_add_co_u32 v3, vcc_lo, 0x700, v3
	v_add_co_ci_u32_e64 v4, null, 0, v4, vcc_lo
	v_cmp_le_i32_e32 vcc_lo, s36, v10
	v_add_co_u32 v5, s3, 0x380, v5
	v_add_co_ci_u32_e64 v6, null, 0, v6, s3
	s_or_b32 s10, vcc_lo, s10
	s_waitcnt vmcnt(0)
	v_cvt_f16_f32_e32 v13, v13
	v_cvt_f16_f32_e32 v14, v14
	v_pack_b32_f16 v13, v13, v14
	v_pk_fma_f16 v12, v12, v13, v9
	v_pk_fma_f16 v8, v11, v13, v8
	v_cndmask_b32_e64 v9, v9, v12, s1
	s_andn2_b32 exec_lo, exec_lo, s10
	s_cbranch_execz .LBB116_15
.LBB116_13:                             ; =>This Inner Loop Header: Depth=1
	global_load_dword v11, v[5:6], off
	s_andn2_b32 vcc_lo, exec_lo, s1
	s_cbranch_vccz .LBB116_11
; %bb.14:                               ;   in Loop: Header=BB116_13 Depth=1
	v_mov_b32_e32 v12, 0
	s_branch .LBB116_12
.LBB116_15:
	s_inst_prefetch 0x2
	s_or_b32 exec_lo, exec_lo, s10
	v_cvt_f32_f16_sdwa v4, v9 dst_sel:DWORD dst_unused:UNUSED_PAD src0_sel:WORD_1
	v_cvt_f32_f16_e32 v5, v9
.LBB116_16:
	s_or_b32 exec_lo, exec_lo, s8
	v_mbcnt_lo_u32_b32 v1, -1, 0
	v_cvt_f32_f16_e32 v3, v8
	v_cvt_f32_f16_sdwa v6, v8 dst_sel:DWORD dst_unused:UNUSED_PAD src0_sel:WORD_1
	s_load_dword s10, s[4:5], 0x30
	s_mov_b32 s3, -1
	v_xor_b32_e32 v2, 16, v1
	v_add_f32_e32 v8, v3, v6
	v_xor_b32_e32 v6, 8, v1
	v_cmp_gt_i32_e32 vcc_lo, 32, v2
	v_cndmask_b32_e32 v2, v1, v2, vcc_lo
	v_cmp_gt_i32_e32 vcc_lo, 32, v6
	v_lshlrev_b32_e32 v3, 2, v2
	v_cndmask_b32_e32 v6, v1, v6, vcc_lo
	ds_bpermute_b32 v2, v3, v8
	v_lshlrev_b32_e32 v6, 2, v6
	s_waitcnt lgkmcnt(0)
	v_add_f32_e32 v2, v8, v2
	v_xor_b32_e32 v8, 4, v1
	ds_bpermute_b32 v9, v6, v2
	v_cmp_gt_i32_e32 vcc_lo, 32, v8
	v_cndmask_b32_e32 v8, v1, v8, vcc_lo
	v_lshlrev_b32_e32 v8, 2, v8
	s_waitcnt lgkmcnt(0)
	v_add_f32_e32 v2, v2, v9
	v_xor_b32_e32 v9, 2, v1
	ds_bpermute_b32 v10, v8, v2
	v_cmp_gt_i32_e32 vcc_lo, 32, v9
	v_cndmask_b32_e32 v9, v1, v9, vcc_lo
	;; [unrolled: 7-line block ×3, first 2 shown]
	s_and_b32 vcc_lo, exec_lo, s9
	v_lshlrev_b32_e32 v10, 2, v1
	s_waitcnt lgkmcnt(0)
	v_add_f32_e32 v1, v2, v11
	v_lshrrev_b32_e32 v11, 5, v0
	ds_bpermute_b32 v2, v10, v1
	v_lshl_add_u32 v11, v11, 2, 0
	s_waitcnt lgkmcnt(0)
	v_add_f32_e32 v1, v1, v2
	s_cbranch_vccz .LBB116_18
; %bb.17:
	s_mov_b32 s3, 0
	ds_write_b32 v11, v1
.LBB116_18:
	v_mov_b32_e32 v2, 0
	s_andn2_b32 vcc_lo, exec_lo, s3
	s_cbranch_vccnz .LBB116_20
; %bb.19:
	v_add_f32_e32 v2, v5, v4
	ds_bpermute_b32 v4, v3, v2
	s_waitcnt lgkmcnt(0)
	v_add_f32_e32 v2, v2, v4
	ds_bpermute_b32 v4, v6, v2
	s_waitcnt lgkmcnt(0)
	;; [unrolled: 3-line block ×5, first 2 shown]
	v_add_f32_e32 v2, v2, v4
	ds_write2_b32 v11, v1, v2 offset1:32
.LBB116_20:
	s_waitcnt lgkmcnt(0)
	s_barrier
	buffer_gl0_inv
	s_and_saveexec_b32 s3, s2
	s_cbranch_execz .LBB116_24
; %bb.21:
	ds_read_b32 v1, v7
	s_andn2_b32 vcc_lo, exec_lo, s1
	s_waitcnt lgkmcnt(0)
	ds_bpermute_b32 v4, v3, v1
	s_waitcnt lgkmcnt(0)
	v_add_f32_e32 v1, v1, v4
	ds_bpermute_b32 v4, v6, v1
	s_waitcnt lgkmcnt(0)
	v_add_f32_e32 v1, v1, v4
	;; [unrolled: 3-line block ×4, first 2 shown]
	ds_bpermute_b32 v4, v10, v1
	s_cbranch_vccnz .LBB116_23
; %bb.22:
	ds_read_b32 v2, v7 offset:128
	s_waitcnt lgkmcnt(0)
	ds_bpermute_b32 v3, v3, v2
	s_waitcnt lgkmcnt(0)
	v_add_f32_e32 v2, v2, v3
	ds_bpermute_b32 v3, v6, v2
	s_waitcnt lgkmcnt(0)
	v_add_f32_e32 v2, v2, v3
	;; [unrolled: 3-line block ×5, first 2 shown]
.LBB116_23:
	s_waitcnt lgkmcnt(0)
	v_add_f32_e32 v1, v1, v4
.LBB116_24:
	s_or_b32 exec_lo, exec_lo, s3
	s_barrier
	buffer_gl0_inv
	s_mov_b32 s2, exec_lo
	v_cmpx_eq_u32_e32 0, v0
	s_cbranch_execz .LBB116_48
; %bb.25:
	s_cmp_eq_u64 s[18:19], 0
	s_mul_i32 s8, s7, s22
	s_cselect_b32 s2, -1, 0
	s_ashr_i32 s9, s8, 31
	s_mul_hi_i32 s3, s30, s11
	s_and_b32 vcc_lo, exec_lo, s2
	s_mul_i32 s2, s30, s11
	s_cbranch_vccnz .LBB116_27
; %bb.26:
	s_cselect_b32 s7, 0, s19
	s_cselect_b32 s11, 0, s18
	s_lshl_b64 s[12:13], s[2:3], 2
	s_add_u32 s11, s11, s12
	s_addc_u32 s7, s7, s13
	s_lshl_b64 s[12:13], s[8:9], 2
	s_add_u32 s11, s11, s12
	s_addc_u32 s14, s7, s13
	s_ashr_i32 s7, s6, 31
	s_lshl_b64 s[12:13], s[6:7], 2
	s_add_u32 s12, s11, s12
	s_addc_u32 s13, s14, s13
	s_load_dword s7, s[12:13], 0x0
	s_waitcnt lgkmcnt(0)
	v_add_f32_e32 v1, s7, v1
.LBB116_27:
	s_andn2_b32 vcc_lo, exec_lo, s1
	s_cbranch_vccnz .LBB116_47
; %bb.28:
	s_cmp_lg_u64 s[26:27], 0
	s_cselect_b32 s7, -1, 0
	s_and_b32 s1, s7, s1
	s_andn2_b32 vcc_lo, exec_lo, s1
	s_cbranch_vccnz .LBB116_30
; %bb.29:
	s_and_b32 s1, s7, exec_lo
	s_cselect_b32 s1, s27, 0
	s_cselect_b32 s7, s26, 0
	s_lshl_b64 s[12:13], s[2:3], 2
	s_add_u32 s7, s7, s12
	s_addc_u32 s1, s1, s13
	s_lshl_b64 s[8:9], s[8:9], 2
	s_add_u32 s11, s7, s8
	s_addc_u32 s1, s1, s9
	s_ashr_i32 s7, s6, 31
	s_lshl_b64 s[8:9], s[6:7], 2
	s_add_u32 s8, s11, s8
	s_addc_u32 s9, s1, s9
	s_load_dword s1, s[8:9], 0x0
	s_waitcnt lgkmcnt(0)
	v_add_f32_e32 v2, s1, v2
.LBB116_30:
	s_cmp_lt_i32 s10, 2
	s_cbranch_scc1 .LBB116_35
; %bb.31:
	s_cmp_lt_i32 s10, 3
	s_cbranch_scc1 .LBB116_36
; %bb.32:
	v_mov_b32_e32 v0, v1
	s_cmp_eq_u32 s10, 3
	s_cbranch_scc0 .LBB116_34
; %bb.33:
	v_max_f32_e32 v0, v2, v2
	v_min_f32_e32 v0, 0x40e00000, v0
	v_mul_f32_e32 v3, 0xbfd9db23, v0
	v_mul_f32_e32 v4, 0x3fb8aa3b, v3
	v_cmp_ngt_f32_e32 vcc_lo, 0xc2ce8ed0, v3
	v_fma_f32 v5, 0x3fb8aa3b, v3, -v4
	v_rndne_f32_e32 v6, v4
	v_fmamk_f32 v5, v3, 0x32a5705f, v5
	v_sub_f32_e32 v4, v4, v6
	v_add_f32_e32 v4, v4, v5
	v_cvt_i32_f32_e32 v5, v6
	v_exp_f32_e32 v4, v4
	v_ldexp_f32 v4, v4, v5
	v_cndmask_b32_e32 v4, 0, v4, vcc_lo
	v_cmp_nlt_f32_e32 vcc_lo, 0x42b17218, v3
	v_cndmask_b32_e32 v3, 0x7f800000, v4, vcc_lo
	v_add_f32_e32 v3, 1.0, v3
	v_div_scale_f32 v4, null, v3, v3, v0
	v_div_scale_f32 v7, vcc_lo, v0, v3, v0
	v_rcp_f32_e32 v5, v4
	v_fma_f32 v6, -v4, v5, 1.0
	v_fmac_f32_e32 v5, v6, v5
	v_mul_f32_e32 v6, v7, v5
	v_fma_f32 v8, -v4, v6, v7
	v_fmac_f32_e32 v6, v8, v5
	v_max_f32_e32 v8, v1, v1
	v_fma_f32 v4, -v4, v6, v7
	v_min_f32_e32 v7, 0x40e00000, v8
	v_div_fmas_f32 v4, v4, v5, v6
	v_max_f32_e32 v5, 0xc0e00000, v7
	v_div_fixup_f32 v0, v4, v3, v0
	v_add_f32_e32 v3, 1.0, v5
	v_mul_f32_e32 v0, v3, v0
.LBB116_34:
	s_cbranch_execz .LBB116_37
	s_branch .LBB116_38
.LBB116_35:
                                        ; implicit-def: $vgpr0
	s_branch .LBB116_39
.LBB116_36:
                                        ; implicit-def: $vgpr0
.LBB116_37:
	v_mul_f32_e32 v0, 0xbfb8aa3b, v2
	v_cmp_nlt_f32_e32 vcc_lo, 0x42ce8ed0, v2
	v_rndne_f32_e32 v3, v0
	v_fma_f32 v4, 0xbfb8aa3b, v2, -v0
	v_sub_f32_e32 v0, v0, v3
	v_fmamk_f32 v4, v2, 0xb2a5705f, v4
	v_cvt_i32_f32_e32 v3, v3
	v_add_f32_e32 v0, v0, v4
	v_exp_f32_e32 v0, v0
	v_ldexp_f32 v0, v0, v3
	v_cndmask_b32_e32 v0, 0, v0, vcc_lo
	v_cmp_ngt_f32_e32 vcc_lo, 0xc2b17218, v2
	v_cndmask_b32_e32 v0, 0x7f800000, v0, vcc_lo
	v_add_f32_e32 v0, 1.0, v0
	v_div_scale_f32 v3, null, v0, v0, v2
	v_rcp_f32_e32 v4, v3
	v_fma_f32 v5, -v3, v4, 1.0
	v_fmac_f32_e32 v4, v5, v4
	v_div_scale_f32 v5, vcc_lo, v2, v0, v2
	v_mul_f32_e32 v6, v5, v4
	v_fma_f32 v7, -v3, v6, v5
	v_fmac_f32_e32 v6, v7, v4
	v_fma_f32 v3, -v3, v6, v5
	v_div_fmas_f32 v3, v3, v4, v6
	v_div_fixup_f32 v0, v3, v0, v2
	v_mul_f32_e32 v0, v1, v0
.LBB116_38:
	s_cbranch_execnz .LBB116_46
.LBB116_39:
	s_cmp_eq_u32 s10, 1
	s_cbranch_scc0 .LBB116_45
; %bb.40:
	v_mul_f32_e32 v0, 0x3d372713, v2
	v_mul_f32_e32 v3, 0x3f4c422a, v2
	v_fma_f32 v0, v2, v0, 1.0
	v_mul_f32_e32 v0, v3, v0
                                        ; implicit-def: $vgpr3
	v_cmp_ngt_f32_e64 s1, 0x3f200000, |v0|
	s_and_saveexec_b32 s7, s1
	s_xor_b32 s1, exec_lo, s7
	s_cbranch_execz .LBB116_42
; %bb.41:
	v_add_f32_e64 v3, |v0|, |v0|
	v_mul_f32_e32 v4, 0x3fb8aa3b, v3
	v_cmp_ngt_f32_e32 vcc_lo, 0xc2ce8ed0, v3
	v_rndne_f32_e32 v5, v4
	v_fma_f32 v6, 0x3fb8aa3b, v3, -v4
	v_sub_f32_e32 v4, v4, v5
	v_fmamk_f32 v6, v3, 0x32a5705f, v6
	v_cvt_i32_f32_e32 v5, v5
	v_add_f32_e32 v4, v4, v6
	v_exp_f32_e32 v4, v4
	v_ldexp_f32 v4, v4, v5
	v_cndmask_b32_e32 v4, 0, v4, vcc_lo
	v_cmp_nlt_f32_e32 vcc_lo, 0x42b17218, v3
	v_cndmask_b32_e32 v3, 0x7f800000, v4, vcc_lo
	v_add_f32_e32 v3, 1.0, v3
	v_rcp_f32_e32 v3, v3
	v_fma_f32 v3, v3, -2.0, 1.0
.LBB116_42:
	s_andn2_saveexec_b32 s1, s1
	s_cbranch_execz .LBB116_44
; %bb.43:
	v_mul_f32_e32 v3, v0, v0
	s_mov_b32 s7, 0xbbbac73d
	v_fmaak_f32 v4, s7, v3, 0x3ca908c9
	v_fmaak_f32 v4, v3, v4, 0xbd5c1c4e
	;; [unrolled: 1-line block ×4, first 2 shown]
	v_mul_f32_e64 v4, |v0|, v4
	v_fma_f32 v3, v3, v4, |v0|
.LBB116_44:
	s_or_b32 exec_lo, exec_lo, s1
	v_bfi_b32 v0, 0x7fffffff, v3, v0
	v_mul_f32_e32 v2, 0.5, v2
	v_add_f32_e32 v0, 1.0, v0
	v_mul_f32_e32 v0, v2, v0
	v_mul_f32_e32 v1, v1, v0
.LBB116_45:
	v_mov_b32_e32 v0, v1
.LBB116_46:
	v_mov_b32_e32 v1, v0
.LBB116_47:
	s_load_dwordx2 s[4:5], s[4:5], 0x38
	s_mul_i32 s0, s22, s0
	s_lshl_b64 s[2:3], s[2:3], 2
	s_ashr_i32 s1, s0, 31
	v_mov_b32_e32 v0, 0
	s_waitcnt lgkmcnt(0)
	s_add_u32 s2, s4, s2
	s_addc_u32 s3, s5, s3
	s_lshl_b64 s[0:1], s[0:1], 2
	s_add_u32 s2, s2, s0
	s_addc_u32 s3, s3, s1
	s_ashr_i32 s7, s6, 31
	s_lshl_b64 s[0:1], s[6:7], 2
	s_add_u32 s0, s2, s0
	s_addc_u32 s1, s3, s1
	global_store_dword v0, v1, s[0:1]
.LBB116_48:
	s_endpgm
	.section	.rodata,"a",@progbits
	.p2align	6, 0x0
	.amdhsa_kernel _ZL13mul_mat_vec_fI6__halfS0_Li1ELi224ELb1ELb0EEvPKT_PKfPKi31ggml_cuda_mm_fusion_args_devicePfi15HIP_vector_typeIjLj3EEiiiSB_iiiSB_iiii
		.amdhsa_group_segment_fixed_size 0
		.amdhsa_private_segment_fixed_size 0
		.amdhsa_kernarg_size 144
		.amdhsa_user_sgpr_count 6
		.amdhsa_user_sgpr_private_segment_buffer 1
		.amdhsa_user_sgpr_dispatch_ptr 0
		.amdhsa_user_sgpr_queue_ptr 0
		.amdhsa_user_sgpr_kernarg_segment_ptr 1
		.amdhsa_user_sgpr_dispatch_id 0
		.amdhsa_user_sgpr_flat_scratch_init 0
		.amdhsa_user_sgpr_private_segment_size 0
		.amdhsa_wavefront_size32 1
		.amdhsa_uses_dynamic_stack 0
		.amdhsa_system_sgpr_private_segment_wavefront_offset 0
		.amdhsa_system_sgpr_workgroup_id_x 1
		.amdhsa_system_sgpr_workgroup_id_y 1
		.amdhsa_system_sgpr_workgroup_id_z 1
		.amdhsa_system_sgpr_workgroup_info 0
		.amdhsa_system_vgpr_workitem_id 0
		.amdhsa_next_free_vgpr 15
		.amdhsa_next_free_sgpr 40
		.amdhsa_reserve_vcc 1
		.amdhsa_reserve_flat_scratch 0
		.amdhsa_float_round_mode_32 0
		.amdhsa_float_round_mode_16_64 0
		.amdhsa_float_denorm_mode_32 3
		.amdhsa_float_denorm_mode_16_64 3
		.amdhsa_dx10_clamp 1
		.amdhsa_ieee_mode 1
		.amdhsa_fp16_overflow 0
		.amdhsa_workgroup_processor_mode 1
		.amdhsa_memory_ordered 1
		.amdhsa_forward_progress 1
		.amdhsa_shared_vgpr_count 0
		.amdhsa_exception_fp_ieee_invalid_op 0
		.amdhsa_exception_fp_denorm_src 0
		.amdhsa_exception_fp_ieee_div_zero 0
		.amdhsa_exception_fp_ieee_overflow 0
		.amdhsa_exception_fp_ieee_underflow 0
		.amdhsa_exception_fp_ieee_inexact 0
		.amdhsa_exception_int_div_zero 0
	.end_amdhsa_kernel
	.section	.text._ZL13mul_mat_vec_fI6__halfS0_Li1ELi224ELb1ELb0EEvPKT_PKfPKi31ggml_cuda_mm_fusion_args_devicePfi15HIP_vector_typeIjLj3EEiiiSB_iiiSB_iiii,"axG",@progbits,_ZL13mul_mat_vec_fI6__halfS0_Li1ELi224ELb1ELb0EEvPKT_PKfPKi31ggml_cuda_mm_fusion_args_devicePfi15HIP_vector_typeIjLj3EEiiiSB_iiiSB_iiii,comdat
.Lfunc_end116:
	.size	_ZL13mul_mat_vec_fI6__halfS0_Li1ELi224ELb1ELb0EEvPKT_PKfPKi31ggml_cuda_mm_fusion_args_devicePfi15HIP_vector_typeIjLj3EEiiiSB_iiiSB_iiii, .Lfunc_end116-_ZL13mul_mat_vec_fI6__halfS0_Li1ELi224ELb1ELb0EEvPKT_PKfPKi31ggml_cuda_mm_fusion_args_devicePfi15HIP_vector_typeIjLj3EEiiiSB_iiiSB_iiii
                                        ; -- End function
	.set _ZL13mul_mat_vec_fI6__halfS0_Li1ELi224ELb1ELb0EEvPKT_PKfPKi31ggml_cuda_mm_fusion_args_devicePfi15HIP_vector_typeIjLj3EEiiiSB_iiiSB_iiii.num_vgpr, 15
	.set _ZL13mul_mat_vec_fI6__halfS0_Li1ELi224ELb1ELb0EEvPKT_PKfPKi31ggml_cuda_mm_fusion_args_devicePfi15HIP_vector_typeIjLj3EEiiiSB_iiiSB_iiii.num_agpr, 0
	.set _ZL13mul_mat_vec_fI6__halfS0_Li1ELi224ELb1ELb0EEvPKT_PKfPKi31ggml_cuda_mm_fusion_args_devicePfi15HIP_vector_typeIjLj3EEiiiSB_iiiSB_iiii.numbered_sgpr, 40
	.set _ZL13mul_mat_vec_fI6__halfS0_Li1ELi224ELb1ELb0EEvPKT_PKfPKi31ggml_cuda_mm_fusion_args_devicePfi15HIP_vector_typeIjLj3EEiiiSB_iiiSB_iiii.num_named_barrier, 0
	.set _ZL13mul_mat_vec_fI6__halfS0_Li1ELi224ELb1ELb0EEvPKT_PKfPKi31ggml_cuda_mm_fusion_args_devicePfi15HIP_vector_typeIjLj3EEiiiSB_iiiSB_iiii.private_seg_size, 0
	.set _ZL13mul_mat_vec_fI6__halfS0_Li1ELi224ELb1ELb0EEvPKT_PKfPKi31ggml_cuda_mm_fusion_args_devicePfi15HIP_vector_typeIjLj3EEiiiSB_iiiSB_iiii.uses_vcc, 1
	.set _ZL13mul_mat_vec_fI6__halfS0_Li1ELi224ELb1ELb0EEvPKT_PKfPKi31ggml_cuda_mm_fusion_args_devicePfi15HIP_vector_typeIjLj3EEiiiSB_iiiSB_iiii.uses_flat_scratch, 0
	.set _ZL13mul_mat_vec_fI6__halfS0_Li1ELi224ELb1ELb0EEvPKT_PKfPKi31ggml_cuda_mm_fusion_args_devicePfi15HIP_vector_typeIjLj3EEiiiSB_iiiSB_iiii.has_dyn_sized_stack, 0
	.set _ZL13mul_mat_vec_fI6__halfS0_Li1ELi224ELb1ELb0EEvPKT_PKfPKi31ggml_cuda_mm_fusion_args_devicePfi15HIP_vector_typeIjLj3EEiiiSB_iiiSB_iiii.has_recursion, 0
	.set _ZL13mul_mat_vec_fI6__halfS0_Li1ELi224ELb1ELb0EEvPKT_PKfPKi31ggml_cuda_mm_fusion_args_devicePfi15HIP_vector_typeIjLj3EEiiiSB_iiiSB_iiii.has_indirect_call, 0
	.section	.AMDGPU.csdata,"",@progbits
; Kernel info:
; codeLenInByte = 2304
; TotalNumSgprs: 42
; NumVgprs: 15
; ScratchSize: 0
; MemoryBound: 0
; FloatMode: 240
; IeeeMode: 1
; LDSByteSize: 0 bytes/workgroup (compile time only)
; SGPRBlocks: 0
; VGPRBlocks: 1
; NumSGPRsForWavesPerEU: 42
; NumVGPRsForWavesPerEU: 15
; Occupancy: 16
; WaveLimiterHint : 1
; COMPUTE_PGM_RSRC2:SCRATCH_EN: 0
; COMPUTE_PGM_RSRC2:USER_SGPR: 6
; COMPUTE_PGM_RSRC2:TRAP_HANDLER: 0
; COMPUTE_PGM_RSRC2:TGID_X_EN: 1
; COMPUTE_PGM_RSRC2:TGID_Y_EN: 1
; COMPUTE_PGM_RSRC2:TGID_Z_EN: 1
; COMPUTE_PGM_RSRC2:TIDIG_COMP_CNT: 0
	.section	.text._ZL13mul_mat_vec_fI6__halfS0_Li1ELi224ELb0ELb0EEvPKT_PKfPKi31ggml_cuda_mm_fusion_args_devicePfi15HIP_vector_typeIjLj3EEiiiSB_iiiSB_iiii,"axG",@progbits,_ZL13mul_mat_vec_fI6__halfS0_Li1ELi224ELb0ELb0EEvPKT_PKfPKi31ggml_cuda_mm_fusion_args_devicePfi15HIP_vector_typeIjLj3EEiiiSB_iiiSB_iiii,comdat
	.globl	_ZL13mul_mat_vec_fI6__halfS0_Li1ELi224ELb0ELb0EEvPKT_PKfPKi31ggml_cuda_mm_fusion_args_devicePfi15HIP_vector_typeIjLj3EEiiiSB_iiiSB_iiii ; -- Begin function _ZL13mul_mat_vec_fI6__halfS0_Li1ELi224ELb0ELb0EEvPKT_PKfPKi31ggml_cuda_mm_fusion_args_devicePfi15HIP_vector_typeIjLj3EEiiiSB_iiiSB_iiii
	.p2align	8
	.type	_ZL13mul_mat_vec_fI6__halfS0_Li1ELi224ELb0ELb0EEvPKT_PKfPKi31ggml_cuda_mm_fusion_args_devicePfi15HIP_vector_typeIjLj3EEiiiSB_iiiSB_iiii,@function
_ZL13mul_mat_vec_fI6__halfS0_Li1ELi224ELb0ELb0EEvPKT_PKfPKi31ggml_cuda_mm_fusion_args_devicePfi15HIP_vector_typeIjLj3EEiiiSB_iiiSB_iiii: ; @_ZL13mul_mat_vec_fI6__halfS0_Li1ELi224ELb0ELb0EEvPKT_PKfPKi31ggml_cuda_mm_fusion_args_devicePfi15HIP_vector_typeIjLj3EEiiiSB_iiiSB_iiii
; %bb.0:
	s_clause 0x2
	s_load_dwordx2 s[2:3], s[4:5], 0x10
	s_load_dwordx4 s[20:23], s[4:5], 0x40
	s_load_dwordx4 s[12:15], s[4:5], 0x80
	s_waitcnt lgkmcnt(0)
	s_cmp_eq_u64 s[2:3], 0
	s_cselect_b32 s9, -1, 0
	s_cmp_lg_u64 s[2:3], 0
	s_cselect_b32 s10, -1, 0
	s_and_b32 vcc_lo, exec_lo, s9
	s_cbranch_vccnz .LBB117_2
; %bb.1:
	s_mul_i32 s0, s15, s8
	s_mov_b32 s1, 0
	s_add_i32 s0, s0, s7
	s_lshl_b64 s[16:17], s[0:1], 2
	s_add_u32 s2, s2, s16
	s_addc_u32 s3, s3, s17
	s_load_dword s15, s[2:3], 0x0
	s_load_dword s24, s[4:5], 0x50
	s_cbranch_execz .LBB117_3
	s_branch .LBB117_4
.LBB117_2:
                                        ; implicit-def: $sgpr15
	s_load_dword s24, s[4:5], 0x50
.LBB117_3:
	s_load_dwordx2 s[0:1], s[4:5], 0x5c
	s_waitcnt lgkmcnt(0)
	s_mul_hi_u32 s0, s0, s7
	s_add_i32 s0, s7, s0
	s_lshr_b32 s15, s0, s1
.LBB117_4:
	s_load_dwordx4 s[16:19], s[4:5], 0x68
	s_andn2_b32 vcc_lo, exec_lo, s10
	s_mov_b32 s25, s7
	s_cbranch_vccnz .LBB117_6
; %bb.5:
	s_mul_hi_u32 s0, s21, s7
	s_add_i32 s0, s7, s0
	s_lshr_b32 s0, s0, s22
	s_mul_i32 s0, s0, s23
	s_sub_i32 s25, s7, s0
.LBB117_6:
	s_load_dword s1, s[4:5], 0x78
	v_cmp_gt_u32_e32 vcc_lo, 32, v0
	v_lshl_add_u32 v5, v0, 2, 0
	s_and_saveexec_b32 s0, vcc_lo
; %bb.7:
	v_mov_b32_e32 v1, 0
	ds_write_b32 v5, v1
; %bb.8:
	s_or_b32 exec_lo, exec_lo, s0
	v_mov_b32_e32 v1, 0
	v_mov_b32_e32 v2, 0
	s_and_b32 s0, exec_lo, s9
	s_cselect_b32 s2, s8, 0
	s_mov_b32 s3, exec_lo
	s_waitcnt lgkmcnt(0)
	s_barrier
	buffer_gl0_inv
	v_cmpx_gt_i32_e64 s20, v0
	s_cbranch_execz .LBB117_12
; %bb.9:
	s_load_dwordx4 s[8:11], s[4:5], 0x0
	s_mul_hi_u32 s0, s19, s2
	s_mul_i32 s22, s24, s6
	s_mul_i32 s24, s25, s17
	s_add_i32 s0, s2, s0
	s_ashr_i32 s25, s24, 31
	s_mul_i32 s16, s15, s16
	s_mul_hi_i32 s27, s2, s13
	s_mul_i32 s26, s2, s13
	s_lshr_b32 s15, s0, s1
	s_lshl_b64 s[0:1], s[24:25], 2
	v_lshlrev_b32_e32 v1, 3, v0
	s_ashr_i32 s17, s16, 31
	s_ashr_i32 s23, s22, 31
	s_lshl_b64 s[26:27], s[26:27], 2
	s_mul_hi_i32 s13, s15, s12
	s_mul_i32 s12, s15, s12
	v_lshlrev_b32_e32 v3, 2, v0
	v_mov_b32_e32 v6, 0
	v_mov_b32_e32 v7, v0
	s_waitcnt lgkmcnt(0)
	s_add_u32 s0, s10, s0
	s_addc_u32 s1, s11, s1
	s_add_u32 s0, s0, s26
	s_addc_u32 s1, s1, s27
	v_add_co_u32 v1, s0, s0, v1
	v_add_co_ci_u32_e64 v2, null, s1, 0, s0
	s_lshl_b64 s[10:11], s[12:13], 1
	v_add_co_u32 v1, s0, v1, 4
	v_add_co_ci_u32_e64 v2, null, 0, v2, s0
	s_lshl_b64 s[0:1], s[16:17], 1
	s_lshl_b64 s[12:13], s[22:23], 1
	s_add_u32 s0, s8, s0
	s_addc_u32 s1, s9, s1
	s_add_u32 s0, s0, s12
	s_addc_u32 s1, s1, s13
	;; [unrolled: 2-line block ×3, first 2 shown]
	v_add_co_u32 v3, s0, s0, v3
	v_add_co_ci_u32_e64 v4, null, s1, 0, s0
	s_mov_b32 s8, 0
	.p2align	6
.LBB117_10:                             ; =>This Inner Loop Header: Depth=1
	global_load_dwordx2 v[8:9], v[1:2], off offset:-4
	global_load_dword v10, v[3:4], off
	v_add_nc_u32_e32 v7, 0xe0, v7
	v_add_co_u32 v1, s0, 0x700, v1
	v_add_co_ci_u32_e64 v2, null, 0, v2, s0
	v_add_co_u32 v3, s0, 0x380, v3
	v_cmp_le_i32_e64 s1, s20, v7
	v_add_co_ci_u32_e64 v4, null, 0, v4, s0
	s_or_b32 s8, s1, s8
	s_waitcnt vmcnt(1)
	v_cvt_f16_f32_e32 v8, v8
	v_cvt_f16_f32_e32 v9, v9
	v_pack_b32_f16 v8, v8, v9
	s_waitcnt vmcnt(0)
	v_pk_fma_f16 v6, v10, v8, v6
	s_andn2_b32 exec_lo, exec_lo, s8
	s_cbranch_execnz .LBB117_10
; %bb.11:
	s_or_b32 exec_lo, exec_lo, s8
	v_cvt_f32_f16_sdwa v1, v6 dst_sel:DWORD dst_unused:UNUSED_PAD src0_sel:WORD_1
	v_cvt_f32_f16_e32 v2, v6
.LBB117_12:
	s_or_b32 exec_lo, exec_lo, s3
	v_mbcnt_lo_u32_b32 v7, -1, 0
	v_add_f32_e32 v2, v2, v1
	v_xor_b32_e32 v3, 16, v7
	v_xor_b32_e32 v9, 1, v7
	v_cmp_gt_i32_e64 s0, 32, v3
	v_cndmask_b32_e64 v3, v7, v3, s0
	v_lshlrev_b32_e32 v1, 2, v3
	v_xor_b32_e32 v3, 8, v7
	ds_bpermute_b32 v4, v1, v2
	v_cmp_gt_i32_e64 s0, 32, v3
	v_cndmask_b32_e64 v3, v7, v3, s0
	v_lshlrev_b32_e32 v3, 2, v3
	s_waitcnt lgkmcnt(0)
	v_add_f32_e32 v2, v2, v4
	v_xor_b32_e32 v4, 4, v7
	ds_bpermute_b32 v6, v3, v2
	v_cmp_gt_i32_e64 s0, 32, v4
	v_cndmask_b32_e64 v4, v7, v4, s0
	v_lshlrev_b32_e32 v4, 2, v4
	s_waitcnt lgkmcnt(0)
	v_add_f32_e32 v2, v2, v6
	v_xor_b32_e32 v6, 2, v7
	ds_bpermute_b32 v8, v4, v2
	v_cmp_gt_i32_e64 s0, 32, v6
	v_cndmask_b32_e64 v6, v7, v6, s0
	v_cmp_gt_i32_e64 s0, 32, v9
	v_lshlrev_b32_e32 v6, 2, v6
	v_cndmask_b32_e64 v7, v7, v9, s0
	v_lshrrev_b32_e32 v9, 3, v0
	v_lshlrev_b32_e32 v7, 2, v7
	v_and_b32_e32 v9, 0x7c, v9
	s_waitcnt lgkmcnt(0)
	v_add_f32_e32 v2, v2, v8
	v_add_nc_u32_e32 v9, 0, v9
	ds_bpermute_b32 v8, v6, v2
	s_waitcnt lgkmcnt(0)
	v_add_f32_e32 v2, v2, v8
	ds_bpermute_b32 v8, v7, v2
	s_waitcnt lgkmcnt(0)
	v_add_f32_e32 v2, v2, v8
	ds_write_b32 v9, v2
	s_waitcnt lgkmcnt(0)
	s_barrier
	buffer_gl0_inv
	s_and_saveexec_b32 s0, vcc_lo
	s_cbranch_execz .LBB117_14
; %bb.13:
	ds_read_b32 v2, v5
	s_waitcnt lgkmcnt(0)
	ds_bpermute_b32 v1, v1, v2
	s_waitcnt lgkmcnt(0)
	v_add_f32_e32 v1, v2, v1
	ds_bpermute_b32 v2, v3, v1
	s_waitcnt lgkmcnt(0)
	v_add_f32_e32 v1, v1, v2
	;; [unrolled: 3-line block ×5, first 2 shown]
.LBB117_14:
	s_or_b32 exec_lo, exec_lo, s0
	s_barrier
	buffer_gl0_inv
	s_mov_b32 s0, exec_lo
	v_cmpx_eq_u32_e32 0, v0
	s_cbranch_execz .LBB117_16
; %bb.15:
	s_load_dwordx2 s[0:1], s[4:5], 0x38
	s_mul_hi_i32 s3, s14, s2
	s_mul_i32 s2, s14, s2
	s_mul_i32 s4, s18, s7
	s_lshl_b64 s[2:3], s[2:3], 2
	s_ashr_i32 s5, s4, 31
	v_mov_b32_e32 v0, 0
	s_waitcnt lgkmcnt(0)
	s_add_u32 s2, s0, s2
	s_addc_u32 s3, s1, s3
	s_lshl_b64 s[0:1], s[4:5], 2
	s_add_u32 s2, s2, s0
	s_addc_u32 s3, s3, s1
	s_ashr_i32 s7, s6, 31
	s_lshl_b64 s[0:1], s[6:7], 2
	s_add_u32 s0, s2, s0
	s_addc_u32 s1, s3, s1
	global_store_dword v0, v2, s[0:1]
.LBB117_16:
	s_endpgm
	.section	.rodata,"a",@progbits
	.p2align	6, 0x0
	.amdhsa_kernel _ZL13mul_mat_vec_fI6__halfS0_Li1ELi224ELb0ELb0EEvPKT_PKfPKi31ggml_cuda_mm_fusion_args_devicePfi15HIP_vector_typeIjLj3EEiiiSB_iiiSB_iiii
		.amdhsa_group_segment_fixed_size 0
		.amdhsa_private_segment_fixed_size 0
		.amdhsa_kernarg_size 144
		.amdhsa_user_sgpr_count 6
		.amdhsa_user_sgpr_private_segment_buffer 1
		.amdhsa_user_sgpr_dispatch_ptr 0
		.amdhsa_user_sgpr_queue_ptr 0
		.amdhsa_user_sgpr_kernarg_segment_ptr 1
		.amdhsa_user_sgpr_dispatch_id 0
		.amdhsa_user_sgpr_flat_scratch_init 0
		.amdhsa_user_sgpr_private_segment_size 0
		.amdhsa_wavefront_size32 1
		.amdhsa_uses_dynamic_stack 0
		.amdhsa_system_sgpr_private_segment_wavefront_offset 0
		.amdhsa_system_sgpr_workgroup_id_x 1
		.amdhsa_system_sgpr_workgroup_id_y 1
		.amdhsa_system_sgpr_workgroup_id_z 1
		.amdhsa_system_sgpr_workgroup_info 0
		.amdhsa_system_vgpr_workitem_id 0
		.amdhsa_next_free_vgpr 11
		.amdhsa_next_free_sgpr 28
		.amdhsa_reserve_vcc 1
		.amdhsa_reserve_flat_scratch 0
		.amdhsa_float_round_mode_32 0
		.amdhsa_float_round_mode_16_64 0
		.amdhsa_float_denorm_mode_32 3
		.amdhsa_float_denorm_mode_16_64 3
		.amdhsa_dx10_clamp 1
		.amdhsa_ieee_mode 1
		.amdhsa_fp16_overflow 0
		.amdhsa_workgroup_processor_mode 1
		.amdhsa_memory_ordered 1
		.amdhsa_forward_progress 1
		.amdhsa_shared_vgpr_count 0
		.amdhsa_exception_fp_ieee_invalid_op 0
		.amdhsa_exception_fp_denorm_src 0
		.amdhsa_exception_fp_ieee_div_zero 0
		.amdhsa_exception_fp_ieee_overflow 0
		.amdhsa_exception_fp_ieee_underflow 0
		.amdhsa_exception_fp_ieee_inexact 0
		.amdhsa_exception_int_div_zero 0
	.end_amdhsa_kernel
	.section	.text._ZL13mul_mat_vec_fI6__halfS0_Li1ELi224ELb0ELb0EEvPKT_PKfPKi31ggml_cuda_mm_fusion_args_devicePfi15HIP_vector_typeIjLj3EEiiiSB_iiiSB_iiii,"axG",@progbits,_ZL13mul_mat_vec_fI6__halfS0_Li1ELi224ELb0ELb0EEvPKT_PKfPKi31ggml_cuda_mm_fusion_args_devicePfi15HIP_vector_typeIjLj3EEiiiSB_iiiSB_iiii,comdat
.Lfunc_end117:
	.size	_ZL13mul_mat_vec_fI6__halfS0_Li1ELi224ELb0ELb0EEvPKT_PKfPKi31ggml_cuda_mm_fusion_args_devicePfi15HIP_vector_typeIjLj3EEiiiSB_iiiSB_iiii, .Lfunc_end117-_ZL13mul_mat_vec_fI6__halfS0_Li1ELi224ELb0ELb0EEvPKT_PKfPKi31ggml_cuda_mm_fusion_args_devicePfi15HIP_vector_typeIjLj3EEiiiSB_iiiSB_iiii
                                        ; -- End function
	.set _ZL13mul_mat_vec_fI6__halfS0_Li1ELi224ELb0ELb0EEvPKT_PKfPKi31ggml_cuda_mm_fusion_args_devicePfi15HIP_vector_typeIjLj3EEiiiSB_iiiSB_iiii.num_vgpr, 11
	.set _ZL13mul_mat_vec_fI6__halfS0_Li1ELi224ELb0ELb0EEvPKT_PKfPKi31ggml_cuda_mm_fusion_args_devicePfi15HIP_vector_typeIjLj3EEiiiSB_iiiSB_iiii.num_agpr, 0
	.set _ZL13mul_mat_vec_fI6__halfS0_Li1ELi224ELb0ELb0EEvPKT_PKfPKi31ggml_cuda_mm_fusion_args_devicePfi15HIP_vector_typeIjLj3EEiiiSB_iiiSB_iiii.numbered_sgpr, 28
	.set _ZL13mul_mat_vec_fI6__halfS0_Li1ELi224ELb0ELb0EEvPKT_PKfPKi31ggml_cuda_mm_fusion_args_devicePfi15HIP_vector_typeIjLj3EEiiiSB_iiiSB_iiii.num_named_barrier, 0
	.set _ZL13mul_mat_vec_fI6__halfS0_Li1ELi224ELb0ELb0EEvPKT_PKfPKi31ggml_cuda_mm_fusion_args_devicePfi15HIP_vector_typeIjLj3EEiiiSB_iiiSB_iiii.private_seg_size, 0
	.set _ZL13mul_mat_vec_fI6__halfS0_Li1ELi224ELb0ELb0EEvPKT_PKfPKi31ggml_cuda_mm_fusion_args_devicePfi15HIP_vector_typeIjLj3EEiiiSB_iiiSB_iiii.uses_vcc, 1
	.set _ZL13mul_mat_vec_fI6__halfS0_Li1ELi224ELb0ELb0EEvPKT_PKfPKi31ggml_cuda_mm_fusion_args_devicePfi15HIP_vector_typeIjLj3EEiiiSB_iiiSB_iiii.uses_flat_scratch, 0
	.set _ZL13mul_mat_vec_fI6__halfS0_Li1ELi224ELb0ELb0EEvPKT_PKfPKi31ggml_cuda_mm_fusion_args_devicePfi15HIP_vector_typeIjLj3EEiiiSB_iiiSB_iiii.has_dyn_sized_stack, 0
	.set _ZL13mul_mat_vec_fI6__halfS0_Li1ELi224ELb0ELb0EEvPKT_PKfPKi31ggml_cuda_mm_fusion_args_devicePfi15HIP_vector_typeIjLj3EEiiiSB_iiiSB_iiii.has_recursion, 0
	.set _ZL13mul_mat_vec_fI6__halfS0_Li1ELi224ELb0ELb0EEvPKT_PKfPKi31ggml_cuda_mm_fusion_args_devicePfi15HIP_vector_typeIjLj3EEiiiSB_iiiSB_iiii.has_indirect_call, 0
	.section	.AMDGPU.csdata,"",@progbits
; Kernel info:
; codeLenInByte = 1112
; TotalNumSgprs: 30
; NumVgprs: 11
; ScratchSize: 0
; MemoryBound: 0
; FloatMode: 240
; IeeeMode: 1
; LDSByteSize: 0 bytes/workgroup (compile time only)
; SGPRBlocks: 0
; VGPRBlocks: 1
; NumSGPRsForWavesPerEU: 30
; NumVGPRsForWavesPerEU: 11
; Occupancy: 16
; WaveLimiterHint : 0
; COMPUTE_PGM_RSRC2:SCRATCH_EN: 0
; COMPUTE_PGM_RSRC2:USER_SGPR: 6
; COMPUTE_PGM_RSRC2:TRAP_HANDLER: 0
; COMPUTE_PGM_RSRC2:TGID_X_EN: 1
; COMPUTE_PGM_RSRC2:TGID_Y_EN: 1
; COMPUTE_PGM_RSRC2:TGID_Z_EN: 1
; COMPUTE_PGM_RSRC2:TIDIG_COMP_CNT: 0
	.section	.text._ZL13mul_mat_vec_fI6__halfS0_Li1ELi256ELb1ELb0EEvPKT_PKfPKi31ggml_cuda_mm_fusion_args_devicePfi15HIP_vector_typeIjLj3EEiiiSB_iiiSB_iiii,"axG",@progbits,_ZL13mul_mat_vec_fI6__halfS0_Li1ELi256ELb1ELb0EEvPKT_PKfPKi31ggml_cuda_mm_fusion_args_devicePfi15HIP_vector_typeIjLj3EEiiiSB_iiiSB_iiii,comdat
	.globl	_ZL13mul_mat_vec_fI6__halfS0_Li1ELi256ELb1ELb0EEvPKT_PKfPKi31ggml_cuda_mm_fusion_args_devicePfi15HIP_vector_typeIjLj3EEiiiSB_iiiSB_iiii ; -- Begin function _ZL13mul_mat_vec_fI6__halfS0_Li1ELi256ELb1ELb0EEvPKT_PKfPKi31ggml_cuda_mm_fusion_args_devicePfi15HIP_vector_typeIjLj3EEiiiSB_iiiSB_iiii
	.p2align	8
	.type	_ZL13mul_mat_vec_fI6__halfS0_Li1ELi256ELb1ELb0EEvPKT_PKfPKi31ggml_cuda_mm_fusion_args_devicePfi15HIP_vector_typeIjLj3EEiiiSB_iiiSB_iiii,@function
_ZL13mul_mat_vec_fI6__halfS0_Li1ELi256ELb1ELb0EEvPKT_PKfPKi31ggml_cuda_mm_fusion_args_devicePfi15HIP_vector_typeIjLj3EEiiiSB_iiiSB_iiii: ; @_ZL13mul_mat_vec_fI6__halfS0_Li1ELi256ELb1ELb0EEvPKT_PKfPKi31ggml_cuda_mm_fusion_args_devicePfi15HIP_vector_typeIjLj3EEiiiSB_iiiSB_iiii
; %bb.0:
	s_clause 0x3
	s_load_dwordx8 s[12:19], s[4:5], 0x0
	s_load_dwordx4 s[24:27], s[4:5], 0x20
	s_load_dwordx4 s[36:39], s[4:5], 0x40
	s_load_dwordx4 s[28:31], s[4:5], 0x80
	s_mov_b32 s0, s7
	s_waitcnt lgkmcnt(0)
	s_cmp_eq_u64 s[16:17], 0
	s_cselect_b32 s10, -1, 0
	s_cmp_lg_u64 s[16:17], 0
	s_cselect_b32 s1, -1, 0
	s_and_b32 vcc_lo, exec_lo, s10
	s_cbranch_vccnz .LBB118_2
; %bb.1:
	s_mul_i32 s2, s31, s8
	s_mov_b32 s3, 0
	s_add_i32 s2, s2, s0
	s_lshl_b64 s[20:21], s[2:3], 2
	s_add_u32 s16, s16, s20
	s_addc_u32 s17, s17, s21
	s_load_dword s7, s[16:17], 0x0
	s_load_dword s16, s[4:5], 0x50
	s_waitcnt lgkmcnt(0)
	s_mov_b32 s3, s7
	s_cbranch_execz .LBB118_3
	s_branch .LBB118_4
.LBB118_2:
                                        ; implicit-def: $sgpr7
	s_load_dword s16, s[4:5], 0x50
	s_mov_b32 s3, s7
.LBB118_3:
	s_load_dwordx2 s[2:3], s[4:5], 0x5c
	s_mov_b32 s7, s0
	s_waitcnt lgkmcnt(0)
	s_mul_hi_u32 s2, s2, s0
	s_add_i32 s2, s0, s2
	s_lshr_b32 s3, s2, s3
.LBB118_4:
	s_load_dwordx4 s[20:23], s[4:5], 0x68
	s_andn2_b32 vcc_lo, exec_lo, s1
	s_mov_b32 s17, s0
	s_cbranch_vccnz .LBB118_6
; %bb.5:
	s_mul_hi_u32 s1, s37, s0
	s_add_i32 s1, s0, s1
	s_lshr_b32 s1, s1, s38
	s_mul_i32 s1, s1, s39
	s_sub_i32 s17, s0, s1
.LBB118_6:
	s_load_dword s31, s[4:5], 0x78
	s_cmp_lg_u64 s[24:25], 0
	v_cmp_gt_u32_e64 s2, 32, v0
	v_lshl_add_u32 v7, v0, 2, 0
	s_cselect_b32 s1, -1, 0
	s_cmp_eq_u64 s[24:25], 0
	s_cselect_b32 s9, -1, 0
	s_and_saveexec_b32 s11, s2
	s_cbranch_execz .LBB118_9
; %bb.7:
	v_mov_b32_e32 v1, 0
	s_andn2_b32 vcc_lo, exec_lo, s1
	ds_write_b32 v7, v1
	s_cbranch_vccnz .LBB118_9
; %bb.8:
	ds_write_b32 v7, v1 offset:128
.LBB118_9:
	s_or_b32 exec_lo, exec_lo, s11
	v_mov_b32_e32 v8, 0
	v_mov_b32_e32 v4, 0
	;; [unrolled: 1-line block ×3, first 2 shown]
	s_and_b32 s10, exec_lo, s10
	s_cselect_b32 s11, s8, 0
	s_mov_b32 s10, 0
	s_mov_b32 s8, exec_lo
	s_waitcnt lgkmcnt(0)
	s_barrier
	buffer_gl0_inv
	v_cmpx_gt_i32_e64 s36, v0
	s_cbranch_execz .LBB118_16
; %bb.10:
	s_mul_hi_u32 s23, s23, s11
	s_mul_i32 s3, s3, s20
	s_add_i32 s23, s11, s23
	s_mul_i32 s16, s16, s6
	s_lshr_b32 s20, s23, s31
	s_ashr_i32 s31, s16, 31
	s_mul_hi_i32 s23, s20, s28
	s_mul_i32 s20, s20, s28
	s_ashr_i32 s28, s3, 31
	s_add_u32 s16, s20, s16
	s_addc_u32 s23, s23, s31
	s_mul_i32 s20, s17, s21
	s_add_u32 s16, s16, s3
	s_addc_u32 s17, s23, s28
	s_ashr_i32 s21, s20, 31
	s_and_b32 s3, s1, exec_lo
	s_cselect_b32 s35, s17, 0
	s_cselect_b32 s34, s16, 0
	v_lshlrev_b32_e32 v5, 2, v0
	s_cselect_b32 s3, s25, 0
	s_cselect_b32 s23, s24, 0
	s_lshl_b64 s[24:25], s[34:35], 1
	v_lshlrev_b32_e32 v3, 3, v0
	s_add_u32 s23, s23, s24
	s_addc_u32 s3, s3, s25
	s_mul_hi_i32 s25, s11, s29
	s_mul_i32 s24, s11, s29
	v_add_co_u32 v1, s23, s23, v5
	s_lshl_b64 s[20:21], s[20:21], 2
	s_lshl_b64 s[24:25], s[24:25], 2
	v_add_co_ci_u32_e64 v2, null, s3, 0, s23
	s_add_u32 s3, s14, s20
	s_addc_u32 s14, s15, s21
	s_add_u32 s3, s3, s24
	s_addc_u32 s14, s14, s25
	v_add_co_u32 v3, s3, s3, v3
	v_add_co_ci_u32_e64 v4, null, s14, 0, s3
	s_lshl_b64 s[14:15], s[16:17], 1
	v_add_co_u32 v3, vcc_lo, v3, 4
	s_add_u32 s3, s12, s14
	s_addc_u32 s12, s13, s15
	v_add_co_u32 v5, s3, s3, v5
	v_add_co_ci_u32_e64 v4, null, 0, v4, vcc_lo
	v_add_co_ci_u32_e64 v6, null, s12, 0, s3
	v_mov_b32_e32 v8, 0
	v_mov_b32_e32 v10, v0
	;; [unrolled: 1-line block ×3, first 2 shown]
	s_inst_prefetch 0x1
	s_branch .LBB118_13
	.p2align	6
.LBB118_11:                             ;   in Loop: Header=BB118_13 Depth=1
	global_load_dword v12, v[1:2], off
.LBB118_12:                             ;   in Loop: Header=BB118_13 Depth=1
	global_load_dwordx2 v[13:14], v[3:4], off offset:-4
	v_add_nc_u32_e32 v10, 0x100, v10
	v_add_co_u32 v1, vcc_lo, 0x400, v1
	v_add_co_ci_u32_e64 v2, null, 0, v2, vcc_lo
	v_add_co_u32 v3, vcc_lo, 0x800, v3
	v_add_co_ci_u32_e64 v4, null, 0, v4, vcc_lo
	v_cmp_le_i32_e32 vcc_lo, s36, v10
	v_add_co_u32 v5, s3, 0x400, v5
	v_add_co_ci_u32_e64 v6, null, 0, v6, s3
	s_or_b32 s10, vcc_lo, s10
	s_waitcnt vmcnt(0)
	v_cvt_f16_f32_e32 v13, v13
	v_cvt_f16_f32_e32 v14, v14
	v_pack_b32_f16 v13, v13, v14
	v_pk_fma_f16 v12, v12, v13, v9
	v_pk_fma_f16 v8, v11, v13, v8
	v_cndmask_b32_e64 v9, v9, v12, s1
	s_andn2_b32 exec_lo, exec_lo, s10
	s_cbranch_execz .LBB118_15
.LBB118_13:                             ; =>This Inner Loop Header: Depth=1
	global_load_dword v11, v[5:6], off
	s_andn2_b32 vcc_lo, exec_lo, s1
	s_cbranch_vccz .LBB118_11
; %bb.14:                               ;   in Loop: Header=BB118_13 Depth=1
	v_mov_b32_e32 v12, 0
	s_branch .LBB118_12
.LBB118_15:
	s_inst_prefetch 0x2
	s_or_b32 exec_lo, exec_lo, s10
	v_cvt_f32_f16_sdwa v4, v9 dst_sel:DWORD dst_unused:UNUSED_PAD src0_sel:WORD_1
	v_cvt_f32_f16_e32 v5, v9
.LBB118_16:
	s_or_b32 exec_lo, exec_lo, s8
	v_mbcnt_lo_u32_b32 v1, -1, 0
	v_cvt_f32_f16_e32 v3, v8
	v_cvt_f32_f16_sdwa v6, v8 dst_sel:DWORD dst_unused:UNUSED_PAD src0_sel:WORD_1
	s_load_dword s10, s[4:5], 0x30
	s_mov_b32 s3, -1
	v_xor_b32_e32 v2, 16, v1
	v_add_f32_e32 v8, v3, v6
	v_xor_b32_e32 v6, 8, v1
	v_cmp_gt_i32_e32 vcc_lo, 32, v2
	v_cndmask_b32_e32 v2, v1, v2, vcc_lo
	v_cmp_gt_i32_e32 vcc_lo, 32, v6
	v_lshlrev_b32_e32 v3, 2, v2
	v_cndmask_b32_e32 v6, v1, v6, vcc_lo
	ds_bpermute_b32 v2, v3, v8
	v_lshlrev_b32_e32 v6, 2, v6
	s_waitcnt lgkmcnt(0)
	v_add_f32_e32 v2, v8, v2
	v_xor_b32_e32 v8, 4, v1
	ds_bpermute_b32 v9, v6, v2
	v_cmp_gt_i32_e32 vcc_lo, 32, v8
	v_cndmask_b32_e32 v8, v1, v8, vcc_lo
	v_lshlrev_b32_e32 v8, 2, v8
	s_waitcnt lgkmcnt(0)
	v_add_f32_e32 v2, v2, v9
	v_xor_b32_e32 v9, 2, v1
	ds_bpermute_b32 v10, v8, v2
	v_cmp_gt_i32_e32 vcc_lo, 32, v9
	v_cndmask_b32_e32 v9, v1, v9, vcc_lo
	;; [unrolled: 7-line block ×3, first 2 shown]
	s_and_b32 vcc_lo, exec_lo, s9
	v_lshlrev_b32_e32 v10, 2, v1
	s_waitcnt lgkmcnt(0)
	v_add_f32_e32 v1, v2, v11
	v_lshrrev_b32_e32 v11, 5, v0
	ds_bpermute_b32 v2, v10, v1
	v_lshl_add_u32 v11, v11, 2, 0
	s_waitcnt lgkmcnt(0)
	v_add_f32_e32 v1, v1, v2
	s_cbranch_vccz .LBB118_18
; %bb.17:
	s_mov_b32 s3, 0
	ds_write_b32 v11, v1
.LBB118_18:
	v_mov_b32_e32 v2, 0
	s_andn2_b32 vcc_lo, exec_lo, s3
	s_cbranch_vccnz .LBB118_20
; %bb.19:
	v_add_f32_e32 v2, v5, v4
	ds_bpermute_b32 v4, v3, v2
	s_waitcnt lgkmcnt(0)
	v_add_f32_e32 v2, v2, v4
	ds_bpermute_b32 v4, v6, v2
	s_waitcnt lgkmcnt(0)
	;; [unrolled: 3-line block ×5, first 2 shown]
	v_add_f32_e32 v2, v2, v4
	ds_write2_b32 v11, v1, v2 offset1:32
.LBB118_20:
	s_waitcnt lgkmcnt(0)
	s_barrier
	buffer_gl0_inv
	s_and_saveexec_b32 s3, s2
	s_cbranch_execz .LBB118_24
; %bb.21:
	ds_read_b32 v1, v7
	s_andn2_b32 vcc_lo, exec_lo, s1
	s_waitcnt lgkmcnt(0)
	ds_bpermute_b32 v4, v3, v1
	s_waitcnt lgkmcnt(0)
	v_add_f32_e32 v1, v1, v4
	ds_bpermute_b32 v4, v6, v1
	s_waitcnt lgkmcnt(0)
	v_add_f32_e32 v1, v1, v4
	;; [unrolled: 3-line block ×4, first 2 shown]
	ds_bpermute_b32 v4, v10, v1
	s_cbranch_vccnz .LBB118_23
; %bb.22:
	ds_read_b32 v2, v7 offset:128
	s_waitcnt lgkmcnt(0)
	ds_bpermute_b32 v3, v3, v2
	s_waitcnt lgkmcnt(0)
	v_add_f32_e32 v2, v2, v3
	ds_bpermute_b32 v3, v6, v2
	s_waitcnt lgkmcnt(0)
	v_add_f32_e32 v2, v2, v3
	;; [unrolled: 3-line block ×5, first 2 shown]
.LBB118_23:
	s_waitcnt lgkmcnt(0)
	v_add_f32_e32 v1, v1, v4
.LBB118_24:
	s_or_b32 exec_lo, exec_lo, s3
	s_barrier
	buffer_gl0_inv
	s_mov_b32 s2, exec_lo
	v_cmpx_eq_u32_e32 0, v0
	s_cbranch_execz .LBB118_48
; %bb.25:
	s_cmp_eq_u64 s[18:19], 0
	s_mul_i32 s8, s7, s22
	s_cselect_b32 s2, -1, 0
	s_ashr_i32 s9, s8, 31
	s_mul_hi_i32 s3, s30, s11
	s_and_b32 vcc_lo, exec_lo, s2
	s_mul_i32 s2, s30, s11
	s_cbranch_vccnz .LBB118_27
; %bb.26:
	s_cselect_b32 s7, 0, s19
	s_cselect_b32 s11, 0, s18
	s_lshl_b64 s[12:13], s[2:3], 2
	s_add_u32 s11, s11, s12
	s_addc_u32 s7, s7, s13
	s_lshl_b64 s[12:13], s[8:9], 2
	s_add_u32 s11, s11, s12
	s_addc_u32 s14, s7, s13
	s_ashr_i32 s7, s6, 31
	s_lshl_b64 s[12:13], s[6:7], 2
	s_add_u32 s12, s11, s12
	s_addc_u32 s13, s14, s13
	s_load_dword s7, s[12:13], 0x0
	s_waitcnt lgkmcnt(0)
	v_add_f32_e32 v1, s7, v1
.LBB118_27:
	s_andn2_b32 vcc_lo, exec_lo, s1
	s_cbranch_vccnz .LBB118_47
; %bb.28:
	s_cmp_lg_u64 s[26:27], 0
	s_cselect_b32 s7, -1, 0
	s_and_b32 s1, s7, s1
	s_andn2_b32 vcc_lo, exec_lo, s1
	s_cbranch_vccnz .LBB118_30
; %bb.29:
	s_and_b32 s1, s7, exec_lo
	s_cselect_b32 s1, s27, 0
	s_cselect_b32 s7, s26, 0
	s_lshl_b64 s[12:13], s[2:3], 2
	s_add_u32 s7, s7, s12
	s_addc_u32 s1, s1, s13
	s_lshl_b64 s[8:9], s[8:9], 2
	s_add_u32 s11, s7, s8
	s_addc_u32 s1, s1, s9
	s_ashr_i32 s7, s6, 31
	s_lshl_b64 s[8:9], s[6:7], 2
	s_add_u32 s8, s11, s8
	s_addc_u32 s9, s1, s9
	s_load_dword s1, s[8:9], 0x0
	s_waitcnt lgkmcnt(0)
	v_add_f32_e32 v2, s1, v2
.LBB118_30:
	s_cmp_lt_i32 s10, 2
	s_cbranch_scc1 .LBB118_35
; %bb.31:
	s_cmp_lt_i32 s10, 3
	s_cbranch_scc1 .LBB118_36
; %bb.32:
	v_mov_b32_e32 v0, v1
	s_cmp_eq_u32 s10, 3
	s_cbranch_scc0 .LBB118_34
; %bb.33:
	v_max_f32_e32 v0, v2, v2
	v_min_f32_e32 v0, 0x40e00000, v0
	v_mul_f32_e32 v3, 0xbfd9db23, v0
	v_mul_f32_e32 v4, 0x3fb8aa3b, v3
	v_cmp_ngt_f32_e32 vcc_lo, 0xc2ce8ed0, v3
	v_fma_f32 v5, 0x3fb8aa3b, v3, -v4
	v_rndne_f32_e32 v6, v4
	v_fmamk_f32 v5, v3, 0x32a5705f, v5
	v_sub_f32_e32 v4, v4, v6
	v_add_f32_e32 v4, v4, v5
	v_cvt_i32_f32_e32 v5, v6
	v_exp_f32_e32 v4, v4
	v_ldexp_f32 v4, v4, v5
	v_cndmask_b32_e32 v4, 0, v4, vcc_lo
	v_cmp_nlt_f32_e32 vcc_lo, 0x42b17218, v3
	v_cndmask_b32_e32 v3, 0x7f800000, v4, vcc_lo
	v_add_f32_e32 v3, 1.0, v3
	v_div_scale_f32 v4, null, v3, v3, v0
	v_div_scale_f32 v7, vcc_lo, v0, v3, v0
	v_rcp_f32_e32 v5, v4
	v_fma_f32 v6, -v4, v5, 1.0
	v_fmac_f32_e32 v5, v6, v5
	v_mul_f32_e32 v6, v7, v5
	v_fma_f32 v8, -v4, v6, v7
	v_fmac_f32_e32 v6, v8, v5
	v_max_f32_e32 v8, v1, v1
	v_fma_f32 v4, -v4, v6, v7
	v_min_f32_e32 v7, 0x40e00000, v8
	v_div_fmas_f32 v4, v4, v5, v6
	v_max_f32_e32 v5, 0xc0e00000, v7
	v_div_fixup_f32 v0, v4, v3, v0
	v_add_f32_e32 v3, 1.0, v5
	v_mul_f32_e32 v0, v3, v0
.LBB118_34:
	s_cbranch_execz .LBB118_37
	s_branch .LBB118_38
.LBB118_35:
                                        ; implicit-def: $vgpr0
	s_branch .LBB118_39
.LBB118_36:
                                        ; implicit-def: $vgpr0
.LBB118_37:
	v_mul_f32_e32 v0, 0xbfb8aa3b, v2
	v_cmp_nlt_f32_e32 vcc_lo, 0x42ce8ed0, v2
	v_rndne_f32_e32 v3, v0
	v_fma_f32 v4, 0xbfb8aa3b, v2, -v0
	v_sub_f32_e32 v0, v0, v3
	v_fmamk_f32 v4, v2, 0xb2a5705f, v4
	v_cvt_i32_f32_e32 v3, v3
	v_add_f32_e32 v0, v0, v4
	v_exp_f32_e32 v0, v0
	v_ldexp_f32 v0, v0, v3
	v_cndmask_b32_e32 v0, 0, v0, vcc_lo
	v_cmp_ngt_f32_e32 vcc_lo, 0xc2b17218, v2
	v_cndmask_b32_e32 v0, 0x7f800000, v0, vcc_lo
	v_add_f32_e32 v0, 1.0, v0
	v_div_scale_f32 v3, null, v0, v0, v2
	v_rcp_f32_e32 v4, v3
	v_fma_f32 v5, -v3, v4, 1.0
	v_fmac_f32_e32 v4, v5, v4
	v_div_scale_f32 v5, vcc_lo, v2, v0, v2
	v_mul_f32_e32 v6, v5, v4
	v_fma_f32 v7, -v3, v6, v5
	v_fmac_f32_e32 v6, v7, v4
	v_fma_f32 v3, -v3, v6, v5
	v_div_fmas_f32 v3, v3, v4, v6
	v_div_fixup_f32 v0, v3, v0, v2
	v_mul_f32_e32 v0, v1, v0
.LBB118_38:
	s_cbranch_execnz .LBB118_46
.LBB118_39:
	s_cmp_eq_u32 s10, 1
	s_cbranch_scc0 .LBB118_45
; %bb.40:
	v_mul_f32_e32 v0, 0x3d372713, v2
	v_mul_f32_e32 v3, 0x3f4c422a, v2
	v_fma_f32 v0, v2, v0, 1.0
	v_mul_f32_e32 v0, v3, v0
                                        ; implicit-def: $vgpr3
	v_cmp_ngt_f32_e64 s1, 0x3f200000, |v0|
	s_and_saveexec_b32 s7, s1
	s_xor_b32 s1, exec_lo, s7
	s_cbranch_execz .LBB118_42
; %bb.41:
	v_add_f32_e64 v3, |v0|, |v0|
	v_mul_f32_e32 v4, 0x3fb8aa3b, v3
	v_cmp_ngt_f32_e32 vcc_lo, 0xc2ce8ed0, v3
	v_rndne_f32_e32 v5, v4
	v_fma_f32 v6, 0x3fb8aa3b, v3, -v4
	v_sub_f32_e32 v4, v4, v5
	v_fmamk_f32 v6, v3, 0x32a5705f, v6
	v_cvt_i32_f32_e32 v5, v5
	v_add_f32_e32 v4, v4, v6
	v_exp_f32_e32 v4, v4
	v_ldexp_f32 v4, v4, v5
	v_cndmask_b32_e32 v4, 0, v4, vcc_lo
	v_cmp_nlt_f32_e32 vcc_lo, 0x42b17218, v3
	v_cndmask_b32_e32 v3, 0x7f800000, v4, vcc_lo
	v_add_f32_e32 v3, 1.0, v3
	v_rcp_f32_e32 v3, v3
	v_fma_f32 v3, v3, -2.0, 1.0
.LBB118_42:
	s_andn2_saveexec_b32 s1, s1
	s_cbranch_execz .LBB118_44
; %bb.43:
	v_mul_f32_e32 v3, v0, v0
	s_mov_b32 s7, 0xbbbac73d
	v_fmaak_f32 v4, s7, v3, 0x3ca908c9
	v_fmaak_f32 v4, v3, v4, 0xbd5c1c4e
	;; [unrolled: 1-line block ×4, first 2 shown]
	v_mul_f32_e64 v4, |v0|, v4
	v_fma_f32 v3, v3, v4, |v0|
.LBB118_44:
	s_or_b32 exec_lo, exec_lo, s1
	v_bfi_b32 v0, 0x7fffffff, v3, v0
	v_mul_f32_e32 v2, 0.5, v2
	v_add_f32_e32 v0, 1.0, v0
	v_mul_f32_e32 v0, v2, v0
	v_mul_f32_e32 v1, v1, v0
.LBB118_45:
	v_mov_b32_e32 v0, v1
.LBB118_46:
	v_mov_b32_e32 v1, v0
.LBB118_47:
	s_load_dwordx2 s[4:5], s[4:5], 0x38
	s_mul_i32 s0, s22, s0
	s_lshl_b64 s[2:3], s[2:3], 2
	s_ashr_i32 s1, s0, 31
	v_mov_b32_e32 v0, 0
	s_waitcnt lgkmcnt(0)
	s_add_u32 s2, s4, s2
	s_addc_u32 s3, s5, s3
	s_lshl_b64 s[0:1], s[0:1], 2
	s_add_u32 s2, s2, s0
	s_addc_u32 s3, s3, s1
	s_ashr_i32 s7, s6, 31
	s_lshl_b64 s[0:1], s[6:7], 2
	s_add_u32 s0, s2, s0
	s_addc_u32 s1, s3, s1
	global_store_dword v0, v1, s[0:1]
.LBB118_48:
	s_endpgm
	.section	.rodata,"a",@progbits
	.p2align	6, 0x0
	.amdhsa_kernel _ZL13mul_mat_vec_fI6__halfS0_Li1ELi256ELb1ELb0EEvPKT_PKfPKi31ggml_cuda_mm_fusion_args_devicePfi15HIP_vector_typeIjLj3EEiiiSB_iiiSB_iiii
		.amdhsa_group_segment_fixed_size 0
		.amdhsa_private_segment_fixed_size 0
		.amdhsa_kernarg_size 144
		.amdhsa_user_sgpr_count 6
		.amdhsa_user_sgpr_private_segment_buffer 1
		.amdhsa_user_sgpr_dispatch_ptr 0
		.amdhsa_user_sgpr_queue_ptr 0
		.amdhsa_user_sgpr_kernarg_segment_ptr 1
		.amdhsa_user_sgpr_dispatch_id 0
		.amdhsa_user_sgpr_flat_scratch_init 0
		.amdhsa_user_sgpr_private_segment_size 0
		.amdhsa_wavefront_size32 1
		.amdhsa_uses_dynamic_stack 0
		.amdhsa_system_sgpr_private_segment_wavefront_offset 0
		.amdhsa_system_sgpr_workgroup_id_x 1
		.amdhsa_system_sgpr_workgroup_id_y 1
		.amdhsa_system_sgpr_workgroup_id_z 1
		.amdhsa_system_sgpr_workgroup_info 0
		.amdhsa_system_vgpr_workitem_id 0
		.amdhsa_next_free_vgpr 15
		.amdhsa_next_free_sgpr 40
		.amdhsa_reserve_vcc 1
		.amdhsa_reserve_flat_scratch 0
		.amdhsa_float_round_mode_32 0
		.amdhsa_float_round_mode_16_64 0
		.amdhsa_float_denorm_mode_32 3
		.amdhsa_float_denorm_mode_16_64 3
		.amdhsa_dx10_clamp 1
		.amdhsa_ieee_mode 1
		.amdhsa_fp16_overflow 0
		.amdhsa_workgroup_processor_mode 1
		.amdhsa_memory_ordered 1
		.amdhsa_forward_progress 1
		.amdhsa_shared_vgpr_count 0
		.amdhsa_exception_fp_ieee_invalid_op 0
		.amdhsa_exception_fp_denorm_src 0
		.amdhsa_exception_fp_ieee_div_zero 0
		.amdhsa_exception_fp_ieee_overflow 0
		.amdhsa_exception_fp_ieee_underflow 0
		.amdhsa_exception_fp_ieee_inexact 0
		.amdhsa_exception_int_div_zero 0
	.end_amdhsa_kernel
	.section	.text._ZL13mul_mat_vec_fI6__halfS0_Li1ELi256ELb1ELb0EEvPKT_PKfPKi31ggml_cuda_mm_fusion_args_devicePfi15HIP_vector_typeIjLj3EEiiiSB_iiiSB_iiii,"axG",@progbits,_ZL13mul_mat_vec_fI6__halfS0_Li1ELi256ELb1ELb0EEvPKT_PKfPKi31ggml_cuda_mm_fusion_args_devicePfi15HIP_vector_typeIjLj3EEiiiSB_iiiSB_iiii,comdat
.Lfunc_end118:
	.size	_ZL13mul_mat_vec_fI6__halfS0_Li1ELi256ELb1ELb0EEvPKT_PKfPKi31ggml_cuda_mm_fusion_args_devicePfi15HIP_vector_typeIjLj3EEiiiSB_iiiSB_iiii, .Lfunc_end118-_ZL13mul_mat_vec_fI6__halfS0_Li1ELi256ELb1ELb0EEvPKT_PKfPKi31ggml_cuda_mm_fusion_args_devicePfi15HIP_vector_typeIjLj3EEiiiSB_iiiSB_iiii
                                        ; -- End function
	.set _ZL13mul_mat_vec_fI6__halfS0_Li1ELi256ELb1ELb0EEvPKT_PKfPKi31ggml_cuda_mm_fusion_args_devicePfi15HIP_vector_typeIjLj3EEiiiSB_iiiSB_iiii.num_vgpr, 15
	.set _ZL13mul_mat_vec_fI6__halfS0_Li1ELi256ELb1ELb0EEvPKT_PKfPKi31ggml_cuda_mm_fusion_args_devicePfi15HIP_vector_typeIjLj3EEiiiSB_iiiSB_iiii.num_agpr, 0
	.set _ZL13mul_mat_vec_fI6__halfS0_Li1ELi256ELb1ELb0EEvPKT_PKfPKi31ggml_cuda_mm_fusion_args_devicePfi15HIP_vector_typeIjLj3EEiiiSB_iiiSB_iiii.numbered_sgpr, 40
	.set _ZL13mul_mat_vec_fI6__halfS0_Li1ELi256ELb1ELb0EEvPKT_PKfPKi31ggml_cuda_mm_fusion_args_devicePfi15HIP_vector_typeIjLj3EEiiiSB_iiiSB_iiii.num_named_barrier, 0
	.set _ZL13mul_mat_vec_fI6__halfS0_Li1ELi256ELb1ELb0EEvPKT_PKfPKi31ggml_cuda_mm_fusion_args_devicePfi15HIP_vector_typeIjLj3EEiiiSB_iiiSB_iiii.private_seg_size, 0
	.set _ZL13mul_mat_vec_fI6__halfS0_Li1ELi256ELb1ELb0EEvPKT_PKfPKi31ggml_cuda_mm_fusion_args_devicePfi15HIP_vector_typeIjLj3EEiiiSB_iiiSB_iiii.uses_vcc, 1
	.set _ZL13mul_mat_vec_fI6__halfS0_Li1ELi256ELb1ELb0EEvPKT_PKfPKi31ggml_cuda_mm_fusion_args_devicePfi15HIP_vector_typeIjLj3EEiiiSB_iiiSB_iiii.uses_flat_scratch, 0
	.set _ZL13mul_mat_vec_fI6__halfS0_Li1ELi256ELb1ELb0EEvPKT_PKfPKi31ggml_cuda_mm_fusion_args_devicePfi15HIP_vector_typeIjLj3EEiiiSB_iiiSB_iiii.has_dyn_sized_stack, 0
	.set _ZL13mul_mat_vec_fI6__halfS0_Li1ELi256ELb1ELb0EEvPKT_PKfPKi31ggml_cuda_mm_fusion_args_devicePfi15HIP_vector_typeIjLj3EEiiiSB_iiiSB_iiii.has_recursion, 0
	.set _ZL13mul_mat_vec_fI6__halfS0_Li1ELi256ELb1ELb0EEvPKT_PKfPKi31ggml_cuda_mm_fusion_args_devicePfi15HIP_vector_typeIjLj3EEiiiSB_iiiSB_iiii.has_indirect_call, 0
	.section	.AMDGPU.csdata,"",@progbits
; Kernel info:
; codeLenInByte = 2304
; TotalNumSgprs: 42
; NumVgprs: 15
; ScratchSize: 0
; MemoryBound: 0
; FloatMode: 240
; IeeeMode: 1
; LDSByteSize: 0 bytes/workgroup (compile time only)
; SGPRBlocks: 0
; VGPRBlocks: 1
; NumSGPRsForWavesPerEU: 42
; NumVGPRsForWavesPerEU: 15
; Occupancy: 16
; WaveLimiterHint : 1
; COMPUTE_PGM_RSRC2:SCRATCH_EN: 0
; COMPUTE_PGM_RSRC2:USER_SGPR: 6
; COMPUTE_PGM_RSRC2:TRAP_HANDLER: 0
; COMPUTE_PGM_RSRC2:TGID_X_EN: 1
; COMPUTE_PGM_RSRC2:TGID_Y_EN: 1
; COMPUTE_PGM_RSRC2:TGID_Z_EN: 1
; COMPUTE_PGM_RSRC2:TIDIG_COMP_CNT: 0
	.section	.text._ZL13mul_mat_vec_fI6__halfS0_Li1ELi256ELb0ELb0EEvPKT_PKfPKi31ggml_cuda_mm_fusion_args_devicePfi15HIP_vector_typeIjLj3EEiiiSB_iiiSB_iiii,"axG",@progbits,_ZL13mul_mat_vec_fI6__halfS0_Li1ELi256ELb0ELb0EEvPKT_PKfPKi31ggml_cuda_mm_fusion_args_devicePfi15HIP_vector_typeIjLj3EEiiiSB_iiiSB_iiii,comdat
	.globl	_ZL13mul_mat_vec_fI6__halfS0_Li1ELi256ELb0ELb0EEvPKT_PKfPKi31ggml_cuda_mm_fusion_args_devicePfi15HIP_vector_typeIjLj3EEiiiSB_iiiSB_iiii ; -- Begin function _ZL13mul_mat_vec_fI6__halfS0_Li1ELi256ELb0ELb0EEvPKT_PKfPKi31ggml_cuda_mm_fusion_args_devicePfi15HIP_vector_typeIjLj3EEiiiSB_iiiSB_iiii
	.p2align	8
	.type	_ZL13mul_mat_vec_fI6__halfS0_Li1ELi256ELb0ELb0EEvPKT_PKfPKi31ggml_cuda_mm_fusion_args_devicePfi15HIP_vector_typeIjLj3EEiiiSB_iiiSB_iiii,@function
_ZL13mul_mat_vec_fI6__halfS0_Li1ELi256ELb0ELb0EEvPKT_PKfPKi31ggml_cuda_mm_fusion_args_devicePfi15HIP_vector_typeIjLj3EEiiiSB_iiiSB_iiii: ; @_ZL13mul_mat_vec_fI6__halfS0_Li1ELi256ELb0ELb0EEvPKT_PKfPKi31ggml_cuda_mm_fusion_args_devicePfi15HIP_vector_typeIjLj3EEiiiSB_iiiSB_iiii
; %bb.0:
	s_clause 0x2
	s_load_dwordx2 s[2:3], s[4:5], 0x10
	s_load_dwordx4 s[20:23], s[4:5], 0x40
	s_load_dwordx4 s[12:15], s[4:5], 0x80
	s_waitcnt lgkmcnt(0)
	s_cmp_eq_u64 s[2:3], 0
	s_cselect_b32 s9, -1, 0
	s_cmp_lg_u64 s[2:3], 0
	s_cselect_b32 s10, -1, 0
	s_and_b32 vcc_lo, exec_lo, s9
	s_cbranch_vccnz .LBB119_2
; %bb.1:
	s_mul_i32 s0, s15, s8
	s_mov_b32 s1, 0
	s_add_i32 s0, s0, s7
	s_lshl_b64 s[16:17], s[0:1], 2
	s_add_u32 s2, s2, s16
	s_addc_u32 s3, s3, s17
	s_load_dword s15, s[2:3], 0x0
	s_load_dword s24, s[4:5], 0x50
	s_cbranch_execz .LBB119_3
	s_branch .LBB119_4
.LBB119_2:
                                        ; implicit-def: $sgpr15
	s_load_dword s24, s[4:5], 0x50
.LBB119_3:
	s_load_dwordx2 s[0:1], s[4:5], 0x5c
	s_waitcnt lgkmcnt(0)
	s_mul_hi_u32 s0, s0, s7
	s_add_i32 s0, s7, s0
	s_lshr_b32 s15, s0, s1
.LBB119_4:
	s_load_dwordx4 s[16:19], s[4:5], 0x68
	s_andn2_b32 vcc_lo, exec_lo, s10
	s_mov_b32 s25, s7
	s_cbranch_vccnz .LBB119_6
; %bb.5:
	s_mul_hi_u32 s0, s21, s7
	s_add_i32 s0, s7, s0
	s_lshr_b32 s0, s0, s22
	s_mul_i32 s0, s0, s23
	s_sub_i32 s25, s7, s0
.LBB119_6:
	s_load_dword s1, s[4:5], 0x78
	v_cmp_gt_u32_e32 vcc_lo, 32, v0
	v_lshl_add_u32 v5, v0, 2, 0
	s_and_saveexec_b32 s0, vcc_lo
; %bb.7:
	v_mov_b32_e32 v1, 0
	ds_write_b32 v5, v1
; %bb.8:
	s_or_b32 exec_lo, exec_lo, s0
	v_mov_b32_e32 v1, 0
	v_mov_b32_e32 v2, 0
	s_and_b32 s0, exec_lo, s9
	s_cselect_b32 s2, s8, 0
	s_mov_b32 s3, exec_lo
	s_waitcnt lgkmcnt(0)
	s_barrier
	buffer_gl0_inv
	v_cmpx_gt_i32_e64 s20, v0
	s_cbranch_execz .LBB119_12
; %bb.9:
	s_load_dwordx4 s[8:11], s[4:5], 0x0
	s_mul_hi_u32 s0, s19, s2
	s_mul_i32 s22, s24, s6
	s_mul_i32 s24, s25, s17
	s_add_i32 s0, s2, s0
	s_ashr_i32 s25, s24, 31
	s_mul_i32 s16, s15, s16
	s_mul_hi_i32 s27, s2, s13
	s_mul_i32 s26, s2, s13
	s_lshr_b32 s15, s0, s1
	s_lshl_b64 s[0:1], s[24:25], 2
	v_lshlrev_b32_e32 v1, 3, v0
	s_ashr_i32 s17, s16, 31
	s_ashr_i32 s23, s22, 31
	s_lshl_b64 s[26:27], s[26:27], 2
	s_mul_hi_i32 s13, s15, s12
	s_mul_i32 s12, s15, s12
	v_lshlrev_b32_e32 v3, 2, v0
	v_mov_b32_e32 v6, 0
	v_mov_b32_e32 v7, v0
	s_waitcnt lgkmcnt(0)
	s_add_u32 s0, s10, s0
	s_addc_u32 s1, s11, s1
	s_add_u32 s0, s0, s26
	s_addc_u32 s1, s1, s27
	v_add_co_u32 v1, s0, s0, v1
	v_add_co_ci_u32_e64 v2, null, s1, 0, s0
	s_lshl_b64 s[10:11], s[12:13], 1
	v_add_co_u32 v1, s0, v1, 4
	v_add_co_ci_u32_e64 v2, null, 0, v2, s0
	s_lshl_b64 s[0:1], s[16:17], 1
	s_lshl_b64 s[12:13], s[22:23], 1
	s_add_u32 s0, s8, s0
	s_addc_u32 s1, s9, s1
	s_add_u32 s0, s0, s12
	s_addc_u32 s1, s1, s13
	;; [unrolled: 2-line block ×3, first 2 shown]
	v_add_co_u32 v3, s0, s0, v3
	v_add_co_ci_u32_e64 v4, null, s1, 0, s0
	s_mov_b32 s8, 0
	.p2align	6
.LBB119_10:                             ; =>This Inner Loop Header: Depth=1
	global_load_dwordx2 v[8:9], v[1:2], off offset:-4
	global_load_dword v10, v[3:4], off
	v_add_nc_u32_e32 v7, 0x100, v7
	v_add_co_u32 v1, s0, 0x800, v1
	v_add_co_ci_u32_e64 v2, null, 0, v2, s0
	v_add_co_u32 v3, s0, 0x400, v3
	v_cmp_le_i32_e64 s1, s20, v7
	v_add_co_ci_u32_e64 v4, null, 0, v4, s0
	s_or_b32 s8, s1, s8
	s_waitcnt vmcnt(1)
	v_cvt_f16_f32_e32 v8, v8
	v_cvt_f16_f32_e32 v9, v9
	v_pack_b32_f16 v8, v8, v9
	s_waitcnt vmcnt(0)
	v_pk_fma_f16 v6, v10, v8, v6
	s_andn2_b32 exec_lo, exec_lo, s8
	s_cbranch_execnz .LBB119_10
; %bb.11:
	s_or_b32 exec_lo, exec_lo, s8
	v_cvt_f32_f16_sdwa v1, v6 dst_sel:DWORD dst_unused:UNUSED_PAD src0_sel:WORD_1
	v_cvt_f32_f16_e32 v2, v6
.LBB119_12:
	s_or_b32 exec_lo, exec_lo, s3
	v_mbcnt_lo_u32_b32 v7, -1, 0
	v_add_f32_e32 v2, v2, v1
	v_xor_b32_e32 v3, 16, v7
	v_xor_b32_e32 v9, 1, v7
	v_cmp_gt_i32_e64 s0, 32, v3
	v_cndmask_b32_e64 v3, v7, v3, s0
	v_lshlrev_b32_e32 v1, 2, v3
	v_xor_b32_e32 v3, 8, v7
	ds_bpermute_b32 v4, v1, v2
	v_cmp_gt_i32_e64 s0, 32, v3
	v_cndmask_b32_e64 v3, v7, v3, s0
	v_lshlrev_b32_e32 v3, 2, v3
	s_waitcnt lgkmcnt(0)
	v_add_f32_e32 v2, v2, v4
	v_xor_b32_e32 v4, 4, v7
	ds_bpermute_b32 v6, v3, v2
	v_cmp_gt_i32_e64 s0, 32, v4
	v_cndmask_b32_e64 v4, v7, v4, s0
	v_lshlrev_b32_e32 v4, 2, v4
	s_waitcnt lgkmcnt(0)
	v_add_f32_e32 v2, v2, v6
	v_xor_b32_e32 v6, 2, v7
	ds_bpermute_b32 v8, v4, v2
	v_cmp_gt_i32_e64 s0, 32, v6
	v_cndmask_b32_e64 v6, v7, v6, s0
	v_cmp_gt_i32_e64 s0, 32, v9
	v_lshlrev_b32_e32 v6, 2, v6
	v_cndmask_b32_e64 v7, v7, v9, s0
	v_lshrrev_b32_e32 v9, 3, v0
	v_lshlrev_b32_e32 v7, 2, v7
	v_and_b32_e32 v9, 0x7c, v9
	s_waitcnt lgkmcnt(0)
	v_add_f32_e32 v2, v2, v8
	v_add_nc_u32_e32 v9, 0, v9
	ds_bpermute_b32 v8, v6, v2
	s_waitcnt lgkmcnt(0)
	v_add_f32_e32 v2, v2, v8
	ds_bpermute_b32 v8, v7, v2
	s_waitcnt lgkmcnt(0)
	v_add_f32_e32 v2, v2, v8
	ds_write_b32 v9, v2
	s_waitcnt lgkmcnt(0)
	s_barrier
	buffer_gl0_inv
	s_and_saveexec_b32 s0, vcc_lo
	s_cbranch_execz .LBB119_14
; %bb.13:
	ds_read_b32 v2, v5
	s_waitcnt lgkmcnt(0)
	ds_bpermute_b32 v1, v1, v2
	s_waitcnt lgkmcnt(0)
	v_add_f32_e32 v1, v2, v1
	ds_bpermute_b32 v2, v3, v1
	s_waitcnt lgkmcnt(0)
	v_add_f32_e32 v1, v1, v2
	;; [unrolled: 3-line block ×5, first 2 shown]
.LBB119_14:
	s_or_b32 exec_lo, exec_lo, s0
	s_barrier
	buffer_gl0_inv
	s_mov_b32 s0, exec_lo
	v_cmpx_eq_u32_e32 0, v0
	s_cbranch_execz .LBB119_16
; %bb.15:
	s_load_dwordx2 s[0:1], s[4:5], 0x38
	s_mul_hi_i32 s3, s14, s2
	s_mul_i32 s2, s14, s2
	s_mul_i32 s4, s18, s7
	s_lshl_b64 s[2:3], s[2:3], 2
	s_ashr_i32 s5, s4, 31
	v_mov_b32_e32 v0, 0
	s_waitcnt lgkmcnt(0)
	s_add_u32 s2, s0, s2
	s_addc_u32 s3, s1, s3
	s_lshl_b64 s[0:1], s[4:5], 2
	s_add_u32 s2, s2, s0
	s_addc_u32 s3, s3, s1
	s_ashr_i32 s7, s6, 31
	s_lshl_b64 s[0:1], s[6:7], 2
	s_add_u32 s0, s2, s0
	s_addc_u32 s1, s3, s1
	global_store_dword v0, v2, s[0:1]
.LBB119_16:
	s_endpgm
	.section	.rodata,"a",@progbits
	.p2align	6, 0x0
	.amdhsa_kernel _ZL13mul_mat_vec_fI6__halfS0_Li1ELi256ELb0ELb0EEvPKT_PKfPKi31ggml_cuda_mm_fusion_args_devicePfi15HIP_vector_typeIjLj3EEiiiSB_iiiSB_iiii
		.amdhsa_group_segment_fixed_size 0
		.amdhsa_private_segment_fixed_size 0
		.amdhsa_kernarg_size 144
		.amdhsa_user_sgpr_count 6
		.amdhsa_user_sgpr_private_segment_buffer 1
		.amdhsa_user_sgpr_dispatch_ptr 0
		.amdhsa_user_sgpr_queue_ptr 0
		.amdhsa_user_sgpr_kernarg_segment_ptr 1
		.amdhsa_user_sgpr_dispatch_id 0
		.amdhsa_user_sgpr_flat_scratch_init 0
		.amdhsa_user_sgpr_private_segment_size 0
		.amdhsa_wavefront_size32 1
		.amdhsa_uses_dynamic_stack 0
		.amdhsa_system_sgpr_private_segment_wavefront_offset 0
		.amdhsa_system_sgpr_workgroup_id_x 1
		.amdhsa_system_sgpr_workgroup_id_y 1
		.amdhsa_system_sgpr_workgroup_id_z 1
		.amdhsa_system_sgpr_workgroup_info 0
		.amdhsa_system_vgpr_workitem_id 0
		.amdhsa_next_free_vgpr 11
		.amdhsa_next_free_sgpr 28
		.amdhsa_reserve_vcc 1
		.amdhsa_reserve_flat_scratch 0
		.amdhsa_float_round_mode_32 0
		.amdhsa_float_round_mode_16_64 0
		.amdhsa_float_denorm_mode_32 3
		.amdhsa_float_denorm_mode_16_64 3
		.amdhsa_dx10_clamp 1
		.amdhsa_ieee_mode 1
		.amdhsa_fp16_overflow 0
		.amdhsa_workgroup_processor_mode 1
		.amdhsa_memory_ordered 1
		.amdhsa_forward_progress 1
		.amdhsa_shared_vgpr_count 0
		.amdhsa_exception_fp_ieee_invalid_op 0
		.amdhsa_exception_fp_denorm_src 0
		.amdhsa_exception_fp_ieee_div_zero 0
		.amdhsa_exception_fp_ieee_overflow 0
		.amdhsa_exception_fp_ieee_underflow 0
		.amdhsa_exception_fp_ieee_inexact 0
		.amdhsa_exception_int_div_zero 0
	.end_amdhsa_kernel
	.section	.text._ZL13mul_mat_vec_fI6__halfS0_Li1ELi256ELb0ELb0EEvPKT_PKfPKi31ggml_cuda_mm_fusion_args_devicePfi15HIP_vector_typeIjLj3EEiiiSB_iiiSB_iiii,"axG",@progbits,_ZL13mul_mat_vec_fI6__halfS0_Li1ELi256ELb0ELb0EEvPKT_PKfPKi31ggml_cuda_mm_fusion_args_devicePfi15HIP_vector_typeIjLj3EEiiiSB_iiiSB_iiii,comdat
.Lfunc_end119:
	.size	_ZL13mul_mat_vec_fI6__halfS0_Li1ELi256ELb0ELb0EEvPKT_PKfPKi31ggml_cuda_mm_fusion_args_devicePfi15HIP_vector_typeIjLj3EEiiiSB_iiiSB_iiii, .Lfunc_end119-_ZL13mul_mat_vec_fI6__halfS0_Li1ELi256ELb0ELb0EEvPKT_PKfPKi31ggml_cuda_mm_fusion_args_devicePfi15HIP_vector_typeIjLj3EEiiiSB_iiiSB_iiii
                                        ; -- End function
	.set _ZL13mul_mat_vec_fI6__halfS0_Li1ELi256ELb0ELb0EEvPKT_PKfPKi31ggml_cuda_mm_fusion_args_devicePfi15HIP_vector_typeIjLj3EEiiiSB_iiiSB_iiii.num_vgpr, 11
	.set _ZL13mul_mat_vec_fI6__halfS0_Li1ELi256ELb0ELb0EEvPKT_PKfPKi31ggml_cuda_mm_fusion_args_devicePfi15HIP_vector_typeIjLj3EEiiiSB_iiiSB_iiii.num_agpr, 0
	.set _ZL13mul_mat_vec_fI6__halfS0_Li1ELi256ELb0ELb0EEvPKT_PKfPKi31ggml_cuda_mm_fusion_args_devicePfi15HIP_vector_typeIjLj3EEiiiSB_iiiSB_iiii.numbered_sgpr, 28
	.set _ZL13mul_mat_vec_fI6__halfS0_Li1ELi256ELb0ELb0EEvPKT_PKfPKi31ggml_cuda_mm_fusion_args_devicePfi15HIP_vector_typeIjLj3EEiiiSB_iiiSB_iiii.num_named_barrier, 0
	.set _ZL13mul_mat_vec_fI6__halfS0_Li1ELi256ELb0ELb0EEvPKT_PKfPKi31ggml_cuda_mm_fusion_args_devicePfi15HIP_vector_typeIjLj3EEiiiSB_iiiSB_iiii.private_seg_size, 0
	.set _ZL13mul_mat_vec_fI6__halfS0_Li1ELi256ELb0ELb0EEvPKT_PKfPKi31ggml_cuda_mm_fusion_args_devicePfi15HIP_vector_typeIjLj3EEiiiSB_iiiSB_iiii.uses_vcc, 1
	.set _ZL13mul_mat_vec_fI6__halfS0_Li1ELi256ELb0ELb0EEvPKT_PKfPKi31ggml_cuda_mm_fusion_args_devicePfi15HIP_vector_typeIjLj3EEiiiSB_iiiSB_iiii.uses_flat_scratch, 0
	.set _ZL13mul_mat_vec_fI6__halfS0_Li1ELi256ELb0ELb0EEvPKT_PKfPKi31ggml_cuda_mm_fusion_args_devicePfi15HIP_vector_typeIjLj3EEiiiSB_iiiSB_iiii.has_dyn_sized_stack, 0
	.set _ZL13mul_mat_vec_fI6__halfS0_Li1ELi256ELb0ELb0EEvPKT_PKfPKi31ggml_cuda_mm_fusion_args_devicePfi15HIP_vector_typeIjLj3EEiiiSB_iiiSB_iiii.has_recursion, 0
	.set _ZL13mul_mat_vec_fI6__halfS0_Li1ELi256ELb0ELb0EEvPKT_PKfPKi31ggml_cuda_mm_fusion_args_devicePfi15HIP_vector_typeIjLj3EEiiiSB_iiiSB_iiii.has_indirect_call, 0
	.section	.AMDGPU.csdata,"",@progbits
; Kernel info:
; codeLenInByte = 1112
; TotalNumSgprs: 30
; NumVgprs: 11
; ScratchSize: 0
; MemoryBound: 0
; FloatMode: 240
; IeeeMode: 1
; LDSByteSize: 0 bytes/workgroup (compile time only)
; SGPRBlocks: 0
; VGPRBlocks: 1
; NumSGPRsForWavesPerEU: 30
; NumVGPRsForWavesPerEU: 11
; Occupancy: 16
; WaveLimiterHint : 0
; COMPUTE_PGM_RSRC2:SCRATCH_EN: 0
; COMPUTE_PGM_RSRC2:USER_SGPR: 6
; COMPUTE_PGM_RSRC2:TRAP_HANDLER: 0
; COMPUTE_PGM_RSRC2:TGID_X_EN: 1
; COMPUTE_PGM_RSRC2:TGID_Y_EN: 1
; COMPUTE_PGM_RSRC2:TGID_Z_EN: 1
; COMPUTE_PGM_RSRC2:TIDIG_COMP_CNT: 0
	.section	.text._ZL13mul_mat_vec_fI6__halfS0_Li2ELi32ELb0ELb0EEvPKT_PKfPKi31ggml_cuda_mm_fusion_args_devicePfi15HIP_vector_typeIjLj3EEiiiSB_iiiSB_iiii,"axG",@progbits,_ZL13mul_mat_vec_fI6__halfS0_Li2ELi32ELb0ELb0EEvPKT_PKfPKi31ggml_cuda_mm_fusion_args_devicePfi15HIP_vector_typeIjLj3EEiiiSB_iiiSB_iiii,comdat
	.globl	_ZL13mul_mat_vec_fI6__halfS0_Li2ELi32ELb0ELb0EEvPKT_PKfPKi31ggml_cuda_mm_fusion_args_devicePfi15HIP_vector_typeIjLj3EEiiiSB_iiiSB_iiii ; -- Begin function _ZL13mul_mat_vec_fI6__halfS0_Li2ELi32ELb0ELb0EEvPKT_PKfPKi31ggml_cuda_mm_fusion_args_devicePfi15HIP_vector_typeIjLj3EEiiiSB_iiiSB_iiii
	.p2align	8
	.type	_ZL13mul_mat_vec_fI6__halfS0_Li2ELi32ELb0ELb0EEvPKT_PKfPKi31ggml_cuda_mm_fusion_args_devicePfi15HIP_vector_typeIjLj3EEiiiSB_iiiSB_iiii,@function
_ZL13mul_mat_vec_fI6__halfS0_Li2ELi32ELb0ELb0EEvPKT_PKfPKi31ggml_cuda_mm_fusion_args_devicePfi15HIP_vector_typeIjLj3EEiiiSB_iiiSB_iiii: ; @_ZL13mul_mat_vec_fI6__halfS0_Li2ELi32ELb0ELb0EEvPKT_PKfPKi31ggml_cuda_mm_fusion_args_devicePfi15HIP_vector_typeIjLj3EEiiiSB_iiiSB_iiii
; %bb.0:
	s_clause 0x2
	s_load_dwordx2 s[20:21], s[4:5], 0x10
	s_load_dwordx8 s[12:19], s[4:5], 0x40
	s_load_dwordx4 s[0:3], s[4:5], 0x80
	s_waitcnt lgkmcnt(0)
	s_cmp_eq_u64 s[20:21], 0
	s_cselect_b32 s9, -1, 0
	s_cmp_lg_u64 s[20:21], 0
	s_cselect_b32 s25, -1, 0
	s_and_b32 vcc_lo, exec_lo, s9
	s_cbranch_vccnz .LBB120_2
; %bb.1:
	s_mul_i32 s3, s3, s8
	s_mov_b32 s11, 0
	s_add_i32 s10, s3, s7
	s_lshl_b64 s[22:23], s[10:11], 2
	s_add_u32 s20, s20, s22
	s_addc_u32 s21, s21, s23
	s_load_dword s24, s[20:21], 0x0
	s_load_dwordx4 s[20:23], s[4:5], 0x68
	s_cbranch_execz .LBB120_3
	s_branch .LBB120_4
.LBB120_2:
                                        ; implicit-def: $sgpr24
	s_load_dwordx4 s[20:23], s[4:5], 0x68
.LBB120_3:
	s_load_dwordx2 s[10:11], s[4:5], 0x5c
	s_waitcnt lgkmcnt(0)
	s_mul_hi_u32 s3, s10, s7
	s_add_i32 s3, s7, s3
	s_lshr_b32 s24, s3, s11
.LBB120_4:
	s_load_dword s19, s[4:5], 0x78
	s_andn2_b32 vcc_lo, exec_lo, s25
	s_mov_b32 s25, s7
	s_cbranch_vccnz .LBB120_6
; %bb.5:
	s_mul_hi_u32 s3, s13, s7
	s_add_i32 s3, s7, s3
	s_lshr_b32 s3, s3, s14
	s_mul_i32 s3, s3, s15
	s_sub_i32 s25, s7, s3
.LBB120_6:
	v_mov_b32_e32 v6, 0
	v_mov_b32_e32 v5, 0
	s_and_b32 s3, exec_lo, s9
	s_cselect_b32 s3, s8, 0
	s_mov_b32 s13, exec_lo
	v_cmpx_gt_i32_e64 s12, v0
	s_cbranch_execz .LBB120_10
; %bb.7:
	s_load_dwordx4 s[8:11], s[4:5], 0x0
	s_waitcnt lgkmcnt(0)
	s_mul_hi_u32 s15, s23, s3
	s_mul_hi_i32 s27, s3, s1
	s_mul_i32 s26, s3, s1
	s_add_i32 s1, s3, s15
	s_mul_i32 s14, s24, s20
	s_mul_i32 s16, s16, s6
	s_lshr_b32 s19, s1, s19
	s_ashr_i32 s15, s14, 31
	s_mul_i32 s20, s25, s21
	s_ashr_i32 s25, s17, 31
	s_mov_b32 s24, s17
	s_ashr_i32 s17, s16, 31
	s_mul_hi_i32 s1, s19, s0
	s_mul_i32 s0, s19, s0
	s_lshl_b64 s[14:15], s[14:15], 1
	s_ashr_i32 s21, s20, 31
	s_lshl_b64 s[16:17], s[16:17], 1
	s_lshl_b64 s[0:1], s[0:1], 1
	v_lshlrev_b32_e32 v2, 3, v0
	s_add_u32 s8, s8, s14
	s_addc_u32 s9, s9, s15
	s_add_u32 s8, s8, s16
	s_addc_u32 s9, s9, s17
	;; [unrolled: 2-line block ×3, first 2 shown]
	s_lshl_b64 s[14:15], s[20:21], 2
	s_lshl_b64 s[8:9], s[24:25], 3
	;; [unrolled: 1-line block ×3, first 2 shown]
	s_add_u32 s10, s10, s14
	s_addc_u32 s11, s11, s15
	s_add_u32 s0, s10, s0
	v_lshlrev_b32_e32 v1, 2, v0
	s_addc_u32 s1, s11, s1
	v_add_co_u32 v3, s0, s0, v2
	v_add_co_ci_u32_e64 v4, null, s1, 0, s0
	v_add_co_u32 v1, s0, s16, v1
	v_add_co_u32 v3, vcc_lo, v3, 4
	v_add_co_ci_u32_e64 v2, null, s17, 0, s0
	v_add_co_ci_u32_e64 v4, null, 0, v4, vcc_lo
	v_mov_b32_e32 v5, 0
	v_mov_b32_e32 v6, 0
	v_mov_b32_e32 v7, v0
	s_mov_b32 s1, 0
	s_inst_prefetch 0x1
	.p2align	6
.LBB120_8:                              ; =>This Inner Loop Header: Depth=1
	v_add_co_u32 v8, vcc_lo, v3, s8
	v_add_co_ci_u32_e64 v9, null, s9, v4, vcc_lo
	v_add_nc_u32_e32 v7, 32, v7
	s_clause 0x1
	global_load_dwordx2 v[10:11], v[3:4], off offset:-4
	global_load_dwordx2 v[8:9], v[8:9], off offset:-4
	global_load_dword v12, v[1:2], off
	v_add_co_u32 v1, vcc_lo, 0x80, v1
	v_add_co_ci_u32_e64 v2, null, 0, v2, vcc_lo
	v_cmp_le_i32_e32 vcc_lo, s12, v7
	v_add_co_u32 v3, s0, 0x100, v3
	v_add_co_ci_u32_e64 v4, null, 0, v4, s0
	s_or_b32 s1, vcc_lo, s1
	s_waitcnt vmcnt(2)
	v_cvt_f16_f32_e32 v10, v10
	v_cvt_f16_f32_e32 v11, v11
	s_waitcnt vmcnt(1)
	v_cvt_f16_f32_e32 v8, v8
	v_cvt_f16_f32_e32 v9, v9
	v_pack_b32_f16 v10, v10, v11
	v_pack_b32_f16 v8, v8, v9
	s_waitcnt vmcnt(0)
	v_pk_fma_f16 v6, v12, v10, v6
	v_pk_fma_f16 v5, v12, v8, v5
	s_andn2_b32 exec_lo, exec_lo, s1
	s_cbranch_execnz .LBB120_8
; %bb.9:
	s_inst_prefetch 0x2
	s_or_b32 exec_lo, exec_lo, s1
.LBB120_10:
	s_or_b32 exec_lo, exec_lo, s13
	v_mbcnt_lo_u32_b32 v1, -1, 0
	v_cvt_f32_f16_e32 v3, v6
	v_cvt_f32_f16_sdwa v4, v6 dst_sel:DWORD dst_unused:UNUSED_PAD src0_sel:WORD_1
	v_cvt_f32_f16_e32 v6, v5
	v_cvt_f32_f16_sdwa v5, v5 dst_sel:DWORD dst_unused:UNUSED_PAD src0_sel:WORD_1
	v_xor_b32_e32 v2, 16, v1
	s_mov_b32 s0, exec_lo
	v_add_f32_e32 v3, v3, v4
	v_add_f32_e32 v4, v6, v5
	v_cmp_gt_i32_e32 vcc_lo, 32, v2
	v_xor_b32_e32 v6, 8, v1
	v_cndmask_b32_e32 v2, v1, v2, vcc_lo
	v_cmp_gt_i32_e32 vcc_lo, 32, v6
	v_lshlrev_b32_e32 v2, 2, v2
	v_cndmask_b32_e32 v6, v1, v6, vcc_lo
	ds_bpermute_b32 v5, v2, v3
	ds_bpermute_b32 v2, v2, v4
	v_lshlrev_b32_e32 v6, 2, v6
	s_waitcnt lgkmcnt(0)
	v_add_f32_e32 v3, v3, v5
	v_add_f32_e32 v2, v4, v2
	ds_bpermute_b32 v4, v6, v3
	ds_bpermute_b32 v5, v6, v2
	v_xor_b32_e32 v6, 4, v1
	v_cmp_gt_i32_e32 vcc_lo, 32, v6
	v_cndmask_b32_e32 v6, v1, v6, vcc_lo
	v_lshlrev_b32_e32 v6, 2, v6
	s_waitcnt lgkmcnt(1)
	v_add_f32_e32 v3, v3, v4
	s_waitcnt lgkmcnt(0)
	v_add_f32_e32 v2, v2, v5
	ds_bpermute_b32 v4, v6, v3
	ds_bpermute_b32 v5, v6, v2
	v_xor_b32_e32 v6, 2, v1
	v_cmp_gt_i32_e32 vcc_lo, 32, v6
	v_cndmask_b32_e32 v6, v1, v6, vcc_lo
	v_lshlrev_b32_e32 v6, 2, v6
	s_waitcnt lgkmcnt(1)
	v_add_f32_e32 v3, v3, v4
	s_waitcnt lgkmcnt(0)
	;; [unrolled: 10-line block ×3, first 2 shown]
	v_add_f32_e32 v3, v2, v5
	ds_bpermute_b32 v2, v6, v1
	ds_bpermute_b32 v4, v6, v3
	v_cmpx_gt_u32_e32 2, v0
	s_cbranch_execz .LBB120_12
; %bb.11:
	s_load_dwordx2 s[0:1], s[4:5], 0x38
	v_mad_u64_u32 v[5:6], null, s18, v0, s[6:7]
	s_mul_hi_i32 s5, s2, s3
	s_mul_i32 s4, s2, s3
	s_mul_i32 s2, s22, s7
	s_lshl_b64 s[4:5], s[4:5], 2
	s_waitcnt lgkmcnt(0)
	v_add_f32_e32 v3, v3, v4
	v_add_f32_e32 v4, v1, v2
	v_ashrrev_i32_e32 v6, 31, v5
	v_cmp_eq_u32_e32 vcc_lo, 1, v0
	v_lshlrev_b64 v[1:2], 2, v[5:6]
	v_cndmask_b32_e32 v3, v4, v3, vcc_lo
	s_add_u32 s4, s0, s4
	s_addc_u32 s5, s1, s5
	s_ashr_i32 s3, s2, 31
	s_lshl_b64 s[0:1], s[2:3], 2
	s_add_u32 s0, s4, s0
	s_addc_u32 s1, s5, s1
	v_add_co_u32 v0, vcc_lo, s0, v1
	v_add_co_ci_u32_e64 v1, null, s1, v2, vcc_lo
	global_store_dword v[0:1], v3, off
.LBB120_12:
	s_endpgm
	.section	.rodata,"a",@progbits
	.p2align	6, 0x0
	.amdhsa_kernel _ZL13mul_mat_vec_fI6__halfS0_Li2ELi32ELb0ELb0EEvPKT_PKfPKi31ggml_cuda_mm_fusion_args_devicePfi15HIP_vector_typeIjLj3EEiiiSB_iiiSB_iiii
		.amdhsa_group_segment_fixed_size 0
		.amdhsa_private_segment_fixed_size 0
		.amdhsa_kernarg_size 144
		.amdhsa_user_sgpr_count 6
		.amdhsa_user_sgpr_private_segment_buffer 1
		.amdhsa_user_sgpr_dispatch_ptr 0
		.amdhsa_user_sgpr_queue_ptr 0
		.amdhsa_user_sgpr_kernarg_segment_ptr 1
		.amdhsa_user_sgpr_dispatch_id 0
		.amdhsa_user_sgpr_flat_scratch_init 0
		.amdhsa_user_sgpr_private_segment_size 0
		.amdhsa_wavefront_size32 1
		.amdhsa_uses_dynamic_stack 0
		.amdhsa_system_sgpr_private_segment_wavefront_offset 0
		.amdhsa_system_sgpr_workgroup_id_x 1
		.amdhsa_system_sgpr_workgroup_id_y 1
		.amdhsa_system_sgpr_workgroup_id_z 1
		.amdhsa_system_sgpr_workgroup_info 0
		.amdhsa_system_vgpr_workitem_id 0
		.amdhsa_next_free_vgpr 13
		.amdhsa_next_free_sgpr 28
		.amdhsa_reserve_vcc 1
		.amdhsa_reserve_flat_scratch 0
		.amdhsa_float_round_mode_32 0
		.amdhsa_float_round_mode_16_64 0
		.amdhsa_float_denorm_mode_32 3
		.amdhsa_float_denorm_mode_16_64 3
		.amdhsa_dx10_clamp 1
		.amdhsa_ieee_mode 1
		.amdhsa_fp16_overflow 0
		.amdhsa_workgroup_processor_mode 1
		.amdhsa_memory_ordered 1
		.amdhsa_forward_progress 1
		.amdhsa_shared_vgpr_count 0
		.amdhsa_exception_fp_ieee_invalid_op 0
		.amdhsa_exception_fp_denorm_src 0
		.amdhsa_exception_fp_ieee_div_zero 0
		.amdhsa_exception_fp_ieee_overflow 0
		.amdhsa_exception_fp_ieee_underflow 0
		.amdhsa_exception_fp_ieee_inexact 0
		.amdhsa_exception_int_div_zero 0
	.end_amdhsa_kernel
	.section	.text._ZL13mul_mat_vec_fI6__halfS0_Li2ELi32ELb0ELb0EEvPKT_PKfPKi31ggml_cuda_mm_fusion_args_devicePfi15HIP_vector_typeIjLj3EEiiiSB_iiiSB_iiii,"axG",@progbits,_ZL13mul_mat_vec_fI6__halfS0_Li2ELi32ELb0ELb0EEvPKT_PKfPKi31ggml_cuda_mm_fusion_args_devicePfi15HIP_vector_typeIjLj3EEiiiSB_iiiSB_iiii,comdat
.Lfunc_end120:
	.size	_ZL13mul_mat_vec_fI6__halfS0_Li2ELi32ELb0ELb0EEvPKT_PKfPKi31ggml_cuda_mm_fusion_args_devicePfi15HIP_vector_typeIjLj3EEiiiSB_iiiSB_iiii, .Lfunc_end120-_ZL13mul_mat_vec_fI6__halfS0_Li2ELi32ELb0ELb0EEvPKT_PKfPKi31ggml_cuda_mm_fusion_args_devicePfi15HIP_vector_typeIjLj3EEiiiSB_iiiSB_iiii
                                        ; -- End function
	.set _ZL13mul_mat_vec_fI6__halfS0_Li2ELi32ELb0ELb0EEvPKT_PKfPKi31ggml_cuda_mm_fusion_args_devicePfi15HIP_vector_typeIjLj3EEiiiSB_iiiSB_iiii.num_vgpr, 13
	.set _ZL13mul_mat_vec_fI6__halfS0_Li2ELi32ELb0ELb0EEvPKT_PKfPKi31ggml_cuda_mm_fusion_args_devicePfi15HIP_vector_typeIjLj3EEiiiSB_iiiSB_iiii.num_agpr, 0
	.set _ZL13mul_mat_vec_fI6__halfS0_Li2ELi32ELb0ELb0EEvPKT_PKfPKi31ggml_cuda_mm_fusion_args_devicePfi15HIP_vector_typeIjLj3EEiiiSB_iiiSB_iiii.numbered_sgpr, 28
	.set _ZL13mul_mat_vec_fI6__halfS0_Li2ELi32ELb0ELb0EEvPKT_PKfPKi31ggml_cuda_mm_fusion_args_devicePfi15HIP_vector_typeIjLj3EEiiiSB_iiiSB_iiii.num_named_barrier, 0
	.set _ZL13mul_mat_vec_fI6__halfS0_Li2ELi32ELb0ELb0EEvPKT_PKfPKi31ggml_cuda_mm_fusion_args_devicePfi15HIP_vector_typeIjLj3EEiiiSB_iiiSB_iiii.private_seg_size, 0
	.set _ZL13mul_mat_vec_fI6__halfS0_Li2ELi32ELb0ELb0EEvPKT_PKfPKi31ggml_cuda_mm_fusion_args_devicePfi15HIP_vector_typeIjLj3EEiiiSB_iiiSB_iiii.uses_vcc, 1
	.set _ZL13mul_mat_vec_fI6__halfS0_Li2ELi32ELb0ELb0EEvPKT_PKfPKi31ggml_cuda_mm_fusion_args_devicePfi15HIP_vector_typeIjLj3EEiiiSB_iiiSB_iiii.uses_flat_scratch, 0
	.set _ZL13mul_mat_vec_fI6__halfS0_Li2ELi32ELb0ELb0EEvPKT_PKfPKi31ggml_cuda_mm_fusion_args_devicePfi15HIP_vector_typeIjLj3EEiiiSB_iiiSB_iiii.has_dyn_sized_stack, 0
	.set _ZL13mul_mat_vec_fI6__halfS0_Li2ELi32ELb0ELb0EEvPKT_PKfPKi31ggml_cuda_mm_fusion_args_devicePfi15HIP_vector_typeIjLj3EEiiiSB_iiiSB_iiii.has_recursion, 0
	.set _ZL13mul_mat_vec_fI6__halfS0_Li2ELi32ELb0ELb0EEvPKT_PKfPKi31ggml_cuda_mm_fusion_args_devicePfi15HIP_vector_typeIjLj3EEiiiSB_iiiSB_iiii.has_indirect_call, 0
	.section	.AMDGPU.csdata,"",@progbits
; Kernel info:
; codeLenInByte = 1012
; TotalNumSgprs: 30
; NumVgprs: 13
; ScratchSize: 0
; MemoryBound: 0
; FloatMode: 240
; IeeeMode: 1
; LDSByteSize: 0 bytes/workgroup (compile time only)
; SGPRBlocks: 0
; VGPRBlocks: 1
; NumSGPRsForWavesPerEU: 30
; NumVGPRsForWavesPerEU: 13
; Occupancy: 16
; WaveLimiterHint : 0
; COMPUTE_PGM_RSRC2:SCRATCH_EN: 0
; COMPUTE_PGM_RSRC2:USER_SGPR: 6
; COMPUTE_PGM_RSRC2:TRAP_HANDLER: 0
; COMPUTE_PGM_RSRC2:TGID_X_EN: 1
; COMPUTE_PGM_RSRC2:TGID_Y_EN: 1
; COMPUTE_PGM_RSRC2:TGID_Z_EN: 1
; COMPUTE_PGM_RSRC2:TIDIG_COMP_CNT: 0
	.section	.text._ZL13mul_mat_vec_fI6__halfS0_Li2ELi64ELb0ELb0EEvPKT_PKfPKi31ggml_cuda_mm_fusion_args_devicePfi15HIP_vector_typeIjLj3EEiiiSB_iiiSB_iiii,"axG",@progbits,_ZL13mul_mat_vec_fI6__halfS0_Li2ELi64ELb0ELb0EEvPKT_PKfPKi31ggml_cuda_mm_fusion_args_devicePfi15HIP_vector_typeIjLj3EEiiiSB_iiiSB_iiii,comdat
	.globl	_ZL13mul_mat_vec_fI6__halfS0_Li2ELi64ELb0ELb0EEvPKT_PKfPKi31ggml_cuda_mm_fusion_args_devicePfi15HIP_vector_typeIjLj3EEiiiSB_iiiSB_iiii ; -- Begin function _ZL13mul_mat_vec_fI6__halfS0_Li2ELi64ELb0ELb0EEvPKT_PKfPKi31ggml_cuda_mm_fusion_args_devicePfi15HIP_vector_typeIjLj3EEiiiSB_iiiSB_iiii
	.p2align	8
	.type	_ZL13mul_mat_vec_fI6__halfS0_Li2ELi64ELb0ELb0EEvPKT_PKfPKi31ggml_cuda_mm_fusion_args_devicePfi15HIP_vector_typeIjLj3EEiiiSB_iiiSB_iiii,@function
_ZL13mul_mat_vec_fI6__halfS0_Li2ELi64ELb0ELb0EEvPKT_PKfPKi31ggml_cuda_mm_fusion_args_devicePfi15HIP_vector_typeIjLj3EEiiiSB_iiiSB_iiii: ; @_ZL13mul_mat_vec_fI6__halfS0_Li2ELi64ELb0ELb0EEvPKT_PKfPKi31ggml_cuda_mm_fusion_args_devicePfi15HIP_vector_typeIjLj3EEiiiSB_iiiSB_iiii
; %bb.0:
	s_clause 0x2
	s_load_dwordx2 s[0:1], s[4:5], 0x10
	s_load_dwordx8 s[12:19], s[4:5], 0x40
	s_load_dwordx4 s[20:23], s[4:5], 0x80
	s_waitcnt lgkmcnt(0)
	s_cmp_eq_u64 s[0:1], 0
	s_cselect_b32 s10, -1, 0
	s_cmp_lg_u64 s[0:1], 0
	s_cselect_b32 s9, -1, 0
	s_and_b32 vcc_lo, exec_lo, s10
	s_cbranch_vccnz .LBB121_2
; %bb.1:
	s_mul_i32 s2, s23, s8
	s_mov_b32 s3, 0
	s_add_i32 s2, s2, s7
	s_lshl_b64 s[24:25], s[2:3], 2
	s_add_u32 s0, s0, s24
	s_addc_u32 s1, s1, s25
	s_load_dword s19, s[0:1], 0x0
	s_cbranch_execz .LBB121_3
	s_branch .LBB121_4
.LBB121_2:
                                        ; implicit-def: $sgpr19
.LBB121_3:
	s_load_dwordx2 s[0:1], s[4:5], 0x5c
	s_waitcnt lgkmcnt(0)
	s_mul_hi_u32 s0, s0, s7
	s_add_i32 s0, s7, s0
	s_lshr_b32 s19, s0, s1
.LBB121_4:
	s_load_dwordx4 s[24:27], s[4:5], 0x68
	s_andn2_b32 vcc_lo, exec_lo, s9
	s_mov_b32 s23, s7
	s_cbranch_vccnz .LBB121_6
; %bb.5:
	s_mul_hi_u32 s0, s13, s7
	s_add_i32 s0, s7, s0
	s_lshr_b32 s0, s0, s14
	s_mul_i32 s0, s0, s15
	s_sub_i32 s23, s7, s0
.LBB121_6:
	s_load_dword s9, s[4:5], 0x78
	v_cmp_gt_u32_e32 vcc_lo, 32, v0
	v_lshl_add_u32 v5, v0, 2, 0
	s_and_saveexec_b32 s0, vcc_lo
; %bb.7:
	v_mov_b32_e32 v1, 0
	ds_write_b32 v5, v1
; %bb.8:
	s_or_b32 exec_lo, exec_lo, s0
	v_mov_b32_e32 v7, 0
	v_mov_b32_e32 v6, 0
	s_and_b32 s0, exec_lo, s10
	s_cselect_b32 s10, s8, 0
	s_mov_b32 s11, exec_lo
	s_waitcnt lgkmcnt(0)
	s_barrier
	buffer_gl0_inv
	v_cmpx_gt_i32_e64 s12, v0
	s_cbranch_execz .LBB121_12
; %bb.9:
	s_load_dwordx4 s[0:3], s[4:5], 0x0
	s_mul_hi_u32 s8, s27, s10
	s_mul_i32 s16, s16, s6
	s_add_i32 s8, s10, s8
	s_mul_i32 s14, s19, s24
	s_ashr_i32 s29, s17, 31
	s_mov_b32 s28, s17
	s_ashr_i32 s17, s16, 31
	s_lshr_b32 s13, s8, s9
	s_ashr_i32 s15, s14, 31
	s_mul_i32 s24, s23, s25
	s_lshl_b64 s[8:9], s[16:17], 1
	s_mul_hi_i32 s17, s13, s20
	s_mul_i32 s16, s13, s20
	s_lshl_b64 s[14:15], s[14:15], 1
	s_ashr_i32 s25, s24, 31
	s_lshl_b64 s[16:17], s[16:17], 1
	s_mul_hi_i32 s31, s10, s21
	s_mul_i32 s30, s10, s21
	v_lshlrev_b32_e32 v2, 3, v0
	s_waitcnt lgkmcnt(0)
	s_add_u32 s0, s0, s14
	s_addc_u32 s1, s1, s15
	s_add_u32 s0, s0, s8
	s_addc_u32 s1, s1, s9
	;; [unrolled: 2-line block ×3, first 2 shown]
	s_lshl_b64 s[14:15], s[24:25], 2
	s_lshl_b64 s[8:9], s[28:29], 3
	;; [unrolled: 1-line block ×3, first 2 shown]
	s_add_u32 s2, s2, s14
	s_addc_u32 s3, s3, s15
	v_lshlrev_b32_e32 v1, 2, v0
	s_add_u32 s0, s2, s0
	s_addc_u32 s1, s3, s1
	v_add_co_u32 v3, s0, s0, v2
	v_add_co_ci_u32_e64 v4, null, s1, 0, s0
	v_add_co_u32 v1, s0, s13, v1
	v_add_co_ci_u32_e64 v2, null, s16, 0, s0
	;; [unrolled: 2-line block ×3, first 2 shown]
	v_mov_b32_e32 v6, 0
	v_mov_b32_e32 v7, 0
	;; [unrolled: 1-line block ×3, first 2 shown]
	s_mov_b32 s2, 0
	s_inst_prefetch 0x1
	.p2align	6
.LBB121_10:                             ; =>This Inner Loop Header: Depth=1
	v_add_co_u32 v9, s0, v3, s8
	v_add_co_ci_u32_e64 v10, null, s9, v4, s0
	v_add_nc_u32_e32 v8, 64, v8
	s_clause 0x1
	global_load_dwordx2 v[11:12], v[3:4], off offset:-4
	global_load_dwordx2 v[9:10], v[9:10], off offset:-4
	global_load_dword v13, v[1:2], off
	v_add_co_u32 v1, s0, 0x100, v1
	v_add_co_ci_u32_e64 v2, null, 0, v2, s0
	v_cmp_le_i32_e64 s0, s12, v8
	v_add_co_u32 v3, s1, 0x200, v3
	v_add_co_ci_u32_e64 v4, null, 0, v4, s1
	s_or_b32 s2, s0, s2
	s_waitcnt vmcnt(2)
	v_cvt_f16_f32_e32 v11, v11
	v_cvt_f16_f32_e32 v12, v12
	s_waitcnt vmcnt(1)
	v_cvt_f16_f32_e32 v9, v9
	v_cvt_f16_f32_e32 v10, v10
	v_pack_b32_f16 v11, v11, v12
	v_pack_b32_f16 v9, v9, v10
	s_waitcnt vmcnt(0)
	v_pk_fma_f16 v7, v13, v11, v7
	v_pk_fma_f16 v6, v13, v9, v6
	s_andn2_b32 exec_lo, exec_lo, s2
	s_cbranch_execnz .LBB121_10
; %bb.11:
	s_inst_prefetch 0x2
	s_or_b32 exec_lo, exec_lo, s2
.LBB121_12:
	s_or_b32 exec_lo, exec_lo, s11
	v_mbcnt_lo_u32_b32 v2, -1, 0
	v_cvt_f32_f16_e32 v3, v7
	v_cvt_f32_f16_sdwa v4, v7 dst_sel:DWORD dst_unused:UNUSED_PAD src0_sel:WORD_1
	v_cvt_f32_f16_e32 v11, v6
	v_cvt_f32_f16_sdwa v6, v6 dst_sel:DWORD dst_unused:UNUSED_PAD src0_sel:WORD_1
	v_xor_b32_e32 v1, 16, v2
	v_add_f32_e32 v4, v3, v4
	v_xor_b32_e32 v3, 8, v2
	v_add_f32_e32 v6, v11, v6
	v_cmp_gt_i32_e64 s0, 32, v1
	v_cndmask_b32_e64 v1, v2, v1, s0
	v_cmp_gt_i32_e64 s0, 32, v3
	v_lshlrev_b32_e32 v1, 2, v1
	v_cndmask_b32_e64 v3, v2, v3, s0
	ds_bpermute_b32 v7, v1, v4
	v_lshlrev_b32_e32 v3, 2, v3
	s_waitcnt lgkmcnt(0)
	v_add_f32_e32 v7, v4, v7
	v_xor_b32_e32 v4, 4, v2
	ds_bpermute_b32 v8, v3, v7
	v_cmp_gt_i32_e64 s0, 32, v4
	v_cndmask_b32_e64 v4, v2, v4, s0
	v_lshlrev_b32_e32 v4, 2, v4
	s_waitcnt lgkmcnt(0)
	v_add_f32_e32 v8, v7, v8
	v_xor_b32_e32 v7, 2, v2
	ds_bpermute_b32 v9, v4, v8
	v_cmp_gt_i32_e64 s0, 32, v7
	v_cndmask_b32_e64 v7, v2, v7, s0
	;; [unrolled: 7-line block ×3, first 2 shown]
	v_lshlrev_b32_e32 v8, 2, v2
	s_waitcnt lgkmcnt(0)
	v_add_f32_e32 v2, v9, v10
	v_lshrrev_b32_e32 v9, 3, v0
	ds_bpermute_b32 v10, v8, v2
	v_and_b32_e32 v9, 0x7c, v9
	v_add_nc_u32_e32 v9, 0, v9
	s_waitcnt lgkmcnt(0)
	v_add_f32_e32 v2, v2, v10
	ds_write_b32 v9, v2
	s_waitcnt lgkmcnt(0)
	s_barrier
	buffer_gl0_inv
	s_and_saveexec_b32 s0, vcc_lo
	s_cbranch_execz .LBB121_14
; %bb.13:
	ds_read_b32 v2, v5
	s_waitcnt lgkmcnt(0)
	ds_bpermute_b32 v10, v1, v2
	s_waitcnt lgkmcnt(0)
	v_add_f32_e32 v2, v2, v10
	ds_bpermute_b32 v10, v3, v2
	s_waitcnt lgkmcnt(0)
	v_add_f32_e32 v2, v2, v10
	;; [unrolled: 3-line block ×5, first 2 shown]
.LBB121_14:
	s_or_b32 exec_lo, exec_lo, s0
	ds_bpermute_b32 v10, v1, v6
	s_waitcnt lgkmcnt(0)
	s_barrier
	buffer_gl0_inv
	v_add_f32_e32 v6, v6, v10
	ds_bpermute_b32 v10, v3, v6
	s_waitcnt lgkmcnt(0)
	v_add_f32_e32 v6, v6, v10
	ds_bpermute_b32 v10, v4, v6
	s_waitcnt lgkmcnt(0)
	;; [unrolled: 3-line block ×4, first 2 shown]
	v_add_f32_e32 v6, v6, v10
	ds_write_b32 v9, v6
	s_waitcnt lgkmcnt(0)
	s_barrier
	buffer_gl0_inv
	s_and_saveexec_b32 s0, vcc_lo
	s_cbranch_execz .LBB121_16
; %bb.15:
	ds_read_b32 v5, v5
	s_waitcnt lgkmcnt(0)
	ds_bpermute_b32 v1, v1, v5
	s_waitcnt lgkmcnt(0)
	v_add_f32_e32 v1, v5, v1
	ds_bpermute_b32 v3, v3, v1
	s_waitcnt lgkmcnt(0)
	v_add_f32_e32 v1, v1, v3
	;; [unrolled: 3-line block ×5, first 2 shown]
.LBB121_16:
	s_or_b32 exec_lo, exec_lo, s0
	s_barrier
	buffer_gl0_inv
	s_mov_b32 s0, exec_lo
	v_cmpx_gt_u32_e32 2, v0
	s_cbranch_execz .LBB121_18
; %bb.17:
	s_load_dwordx2 s[0:1], s[4:5], 0x38
	v_mad_u64_u32 v[3:4], null, s18, v0, s[6:7]
	s_mul_hi_i32 s3, s22, s10
	s_mul_i32 s2, s22, s10
	s_mul_i32 s4, s26, s7
	s_lshl_b64 s[2:3], s[2:3], 2
	s_ashr_i32 s5, s4, 31
	v_cmp_eq_u32_e32 vcc_lo, 1, v0
	v_ashrrev_i32_e32 v4, 31, v3
	v_cndmask_b32_e32 v2, v2, v6, vcc_lo
	v_lshlrev_b64 v[3:4], 2, v[3:4]
	s_waitcnt lgkmcnt(0)
	s_add_u32 s2, s0, s2
	s_addc_u32 s3, s1, s3
	s_lshl_b64 s[0:1], s[4:5], 2
	s_add_u32 s0, s2, s0
	s_addc_u32 s1, s3, s1
	v_add_co_u32 v0, vcc_lo, s0, v3
	v_add_co_ci_u32_e64 v1, null, s1, v4, vcc_lo
	global_store_dword v[0:1], v2, off
.LBB121_18:
	s_endpgm
	.section	.rodata,"a",@progbits
	.p2align	6, 0x0
	.amdhsa_kernel _ZL13mul_mat_vec_fI6__halfS0_Li2ELi64ELb0ELb0EEvPKT_PKfPKi31ggml_cuda_mm_fusion_args_devicePfi15HIP_vector_typeIjLj3EEiiiSB_iiiSB_iiii
		.amdhsa_group_segment_fixed_size 0
		.amdhsa_private_segment_fixed_size 0
		.amdhsa_kernarg_size 144
		.amdhsa_user_sgpr_count 6
		.amdhsa_user_sgpr_private_segment_buffer 1
		.amdhsa_user_sgpr_dispatch_ptr 0
		.amdhsa_user_sgpr_queue_ptr 0
		.amdhsa_user_sgpr_kernarg_segment_ptr 1
		.amdhsa_user_sgpr_dispatch_id 0
		.amdhsa_user_sgpr_flat_scratch_init 0
		.amdhsa_user_sgpr_private_segment_size 0
		.amdhsa_wavefront_size32 1
		.amdhsa_uses_dynamic_stack 0
		.amdhsa_system_sgpr_private_segment_wavefront_offset 0
		.amdhsa_system_sgpr_workgroup_id_x 1
		.amdhsa_system_sgpr_workgroup_id_y 1
		.amdhsa_system_sgpr_workgroup_id_z 1
		.amdhsa_system_sgpr_workgroup_info 0
		.amdhsa_system_vgpr_workitem_id 0
		.amdhsa_next_free_vgpr 14
		.amdhsa_next_free_sgpr 32
		.amdhsa_reserve_vcc 1
		.amdhsa_reserve_flat_scratch 0
		.amdhsa_float_round_mode_32 0
		.amdhsa_float_round_mode_16_64 0
		.amdhsa_float_denorm_mode_32 3
		.amdhsa_float_denorm_mode_16_64 3
		.amdhsa_dx10_clamp 1
		.amdhsa_ieee_mode 1
		.amdhsa_fp16_overflow 0
		.amdhsa_workgroup_processor_mode 1
		.amdhsa_memory_ordered 1
		.amdhsa_forward_progress 1
		.amdhsa_shared_vgpr_count 0
		.amdhsa_exception_fp_ieee_invalid_op 0
		.amdhsa_exception_fp_denorm_src 0
		.amdhsa_exception_fp_ieee_div_zero 0
		.amdhsa_exception_fp_ieee_overflow 0
		.amdhsa_exception_fp_ieee_underflow 0
		.amdhsa_exception_fp_ieee_inexact 0
		.amdhsa_exception_int_div_zero 0
	.end_amdhsa_kernel
	.section	.text._ZL13mul_mat_vec_fI6__halfS0_Li2ELi64ELb0ELb0EEvPKT_PKfPKi31ggml_cuda_mm_fusion_args_devicePfi15HIP_vector_typeIjLj3EEiiiSB_iiiSB_iiii,"axG",@progbits,_ZL13mul_mat_vec_fI6__halfS0_Li2ELi64ELb0ELb0EEvPKT_PKfPKi31ggml_cuda_mm_fusion_args_devicePfi15HIP_vector_typeIjLj3EEiiiSB_iiiSB_iiii,comdat
.Lfunc_end121:
	.size	_ZL13mul_mat_vec_fI6__halfS0_Li2ELi64ELb0ELb0EEvPKT_PKfPKi31ggml_cuda_mm_fusion_args_devicePfi15HIP_vector_typeIjLj3EEiiiSB_iiiSB_iiii, .Lfunc_end121-_ZL13mul_mat_vec_fI6__halfS0_Li2ELi64ELb0ELb0EEvPKT_PKfPKi31ggml_cuda_mm_fusion_args_devicePfi15HIP_vector_typeIjLj3EEiiiSB_iiiSB_iiii
                                        ; -- End function
	.set _ZL13mul_mat_vec_fI6__halfS0_Li2ELi64ELb0ELb0EEvPKT_PKfPKi31ggml_cuda_mm_fusion_args_devicePfi15HIP_vector_typeIjLj3EEiiiSB_iiiSB_iiii.num_vgpr, 14
	.set _ZL13mul_mat_vec_fI6__halfS0_Li2ELi64ELb0ELb0EEvPKT_PKfPKi31ggml_cuda_mm_fusion_args_devicePfi15HIP_vector_typeIjLj3EEiiiSB_iiiSB_iiii.num_agpr, 0
	.set _ZL13mul_mat_vec_fI6__halfS0_Li2ELi64ELb0ELb0EEvPKT_PKfPKi31ggml_cuda_mm_fusion_args_devicePfi15HIP_vector_typeIjLj3EEiiiSB_iiiSB_iiii.numbered_sgpr, 32
	.set _ZL13mul_mat_vec_fI6__halfS0_Li2ELi64ELb0ELb0EEvPKT_PKfPKi31ggml_cuda_mm_fusion_args_devicePfi15HIP_vector_typeIjLj3EEiiiSB_iiiSB_iiii.num_named_barrier, 0
	.set _ZL13mul_mat_vec_fI6__halfS0_Li2ELi64ELb0ELb0EEvPKT_PKfPKi31ggml_cuda_mm_fusion_args_devicePfi15HIP_vector_typeIjLj3EEiiiSB_iiiSB_iiii.private_seg_size, 0
	.set _ZL13mul_mat_vec_fI6__halfS0_Li2ELi64ELb0ELb0EEvPKT_PKfPKi31ggml_cuda_mm_fusion_args_devicePfi15HIP_vector_typeIjLj3EEiiiSB_iiiSB_iiii.uses_vcc, 1
	.set _ZL13mul_mat_vec_fI6__halfS0_Li2ELi64ELb0ELb0EEvPKT_PKfPKi31ggml_cuda_mm_fusion_args_devicePfi15HIP_vector_typeIjLj3EEiiiSB_iiiSB_iiii.uses_flat_scratch, 0
	.set _ZL13mul_mat_vec_fI6__halfS0_Li2ELi64ELb0ELb0EEvPKT_PKfPKi31ggml_cuda_mm_fusion_args_devicePfi15HIP_vector_typeIjLj3EEiiiSB_iiiSB_iiii.has_dyn_sized_stack, 0
	.set _ZL13mul_mat_vec_fI6__halfS0_Li2ELi64ELb0ELb0EEvPKT_PKfPKi31ggml_cuda_mm_fusion_args_devicePfi15HIP_vector_typeIjLj3EEiiiSB_iiiSB_iiii.has_recursion, 0
	.set _ZL13mul_mat_vec_fI6__halfS0_Li2ELi64ELb0ELb0EEvPKT_PKfPKi31ggml_cuda_mm_fusion_args_devicePfi15HIP_vector_typeIjLj3EEiiiSB_iiiSB_iiii.has_indirect_call, 0
	.section	.AMDGPU.csdata,"",@progbits
; Kernel info:
; codeLenInByte = 1428
; TotalNumSgprs: 34
; NumVgprs: 14
; ScratchSize: 0
; MemoryBound: 0
; FloatMode: 240
; IeeeMode: 1
; LDSByteSize: 0 bytes/workgroup (compile time only)
; SGPRBlocks: 0
; VGPRBlocks: 1
; NumSGPRsForWavesPerEU: 34
; NumVGPRsForWavesPerEU: 14
; Occupancy: 16
; WaveLimiterHint : 0
; COMPUTE_PGM_RSRC2:SCRATCH_EN: 0
; COMPUTE_PGM_RSRC2:USER_SGPR: 6
; COMPUTE_PGM_RSRC2:TRAP_HANDLER: 0
; COMPUTE_PGM_RSRC2:TGID_X_EN: 1
; COMPUTE_PGM_RSRC2:TGID_Y_EN: 1
; COMPUTE_PGM_RSRC2:TGID_Z_EN: 1
; COMPUTE_PGM_RSRC2:TIDIG_COMP_CNT: 0
	.section	.text._ZL13mul_mat_vec_fI6__halfS0_Li2ELi96ELb0ELb0EEvPKT_PKfPKi31ggml_cuda_mm_fusion_args_devicePfi15HIP_vector_typeIjLj3EEiiiSB_iiiSB_iiii,"axG",@progbits,_ZL13mul_mat_vec_fI6__halfS0_Li2ELi96ELb0ELb0EEvPKT_PKfPKi31ggml_cuda_mm_fusion_args_devicePfi15HIP_vector_typeIjLj3EEiiiSB_iiiSB_iiii,comdat
	.globl	_ZL13mul_mat_vec_fI6__halfS0_Li2ELi96ELb0ELb0EEvPKT_PKfPKi31ggml_cuda_mm_fusion_args_devicePfi15HIP_vector_typeIjLj3EEiiiSB_iiiSB_iiii ; -- Begin function _ZL13mul_mat_vec_fI6__halfS0_Li2ELi96ELb0ELb0EEvPKT_PKfPKi31ggml_cuda_mm_fusion_args_devicePfi15HIP_vector_typeIjLj3EEiiiSB_iiiSB_iiii
	.p2align	8
	.type	_ZL13mul_mat_vec_fI6__halfS0_Li2ELi96ELb0ELb0EEvPKT_PKfPKi31ggml_cuda_mm_fusion_args_devicePfi15HIP_vector_typeIjLj3EEiiiSB_iiiSB_iiii,@function
_ZL13mul_mat_vec_fI6__halfS0_Li2ELi96ELb0ELb0EEvPKT_PKfPKi31ggml_cuda_mm_fusion_args_devicePfi15HIP_vector_typeIjLj3EEiiiSB_iiiSB_iiii: ; @_ZL13mul_mat_vec_fI6__halfS0_Li2ELi96ELb0ELb0EEvPKT_PKfPKi31ggml_cuda_mm_fusion_args_devicePfi15HIP_vector_typeIjLj3EEiiiSB_iiiSB_iiii
; %bb.0:
	s_clause 0x2
	s_load_dwordx2 s[0:1], s[4:5], 0x10
	s_load_dwordx8 s[12:19], s[4:5], 0x40
	s_load_dwordx4 s[20:23], s[4:5], 0x80
	s_waitcnt lgkmcnt(0)
	s_cmp_eq_u64 s[0:1], 0
	s_cselect_b32 s10, -1, 0
	s_cmp_lg_u64 s[0:1], 0
	s_cselect_b32 s9, -1, 0
	s_and_b32 vcc_lo, exec_lo, s10
	s_cbranch_vccnz .LBB122_2
; %bb.1:
	s_mul_i32 s2, s23, s8
	s_mov_b32 s3, 0
	s_add_i32 s2, s2, s7
	s_lshl_b64 s[24:25], s[2:3], 2
	s_add_u32 s0, s0, s24
	s_addc_u32 s1, s1, s25
	s_load_dword s19, s[0:1], 0x0
	s_cbranch_execz .LBB122_3
	s_branch .LBB122_4
.LBB122_2:
                                        ; implicit-def: $sgpr19
.LBB122_3:
	s_load_dwordx2 s[0:1], s[4:5], 0x5c
	s_waitcnt lgkmcnt(0)
	s_mul_hi_u32 s0, s0, s7
	s_add_i32 s0, s7, s0
	s_lshr_b32 s19, s0, s1
.LBB122_4:
	s_load_dwordx4 s[24:27], s[4:5], 0x68
	s_andn2_b32 vcc_lo, exec_lo, s9
	s_mov_b32 s23, s7
	s_cbranch_vccnz .LBB122_6
; %bb.5:
	s_mul_hi_u32 s0, s13, s7
	s_add_i32 s0, s7, s0
	s_lshr_b32 s0, s0, s14
	s_mul_i32 s0, s0, s15
	s_sub_i32 s23, s7, s0
.LBB122_6:
	s_load_dword s9, s[4:5], 0x78
	v_cmp_gt_u32_e32 vcc_lo, 32, v0
	v_lshl_add_u32 v5, v0, 2, 0
	s_and_saveexec_b32 s0, vcc_lo
; %bb.7:
	v_mov_b32_e32 v1, 0
	ds_write_b32 v5, v1
; %bb.8:
	s_or_b32 exec_lo, exec_lo, s0
	v_mov_b32_e32 v7, 0
	v_mov_b32_e32 v6, 0
	s_and_b32 s0, exec_lo, s10
	s_cselect_b32 s10, s8, 0
	s_mov_b32 s11, exec_lo
	s_waitcnt lgkmcnt(0)
	s_barrier
	buffer_gl0_inv
	v_cmpx_gt_i32_e64 s12, v0
	s_cbranch_execz .LBB122_12
; %bb.9:
	s_load_dwordx4 s[0:3], s[4:5], 0x0
	s_mul_hi_u32 s8, s27, s10
	s_mul_i32 s16, s16, s6
	s_add_i32 s8, s10, s8
	s_mul_i32 s14, s19, s24
	s_ashr_i32 s29, s17, 31
	s_mov_b32 s28, s17
	s_ashr_i32 s17, s16, 31
	s_lshr_b32 s13, s8, s9
	s_ashr_i32 s15, s14, 31
	s_mul_i32 s24, s23, s25
	s_lshl_b64 s[8:9], s[16:17], 1
	s_mul_hi_i32 s17, s13, s20
	s_mul_i32 s16, s13, s20
	s_lshl_b64 s[14:15], s[14:15], 1
	s_ashr_i32 s25, s24, 31
	s_lshl_b64 s[16:17], s[16:17], 1
	s_mul_hi_i32 s31, s10, s21
	s_mul_i32 s30, s10, s21
	v_lshlrev_b32_e32 v2, 3, v0
	s_waitcnt lgkmcnt(0)
	s_add_u32 s0, s0, s14
	s_addc_u32 s1, s1, s15
	s_add_u32 s0, s0, s8
	s_addc_u32 s1, s1, s9
	;; [unrolled: 2-line block ×3, first 2 shown]
	s_lshl_b64 s[14:15], s[24:25], 2
	s_lshl_b64 s[8:9], s[28:29], 3
	;; [unrolled: 1-line block ×3, first 2 shown]
	s_add_u32 s2, s2, s14
	s_addc_u32 s3, s3, s15
	v_lshlrev_b32_e32 v1, 2, v0
	s_add_u32 s0, s2, s0
	s_addc_u32 s1, s3, s1
	v_add_co_u32 v3, s0, s0, v2
	v_add_co_ci_u32_e64 v4, null, s1, 0, s0
	v_add_co_u32 v1, s0, s13, v1
	v_add_co_ci_u32_e64 v2, null, s16, 0, s0
	;; [unrolled: 2-line block ×3, first 2 shown]
	v_mov_b32_e32 v6, 0
	v_mov_b32_e32 v7, 0
	v_mov_b32_e32 v8, v0
	s_mov_b32 s2, 0
	s_inst_prefetch 0x1
	.p2align	6
.LBB122_10:                             ; =>This Inner Loop Header: Depth=1
	v_add_co_u32 v9, s0, v3, s8
	v_add_co_ci_u32_e64 v10, null, s9, v4, s0
	v_add_nc_u32_e32 v8, 0x60, v8
	s_clause 0x1
	global_load_dwordx2 v[11:12], v[3:4], off offset:-4
	global_load_dwordx2 v[9:10], v[9:10], off offset:-4
	global_load_dword v13, v[1:2], off
	v_add_co_u32 v1, s0, 0x180, v1
	v_add_co_ci_u32_e64 v2, null, 0, v2, s0
	v_cmp_le_i32_e64 s0, s12, v8
	v_add_co_u32 v3, s1, 0x300, v3
	v_add_co_ci_u32_e64 v4, null, 0, v4, s1
	s_or_b32 s2, s0, s2
	s_waitcnt vmcnt(2)
	v_cvt_f16_f32_e32 v11, v11
	v_cvt_f16_f32_e32 v12, v12
	s_waitcnt vmcnt(1)
	v_cvt_f16_f32_e32 v9, v9
	v_cvt_f16_f32_e32 v10, v10
	v_pack_b32_f16 v11, v11, v12
	v_pack_b32_f16 v9, v9, v10
	s_waitcnt vmcnt(0)
	v_pk_fma_f16 v7, v13, v11, v7
	v_pk_fma_f16 v6, v13, v9, v6
	s_andn2_b32 exec_lo, exec_lo, s2
	s_cbranch_execnz .LBB122_10
; %bb.11:
	s_inst_prefetch 0x2
	s_or_b32 exec_lo, exec_lo, s2
.LBB122_12:
	s_or_b32 exec_lo, exec_lo, s11
	v_mbcnt_lo_u32_b32 v2, -1, 0
	v_cvt_f32_f16_e32 v3, v7
	v_cvt_f32_f16_sdwa v4, v7 dst_sel:DWORD dst_unused:UNUSED_PAD src0_sel:WORD_1
	v_cvt_f32_f16_e32 v11, v6
	v_cvt_f32_f16_sdwa v6, v6 dst_sel:DWORD dst_unused:UNUSED_PAD src0_sel:WORD_1
	v_xor_b32_e32 v1, 16, v2
	v_add_f32_e32 v4, v3, v4
	v_xor_b32_e32 v3, 8, v2
	v_add_f32_e32 v6, v11, v6
	v_cmp_gt_i32_e64 s0, 32, v1
	v_cndmask_b32_e64 v1, v2, v1, s0
	v_cmp_gt_i32_e64 s0, 32, v3
	v_lshlrev_b32_e32 v1, 2, v1
	v_cndmask_b32_e64 v3, v2, v3, s0
	ds_bpermute_b32 v7, v1, v4
	v_lshlrev_b32_e32 v3, 2, v3
	s_waitcnt lgkmcnt(0)
	v_add_f32_e32 v7, v4, v7
	v_xor_b32_e32 v4, 4, v2
	ds_bpermute_b32 v8, v3, v7
	v_cmp_gt_i32_e64 s0, 32, v4
	v_cndmask_b32_e64 v4, v2, v4, s0
	v_lshlrev_b32_e32 v4, 2, v4
	s_waitcnt lgkmcnt(0)
	v_add_f32_e32 v8, v7, v8
	v_xor_b32_e32 v7, 2, v2
	ds_bpermute_b32 v9, v4, v8
	v_cmp_gt_i32_e64 s0, 32, v7
	v_cndmask_b32_e64 v7, v2, v7, s0
	;; [unrolled: 7-line block ×3, first 2 shown]
	v_lshlrev_b32_e32 v8, 2, v2
	s_waitcnt lgkmcnt(0)
	v_add_f32_e32 v2, v9, v10
	v_lshrrev_b32_e32 v9, 3, v0
	ds_bpermute_b32 v10, v8, v2
	v_and_b32_e32 v9, 0x7c, v9
	v_add_nc_u32_e32 v9, 0, v9
	s_waitcnt lgkmcnt(0)
	v_add_f32_e32 v2, v2, v10
	ds_write_b32 v9, v2
	s_waitcnt lgkmcnt(0)
	s_barrier
	buffer_gl0_inv
	s_and_saveexec_b32 s0, vcc_lo
	s_cbranch_execz .LBB122_14
; %bb.13:
	ds_read_b32 v2, v5
	s_waitcnt lgkmcnt(0)
	ds_bpermute_b32 v10, v1, v2
	s_waitcnt lgkmcnt(0)
	v_add_f32_e32 v2, v2, v10
	ds_bpermute_b32 v10, v3, v2
	s_waitcnt lgkmcnt(0)
	v_add_f32_e32 v2, v2, v10
	;; [unrolled: 3-line block ×5, first 2 shown]
.LBB122_14:
	s_or_b32 exec_lo, exec_lo, s0
	ds_bpermute_b32 v10, v1, v6
	s_waitcnt lgkmcnt(0)
	s_barrier
	buffer_gl0_inv
	v_add_f32_e32 v6, v6, v10
	ds_bpermute_b32 v10, v3, v6
	s_waitcnt lgkmcnt(0)
	v_add_f32_e32 v6, v6, v10
	ds_bpermute_b32 v10, v4, v6
	s_waitcnt lgkmcnt(0)
	;; [unrolled: 3-line block ×4, first 2 shown]
	v_add_f32_e32 v6, v6, v10
	ds_write_b32 v9, v6
	s_waitcnt lgkmcnt(0)
	s_barrier
	buffer_gl0_inv
	s_and_saveexec_b32 s0, vcc_lo
	s_cbranch_execz .LBB122_16
; %bb.15:
	ds_read_b32 v5, v5
	s_waitcnt lgkmcnt(0)
	ds_bpermute_b32 v1, v1, v5
	s_waitcnt lgkmcnt(0)
	v_add_f32_e32 v1, v5, v1
	ds_bpermute_b32 v3, v3, v1
	s_waitcnt lgkmcnt(0)
	v_add_f32_e32 v1, v1, v3
	;; [unrolled: 3-line block ×5, first 2 shown]
.LBB122_16:
	s_or_b32 exec_lo, exec_lo, s0
	s_barrier
	buffer_gl0_inv
	s_mov_b32 s0, exec_lo
	v_cmpx_gt_u32_e32 2, v0
	s_cbranch_execz .LBB122_18
; %bb.17:
	s_load_dwordx2 s[0:1], s[4:5], 0x38
	v_mad_u64_u32 v[3:4], null, s18, v0, s[6:7]
	s_mul_hi_i32 s3, s22, s10
	s_mul_i32 s2, s22, s10
	s_mul_i32 s4, s26, s7
	s_lshl_b64 s[2:3], s[2:3], 2
	s_ashr_i32 s5, s4, 31
	v_cmp_eq_u32_e32 vcc_lo, 1, v0
	v_ashrrev_i32_e32 v4, 31, v3
	v_cndmask_b32_e32 v2, v2, v6, vcc_lo
	v_lshlrev_b64 v[3:4], 2, v[3:4]
	s_waitcnt lgkmcnt(0)
	s_add_u32 s2, s0, s2
	s_addc_u32 s3, s1, s3
	s_lshl_b64 s[0:1], s[4:5], 2
	s_add_u32 s0, s2, s0
	s_addc_u32 s1, s3, s1
	v_add_co_u32 v0, vcc_lo, s0, v3
	v_add_co_ci_u32_e64 v1, null, s1, v4, vcc_lo
	global_store_dword v[0:1], v2, off
.LBB122_18:
	s_endpgm
	.section	.rodata,"a",@progbits
	.p2align	6, 0x0
	.amdhsa_kernel _ZL13mul_mat_vec_fI6__halfS0_Li2ELi96ELb0ELb0EEvPKT_PKfPKi31ggml_cuda_mm_fusion_args_devicePfi15HIP_vector_typeIjLj3EEiiiSB_iiiSB_iiii
		.amdhsa_group_segment_fixed_size 0
		.amdhsa_private_segment_fixed_size 0
		.amdhsa_kernarg_size 144
		.amdhsa_user_sgpr_count 6
		.amdhsa_user_sgpr_private_segment_buffer 1
		.amdhsa_user_sgpr_dispatch_ptr 0
		.amdhsa_user_sgpr_queue_ptr 0
		.amdhsa_user_sgpr_kernarg_segment_ptr 1
		.amdhsa_user_sgpr_dispatch_id 0
		.amdhsa_user_sgpr_flat_scratch_init 0
		.amdhsa_user_sgpr_private_segment_size 0
		.amdhsa_wavefront_size32 1
		.amdhsa_uses_dynamic_stack 0
		.amdhsa_system_sgpr_private_segment_wavefront_offset 0
		.amdhsa_system_sgpr_workgroup_id_x 1
		.amdhsa_system_sgpr_workgroup_id_y 1
		.amdhsa_system_sgpr_workgroup_id_z 1
		.amdhsa_system_sgpr_workgroup_info 0
		.amdhsa_system_vgpr_workitem_id 0
		.amdhsa_next_free_vgpr 14
		.amdhsa_next_free_sgpr 32
		.amdhsa_reserve_vcc 1
		.amdhsa_reserve_flat_scratch 0
		.amdhsa_float_round_mode_32 0
		.amdhsa_float_round_mode_16_64 0
		.amdhsa_float_denorm_mode_32 3
		.amdhsa_float_denorm_mode_16_64 3
		.amdhsa_dx10_clamp 1
		.amdhsa_ieee_mode 1
		.amdhsa_fp16_overflow 0
		.amdhsa_workgroup_processor_mode 1
		.amdhsa_memory_ordered 1
		.amdhsa_forward_progress 1
		.amdhsa_shared_vgpr_count 0
		.amdhsa_exception_fp_ieee_invalid_op 0
		.amdhsa_exception_fp_denorm_src 0
		.amdhsa_exception_fp_ieee_div_zero 0
		.amdhsa_exception_fp_ieee_overflow 0
		.amdhsa_exception_fp_ieee_underflow 0
		.amdhsa_exception_fp_ieee_inexact 0
		.amdhsa_exception_int_div_zero 0
	.end_amdhsa_kernel
	.section	.text._ZL13mul_mat_vec_fI6__halfS0_Li2ELi96ELb0ELb0EEvPKT_PKfPKi31ggml_cuda_mm_fusion_args_devicePfi15HIP_vector_typeIjLj3EEiiiSB_iiiSB_iiii,"axG",@progbits,_ZL13mul_mat_vec_fI6__halfS0_Li2ELi96ELb0ELb0EEvPKT_PKfPKi31ggml_cuda_mm_fusion_args_devicePfi15HIP_vector_typeIjLj3EEiiiSB_iiiSB_iiii,comdat
.Lfunc_end122:
	.size	_ZL13mul_mat_vec_fI6__halfS0_Li2ELi96ELb0ELb0EEvPKT_PKfPKi31ggml_cuda_mm_fusion_args_devicePfi15HIP_vector_typeIjLj3EEiiiSB_iiiSB_iiii, .Lfunc_end122-_ZL13mul_mat_vec_fI6__halfS0_Li2ELi96ELb0ELb0EEvPKT_PKfPKi31ggml_cuda_mm_fusion_args_devicePfi15HIP_vector_typeIjLj3EEiiiSB_iiiSB_iiii
                                        ; -- End function
	.set _ZL13mul_mat_vec_fI6__halfS0_Li2ELi96ELb0ELb0EEvPKT_PKfPKi31ggml_cuda_mm_fusion_args_devicePfi15HIP_vector_typeIjLj3EEiiiSB_iiiSB_iiii.num_vgpr, 14
	.set _ZL13mul_mat_vec_fI6__halfS0_Li2ELi96ELb0ELb0EEvPKT_PKfPKi31ggml_cuda_mm_fusion_args_devicePfi15HIP_vector_typeIjLj3EEiiiSB_iiiSB_iiii.num_agpr, 0
	.set _ZL13mul_mat_vec_fI6__halfS0_Li2ELi96ELb0ELb0EEvPKT_PKfPKi31ggml_cuda_mm_fusion_args_devicePfi15HIP_vector_typeIjLj3EEiiiSB_iiiSB_iiii.numbered_sgpr, 32
	.set _ZL13mul_mat_vec_fI6__halfS0_Li2ELi96ELb0ELb0EEvPKT_PKfPKi31ggml_cuda_mm_fusion_args_devicePfi15HIP_vector_typeIjLj3EEiiiSB_iiiSB_iiii.num_named_barrier, 0
	.set _ZL13mul_mat_vec_fI6__halfS0_Li2ELi96ELb0ELb0EEvPKT_PKfPKi31ggml_cuda_mm_fusion_args_devicePfi15HIP_vector_typeIjLj3EEiiiSB_iiiSB_iiii.private_seg_size, 0
	.set _ZL13mul_mat_vec_fI6__halfS0_Li2ELi96ELb0ELb0EEvPKT_PKfPKi31ggml_cuda_mm_fusion_args_devicePfi15HIP_vector_typeIjLj3EEiiiSB_iiiSB_iiii.uses_vcc, 1
	.set _ZL13mul_mat_vec_fI6__halfS0_Li2ELi96ELb0ELb0EEvPKT_PKfPKi31ggml_cuda_mm_fusion_args_devicePfi15HIP_vector_typeIjLj3EEiiiSB_iiiSB_iiii.uses_flat_scratch, 0
	.set _ZL13mul_mat_vec_fI6__halfS0_Li2ELi96ELb0ELb0EEvPKT_PKfPKi31ggml_cuda_mm_fusion_args_devicePfi15HIP_vector_typeIjLj3EEiiiSB_iiiSB_iiii.has_dyn_sized_stack, 0
	.set _ZL13mul_mat_vec_fI6__halfS0_Li2ELi96ELb0ELb0EEvPKT_PKfPKi31ggml_cuda_mm_fusion_args_devicePfi15HIP_vector_typeIjLj3EEiiiSB_iiiSB_iiii.has_recursion, 0
	.set _ZL13mul_mat_vec_fI6__halfS0_Li2ELi96ELb0ELb0EEvPKT_PKfPKi31ggml_cuda_mm_fusion_args_devicePfi15HIP_vector_typeIjLj3EEiiiSB_iiiSB_iiii.has_indirect_call, 0
	.section	.AMDGPU.csdata,"",@progbits
; Kernel info:
; codeLenInByte = 1432
; TotalNumSgprs: 34
; NumVgprs: 14
; ScratchSize: 0
; MemoryBound: 0
; FloatMode: 240
; IeeeMode: 1
; LDSByteSize: 0 bytes/workgroup (compile time only)
; SGPRBlocks: 0
; VGPRBlocks: 1
; NumSGPRsForWavesPerEU: 34
; NumVGPRsForWavesPerEU: 14
; Occupancy: 16
; WaveLimiterHint : 0
; COMPUTE_PGM_RSRC2:SCRATCH_EN: 0
; COMPUTE_PGM_RSRC2:USER_SGPR: 6
; COMPUTE_PGM_RSRC2:TRAP_HANDLER: 0
; COMPUTE_PGM_RSRC2:TGID_X_EN: 1
; COMPUTE_PGM_RSRC2:TGID_Y_EN: 1
; COMPUTE_PGM_RSRC2:TGID_Z_EN: 1
; COMPUTE_PGM_RSRC2:TIDIG_COMP_CNT: 0
	.section	.text._ZL13mul_mat_vec_fI6__halfS0_Li2ELi128ELb0ELb0EEvPKT_PKfPKi31ggml_cuda_mm_fusion_args_devicePfi15HIP_vector_typeIjLj3EEiiiSB_iiiSB_iiii,"axG",@progbits,_ZL13mul_mat_vec_fI6__halfS0_Li2ELi128ELb0ELb0EEvPKT_PKfPKi31ggml_cuda_mm_fusion_args_devicePfi15HIP_vector_typeIjLj3EEiiiSB_iiiSB_iiii,comdat
	.globl	_ZL13mul_mat_vec_fI6__halfS0_Li2ELi128ELb0ELb0EEvPKT_PKfPKi31ggml_cuda_mm_fusion_args_devicePfi15HIP_vector_typeIjLj3EEiiiSB_iiiSB_iiii ; -- Begin function _ZL13mul_mat_vec_fI6__halfS0_Li2ELi128ELb0ELb0EEvPKT_PKfPKi31ggml_cuda_mm_fusion_args_devicePfi15HIP_vector_typeIjLj3EEiiiSB_iiiSB_iiii
	.p2align	8
	.type	_ZL13mul_mat_vec_fI6__halfS0_Li2ELi128ELb0ELb0EEvPKT_PKfPKi31ggml_cuda_mm_fusion_args_devicePfi15HIP_vector_typeIjLj3EEiiiSB_iiiSB_iiii,@function
_ZL13mul_mat_vec_fI6__halfS0_Li2ELi128ELb0ELb0EEvPKT_PKfPKi31ggml_cuda_mm_fusion_args_devicePfi15HIP_vector_typeIjLj3EEiiiSB_iiiSB_iiii: ; @_ZL13mul_mat_vec_fI6__halfS0_Li2ELi128ELb0ELb0EEvPKT_PKfPKi31ggml_cuda_mm_fusion_args_devicePfi15HIP_vector_typeIjLj3EEiiiSB_iiiSB_iiii
; %bb.0:
	s_clause 0x2
	s_load_dwordx2 s[0:1], s[4:5], 0x10
	s_load_dwordx8 s[12:19], s[4:5], 0x40
	s_load_dwordx4 s[20:23], s[4:5], 0x80
	s_waitcnt lgkmcnt(0)
	s_cmp_eq_u64 s[0:1], 0
	s_cselect_b32 s10, -1, 0
	s_cmp_lg_u64 s[0:1], 0
	s_cselect_b32 s9, -1, 0
	s_and_b32 vcc_lo, exec_lo, s10
	s_cbranch_vccnz .LBB123_2
; %bb.1:
	s_mul_i32 s2, s23, s8
	s_mov_b32 s3, 0
	s_add_i32 s2, s2, s7
	s_lshl_b64 s[24:25], s[2:3], 2
	s_add_u32 s0, s0, s24
	s_addc_u32 s1, s1, s25
	s_load_dword s19, s[0:1], 0x0
	s_cbranch_execz .LBB123_3
	s_branch .LBB123_4
.LBB123_2:
                                        ; implicit-def: $sgpr19
.LBB123_3:
	s_load_dwordx2 s[0:1], s[4:5], 0x5c
	s_waitcnt lgkmcnt(0)
	s_mul_hi_u32 s0, s0, s7
	s_add_i32 s0, s7, s0
	s_lshr_b32 s19, s0, s1
.LBB123_4:
	s_load_dwordx4 s[24:27], s[4:5], 0x68
	s_andn2_b32 vcc_lo, exec_lo, s9
	s_mov_b32 s23, s7
	s_cbranch_vccnz .LBB123_6
; %bb.5:
	s_mul_hi_u32 s0, s13, s7
	s_add_i32 s0, s7, s0
	s_lshr_b32 s0, s0, s14
	s_mul_i32 s0, s0, s15
	s_sub_i32 s23, s7, s0
.LBB123_6:
	s_load_dword s9, s[4:5], 0x78
	v_cmp_gt_u32_e32 vcc_lo, 32, v0
	v_lshl_add_u32 v5, v0, 2, 0
	s_and_saveexec_b32 s0, vcc_lo
; %bb.7:
	v_mov_b32_e32 v1, 0
	ds_write_b32 v5, v1
; %bb.8:
	s_or_b32 exec_lo, exec_lo, s0
	v_mov_b32_e32 v7, 0
	v_mov_b32_e32 v6, 0
	s_and_b32 s0, exec_lo, s10
	s_cselect_b32 s10, s8, 0
	s_mov_b32 s11, exec_lo
	s_waitcnt lgkmcnt(0)
	s_barrier
	buffer_gl0_inv
	v_cmpx_gt_i32_e64 s12, v0
	s_cbranch_execz .LBB123_12
; %bb.9:
	s_load_dwordx4 s[0:3], s[4:5], 0x0
	s_mul_hi_u32 s8, s27, s10
	s_mul_i32 s16, s16, s6
	s_add_i32 s8, s10, s8
	s_mul_i32 s14, s19, s24
	s_ashr_i32 s29, s17, 31
	s_mov_b32 s28, s17
	s_ashr_i32 s17, s16, 31
	s_lshr_b32 s13, s8, s9
	s_ashr_i32 s15, s14, 31
	s_mul_i32 s24, s23, s25
	s_lshl_b64 s[8:9], s[16:17], 1
	s_mul_hi_i32 s17, s13, s20
	s_mul_i32 s16, s13, s20
	s_lshl_b64 s[14:15], s[14:15], 1
	s_ashr_i32 s25, s24, 31
	s_lshl_b64 s[16:17], s[16:17], 1
	s_mul_hi_i32 s31, s10, s21
	s_mul_i32 s30, s10, s21
	v_lshlrev_b32_e32 v2, 3, v0
	s_waitcnt lgkmcnt(0)
	s_add_u32 s0, s0, s14
	s_addc_u32 s1, s1, s15
	s_add_u32 s0, s0, s8
	s_addc_u32 s1, s1, s9
	;; [unrolled: 2-line block ×3, first 2 shown]
	s_lshl_b64 s[14:15], s[24:25], 2
	s_lshl_b64 s[8:9], s[28:29], 3
	;; [unrolled: 1-line block ×3, first 2 shown]
	s_add_u32 s2, s2, s14
	s_addc_u32 s3, s3, s15
	v_lshlrev_b32_e32 v1, 2, v0
	s_add_u32 s0, s2, s0
	s_addc_u32 s1, s3, s1
	v_add_co_u32 v3, s0, s0, v2
	v_add_co_ci_u32_e64 v4, null, s1, 0, s0
	v_add_co_u32 v1, s0, s13, v1
	v_add_co_ci_u32_e64 v2, null, s16, 0, s0
	;; [unrolled: 2-line block ×3, first 2 shown]
	v_mov_b32_e32 v6, 0
	v_mov_b32_e32 v7, 0
	;; [unrolled: 1-line block ×3, first 2 shown]
	s_mov_b32 s2, 0
	s_inst_prefetch 0x1
	.p2align	6
.LBB123_10:                             ; =>This Inner Loop Header: Depth=1
	v_add_co_u32 v9, s0, v3, s8
	v_add_co_ci_u32_e64 v10, null, s9, v4, s0
	v_add_nc_u32_e32 v8, 0x80, v8
	s_clause 0x1
	global_load_dwordx2 v[11:12], v[3:4], off offset:-4
	global_load_dwordx2 v[9:10], v[9:10], off offset:-4
	global_load_dword v13, v[1:2], off
	v_add_co_u32 v1, s0, 0x200, v1
	v_add_co_ci_u32_e64 v2, null, 0, v2, s0
	v_cmp_le_i32_e64 s0, s12, v8
	v_add_co_u32 v3, s1, 0x400, v3
	v_add_co_ci_u32_e64 v4, null, 0, v4, s1
	s_or_b32 s2, s0, s2
	s_waitcnt vmcnt(2)
	v_cvt_f16_f32_e32 v11, v11
	v_cvt_f16_f32_e32 v12, v12
	s_waitcnt vmcnt(1)
	v_cvt_f16_f32_e32 v9, v9
	v_cvt_f16_f32_e32 v10, v10
	v_pack_b32_f16 v11, v11, v12
	v_pack_b32_f16 v9, v9, v10
	s_waitcnt vmcnt(0)
	v_pk_fma_f16 v7, v13, v11, v7
	v_pk_fma_f16 v6, v13, v9, v6
	s_andn2_b32 exec_lo, exec_lo, s2
	s_cbranch_execnz .LBB123_10
; %bb.11:
	s_inst_prefetch 0x2
	s_or_b32 exec_lo, exec_lo, s2
.LBB123_12:
	s_or_b32 exec_lo, exec_lo, s11
	v_mbcnt_lo_u32_b32 v2, -1, 0
	v_cvt_f32_f16_e32 v3, v7
	v_cvt_f32_f16_sdwa v4, v7 dst_sel:DWORD dst_unused:UNUSED_PAD src0_sel:WORD_1
	v_cvt_f32_f16_e32 v11, v6
	v_cvt_f32_f16_sdwa v6, v6 dst_sel:DWORD dst_unused:UNUSED_PAD src0_sel:WORD_1
	v_xor_b32_e32 v1, 16, v2
	v_add_f32_e32 v4, v3, v4
	v_xor_b32_e32 v3, 8, v2
	v_add_f32_e32 v6, v11, v6
	v_cmp_gt_i32_e64 s0, 32, v1
	v_cndmask_b32_e64 v1, v2, v1, s0
	v_cmp_gt_i32_e64 s0, 32, v3
	v_lshlrev_b32_e32 v1, 2, v1
	v_cndmask_b32_e64 v3, v2, v3, s0
	ds_bpermute_b32 v7, v1, v4
	v_lshlrev_b32_e32 v3, 2, v3
	s_waitcnt lgkmcnt(0)
	v_add_f32_e32 v7, v4, v7
	v_xor_b32_e32 v4, 4, v2
	ds_bpermute_b32 v8, v3, v7
	v_cmp_gt_i32_e64 s0, 32, v4
	v_cndmask_b32_e64 v4, v2, v4, s0
	v_lshlrev_b32_e32 v4, 2, v4
	s_waitcnt lgkmcnt(0)
	v_add_f32_e32 v8, v7, v8
	v_xor_b32_e32 v7, 2, v2
	ds_bpermute_b32 v9, v4, v8
	v_cmp_gt_i32_e64 s0, 32, v7
	v_cndmask_b32_e64 v7, v2, v7, s0
	;; [unrolled: 7-line block ×3, first 2 shown]
	v_lshlrev_b32_e32 v8, 2, v2
	s_waitcnt lgkmcnt(0)
	v_add_f32_e32 v2, v9, v10
	v_lshrrev_b32_e32 v9, 3, v0
	ds_bpermute_b32 v10, v8, v2
	v_and_b32_e32 v9, 0x7c, v9
	v_add_nc_u32_e32 v9, 0, v9
	s_waitcnt lgkmcnt(0)
	v_add_f32_e32 v2, v2, v10
	ds_write_b32 v9, v2
	s_waitcnt lgkmcnt(0)
	s_barrier
	buffer_gl0_inv
	s_and_saveexec_b32 s0, vcc_lo
	s_cbranch_execz .LBB123_14
; %bb.13:
	ds_read_b32 v2, v5
	s_waitcnt lgkmcnt(0)
	ds_bpermute_b32 v10, v1, v2
	s_waitcnt lgkmcnt(0)
	v_add_f32_e32 v2, v2, v10
	ds_bpermute_b32 v10, v3, v2
	s_waitcnt lgkmcnt(0)
	v_add_f32_e32 v2, v2, v10
	;; [unrolled: 3-line block ×5, first 2 shown]
.LBB123_14:
	s_or_b32 exec_lo, exec_lo, s0
	ds_bpermute_b32 v10, v1, v6
	s_waitcnt lgkmcnt(0)
	s_barrier
	buffer_gl0_inv
	v_add_f32_e32 v6, v6, v10
	ds_bpermute_b32 v10, v3, v6
	s_waitcnt lgkmcnt(0)
	v_add_f32_e32 v6, v6, v10
	ds_bpermute_b32 v10, v4, v6
	s_waitcnt lgkmcnt(0)
	;; [unrolled: 3-line block ×4, first 2 shown]
	v_add_f32_e32 v6, v6, v10
	ds_write_b32 v9, v6
	s_waitcnt lgkmcnt(0)
	s_barrier
	buffer_gl0_inv
	s_and_saveexec_b32 s0, vcc_lo
	s_cbranch_execz .LBB123_16
; %bb.15:
	ds_read_b32 v5, v5
	s_waitcnt lgkmcnt(0)
	ds_bpermute_b32 v1, v1, v5
	s_waitcnt lgkmcnt(0)
	v_add_f32_e32 v1, v5, v1
	ds_bpermute_b32 v3, v3, v1
	s_waitcnt lgkmcnt(0)
	v_add_f32_e32 v1, v1, v3
	;; [unrolled: 3-line block ×5, first 2 shown]
.LBB123_16:
	s_or_b32 exec_lo, exec_lo, s0
	s_barrier
	buffer_gl0_inv
	s_mov_b32 s0, exec_lo
	v_cmpx_gt_u32_e32 2, v0
	s_cbranch_execz .LBB123_18
; %bb.17:
	s_load_dwordx2 s[0:1], s[4:5], 0x38
	v_mad_u64_u32 v[3:4], null, s18, v0, s[6:7]
	s_mul_hi_i32 s3, s22, s10
	s_mul_i32 s2, s22, s10
	s_mul_i32 s4, s26, s7
	s_lshl_b64 s[2:3], s[2:3], 2
	s_ashr_i32 s5, s4, 31
	v_cmp_eq_u32_e32 vcc_lo, 1, v0
	v_ashrrev_i32_e32 v4, 31, v3
	v_cndmask_b32_e32 v2, v2, v6, vcc_lo
	v_lshlrev_b64 v[3:4], 2, v[3:4]
	s_waitcnt lgkmcnt(0)
	s_add_u32 s2, s0, s2
	s_addc_u32 s3, s1, s3
	s_lshl_b64 s[0:1], s[4:5], 2
	s_add_u32 s0, s2, s0
	s_addc_u32 s1, s3, s1
	v_add_co_u32 v0, vcc_lo, s0, v3
	v_add_co_ci_u32_e64 v1, null, s1, v4, vcc_lo
	global_store_dword v[0:1], v2, off
.LBB123_18:
	s_endpgm
	.section	.rodata,"a",@progbits
	.p2align	6, 0x0
	.amdhsa_kernel _ZL13mul_mat_vec_fI6__halfS0_Li2ELi128ELb0ELb0EEvPKT_PKfPKi31ggml_cuda_mm_fusion_args_devicePfi15HIP_vector_typeIjLj3EEiiiSB_iiiSB_iiii
		.amdhsa_group_segment_fixed_size 0
		.amdhsa_private_segment_fixed_size 0
		.amdhsa_kernarg_size 144
		.amdhsa_user_sgpr_count 6
		.amdhsa_user_sgpr_private_segment_buffer 1
		.amdhsa_user_sgpr_dispatch_ptr 0
		.amdhsa_user_sgpr_queue_ptr 0
		.amdhsa_user_sgpr_kernarg_segment_ptr 1
		.amdhsa_user_sgpr_dispatch_id 0
		.amdhsa_user_sgpr_flat_scratch_init 0
		.amdhsa_user_sgpr_private_segment_size 0
		.amdhsa_wavefront_size32 1
		.amdhsa_uses_dynamic_stack 0
		.amdhsa_system_sgpr_private_segment_wavefront_offset 0
		.amdhsa_system_sgpr_workgroup_id_x 1
		.amdhsa_system_sgpr_workgroup_id_y 1
		.amdhsa_system_sgpr_workgroup_id_z 1
		.amdhsa_system_sgpr_workgroup_info 0
		.amdhsa_system_vgpr_workitem_id 0
		.amdhsa_next_free_vgpr 14
		.amdhsa_next_free_sgpr 32
		.amdhsa_reserve_vcc 1
		.amdhsa_reserve_flat_scratch 0
		.amdhsa_float_round_mode_32 0
		.amdhsa_float_round_mode_16_64 0
		.amdhsa_float_denorm_mode_32 3
		.amdhsa_float_denorm_mode_16_64 3
		.amdhsa_dx10_clamp 1
		.amdhsa_ieee_mode 1
		.amdhsa_fp16_overflow 0
		.amdhsa_workgroup_processor_mode 1
		.amdhsa_memory_ordered 1
		.amdhsa_forward_progress 1
		.amdhsa_shared_vgpr_count 0
		.amdhsa_exception_fp_ieee_invalid_op 0
		.amdhsa_exception_fp_denorm_src 0
		.amdhsa_exception_fp_ieee_div_zero 0
		.amdhsa_exception_fp_ieee_overflow 0
		.amdhsa_exception_fp_ieee_underflow 0
		.amdhsa_exception_fp_ieee_inexact 0
		.amdhsa_exception_int_div_zero 0
	.end_amdhsa_kernel
	.section	.text._ZL13mul_mat_vec_fI6__halfS0_Li2ELi128ELb0ELb0EEvPKT_PKfPKi31ggml_cuda_mm_fusion_args_devicePfi15HIP_vector_typeIjLj3EEiiiSB_iiiSB_iiii,"axG",@progbits,_ZL13mul_mat_vec_fI6__halfS0_Li2ELi128ELb0ELb0EEvPKT_PKfPKi31ggml_cuda_mm_fusion_args_devicePfi15HIP_vector_typeIjLj3EEiiiSB_iiiSB_iiii,comdat
.Lfunc_end123:
	.size	_ZL13mul_mat_vec_fI6__halfS0_Li2ELi128ELb0ELb0EEvPKT_PKfPKi31ggml_cuda_mm_fusion_args_devicePfi15HIP_vector_typeIjLj3EEiiiSB_iiiSB_iiii, .Lfunc_end123-_ZL13mul_mat_vec_fI6__halfS0_Li2ELi128ELb0ELb0EEvPKT_PKfPKi31ggml_cuda_mm_fusion_args_devicePfi15HIP_vector_typeIjLj3EEiiiSB_iiiSB_iiii
                                        ; -- End function
	.set _ZL13mul_mat_vec_fI6__halfS0_Li2ELi128ELb0ELb0EEvPKT_PKfPKi31ggml_cuda_mm_fusion_args_devicePfi15HIP_vector_typeIjLj3EEiiiSB_iiiSB_iiii.num_vgpr, 14
	.set _ZL13mul_mat_vec_fI6__halfS0_Li2ELi128ELb0ELb0EEvPKT_PKfPKi31ggml_cuda_mm_fusion_args_devicePfi15HIP_vector_typeIjLj3EEiiiSB_iiiSB_iiii.num_agpr, 0
	.set _ZL13mul_mat_vec_fI6__halfS0_Li2ELi128ELb0ELb0EEvPKT_PKfPKi31ggml_cuda_mm_fusion_args_devicePfi15HIP_vector_typeIjLj3EEiiiSB_iiiSB_iiii.numbered_sgpr, 32
	.set _ZL13mul_mat_vec_fI6__halfS0_Li2ELi128ELb0ELb0EEvPKT_PKfPKi31ggml_cuda_mm_fusion_args_devicePfi15HIP_vector_typeIjLj3EEiiiSB_iiiSB_iiii.num_named_barrier, 0
	.set _ZL13mul_mat_vec_fI6__halfS0_Li2ELi128ELb0ELb0EEvPKT_PKfPKi31ggml_cuda_mm_fusion_args_devicePfi15HIP_vector_typeIjLj3EEiiiSB_iiiSB_iiii.private_seg_size, 0
	.set _ZL13mul_mat_vec_fI6__halfS0_Li2ELi128ELb0ELb0EEvPKT_PKfPKi31ggml_cuda_mm_fusion_args_devicePfi15HIP_vector_typeIjLj3EEiiiSB_iiiSB_iiii.uses_vcc, 1
	.set _ZL13mul_mat_vec_fI6__halfS0_Li2ELi128ELb0ELb0EEvPKT_PKfPKi31ggml_cuda_mm_fusion_args_devicePfi15HIP_vector_typeIjLj3EEiiiSB_iiiSB_iiii.uses_flat_scratch, 0
	.set _ZL13mul_mat_vec_fI6__halfS0_Li2ELi128ELb0ELb0EEvPKT_PKfPKi31ggml_cuda_mm_fusion_args_devicePfi15HIP_vector_typeIjLj3EEiiiSB_iiiSB_iiii.has_dyn_sized_stack, 0
	.set _ZL13mul_mat_vec_fI6__halfS0_Li2ELi128ELb0ELb0EEvPKT_PKfPKi31ggml_cuda_mm_fusion_args_devicePfi15HIP_vector_typeIjLj3EEiiiSB_iiiSB_iiii.has_recursion, 0
	.set _ZL13mul_mat_vec_fI6__halfS0_Li2ELi128ELb0ELb0EEvPKT_PKfPKi31ggml_cuda_mm_fusion_args_devicePfi15HIP_vector_typeIjLj3EEiiiSB_iiiSB_iiii.has_indirect_call, 0
	.section	.AMDGPU.csdata,"",@progbits
; Kernel info:
; codeLenInByte = 1432
; TotalNumSgprs: 34
; NumVgprs: 14
; ScratchSize: 0
; MemoryBound: 0
; FloatMode: 240
; IeeeMode: 1
; LDSByteSize: 0 bytes/workgroup (compile time only)
; SGPRBlocks: 0
; VGPRBlocks: 1
; NumSGPRsForWavesPerEU: 34
; NumVGPRsForWavesPerEU: 14
; Occupancy: 16
; WaveLimiterHint : 0
; COMPUTE_PGM_RSRC2:SCRATCH_EN: 0
; COMPUTE_PGM_RSRC2:USER_SGPR: 6
; COMPUTE_PGM_RSRC2:TRAP_HANDLER: 0
; COMPUTE_PGM_RSRC2:TGID_X_EN: 1
; COMPUTE_PGM_RSRC2:TGID_Y_EN: 1
; COMPUTE_PGM_RSRC2:TGID_Z_EN: 1
; COMPUTE_PGM_RSRC2:TIDIG_COMP_CNT: 0
	.section	.text._ZL13mul_mat_vec_fI6__halfS0_Li2ELi160ELb0ELb0EEvPKT_PKfPKi31ggml_cuda_mm_fusion_args_devicePfi15HIP_vector_typeIjLj3EEiiiSB_iiiSB_iiii,"axG",@progbits,_ZL13mul_mat_vec_fI6__halfS0_Li2ELi160ELb0ELb0EEvPKT_PKfPKi31ggml_cuda_mm_fusion_args_devicePfi15HIP_vector_typeIjLj3EEiiiSB_iiiSB_iiii,comdat
	.globl	_ZL13mul_mat_vec_fI6__halfS0_Li2ELi160ELb0ELb0EEvPKT_PKfPKi31ggml_cuda_mm_fusion_args_devicePfi15HIP_vector_typeIjLj3EEiiiSB_iiiSB_iiii ; -- Begin function _ZL13mul_mat_vec_fI6__halfS0_Li2ELi160ELb0ELb0EEvPKT_PKfPKi31ggml_cuda_mm_fusion_args_devicePfi15HIP_vector_typeIjLj3EEiiiSB_iiiSB_iiii
	.p2align	8
	.type	_ZL13mul_mat_vec_fI6__halfS0_Li2ELi160ELb0ELb0EEvPKT_PKfPKi31ggml_cuda_mm_fusion_args_devicePfi15HIP_vector_typeIjLj3EEiiiSB_iiiSB_iiii,@function
_ZL13mul_mat_vec_fI6__halfS0_Li2ELi160ELb0ELb0EEvPKT_PKfPKi31ggml_cuda_mm_fusion_args_devicePfi15HIP_vector_typeIjLj3EEiiiSB_iiiSB_iiii: ; @_ZL13mul_mat_vec_fI6__halfS0_Li2ELi160ELb0ELb0EEvPKT_PKfPKi31ggml_cuda_mm_fusion_args_devicePfi15HIP_vector_typeIjLj3EEiiiSB_iiiSB_iiii
; %bb.0:
	s_clause 0x2
	s_load_dwordx2 s[0:1], s[4:5], 0x10
	s_load_dwordx8 s[12:19], s[4:5], 0x40
	s_load_dwordx4 s[20:23], s[4:5], 0x80
	s_waitcnt lgkmcnt(0)
	s_cmp_eq_u64 s[0:1], 0
	s_cselect_b32 s10, -1, 0
	s_cmp_lg_u64 s[0:1], 0
	s_cselect_b32 s9, -1, 0
	s_and_b32 vcc_lo, exec_lo, s10
	s_cbranch_vccnz .LBB124_2
; %bb.1:
	s_mul_i32 s2, s23, s8
	s_mov_b32 s3, 0
	s_add_i32 s2, s2, s7
	s_lshl_b64 s[24:25], s[2:3], 2
	s_add_u32 s0, s0, s24
	s_addc_u32 s1, s1, s25
	s_load_dword s19, s[0:1], 0x0
	s_cbranch_execz .LBB124_3
	s_branch .LBB124_4
.LBB124_2:
                                        ; implicit-def: $sgpr19
.LBB124_3:
	s_load_dwordx2 s[0:1], s[4:5], 0x5c
	s_waitcnt lgkmcnt(0)
	s_mul_hi_u32 s0, s0, s7
	s_add_i32 s0, s7, s0
	s_lshr_b32 s19, s0, s1
.LBB124_4:
	s_load_dwordx4 s[24:27], s[4:5], 0x68
	s_andn2_b32 vcc_lo, exec_lo, s9
	s_mov_b32 s23, s7
	s_cbranch_vccnz .LBB124_6
; %bb.5:
	s_mul_hi_u32 s0, s13, s7
	s_add_i32 s0, s7, s0
	s_lshr_b32 s0, s0, s14
	s_mul_i32 s0, s0, s15
	s_sub_i32 s23, s7, s0
.LBB124_6:
	s_load_dword s9, s[4:5], 0x78
	v_cmp_gt_u32_e32 vcc_lo, 32, v0
	v_lshl_add_u32 v5, v0, 2, 0
	s_and_saveexec_b32 s0, vcc_lo
; %bb.7:
	v_mov_b32_e32 v1, 0
	ds_write_b32 v5, v1
; %bb.8:
	s_or_b32 exec_lo, exec_lo, s0
	v_mov_b32_e32 v7, 0
	v_mov_b32_e32 v6, 0
	s_and_b32 s0, exec_lo, s10
	s_cselect_b32 s10, s8, 0
	s_mov_b32 s11, exec_lo
	s_waitcnt lgkmcnt(0)
	s_barrier
	buffer_gl0_inv
	v_cmpx_gt_i32_e64 s12, v0
	s_cbranch_execz .LBB124_12
; %bb.9:
	s_load_dwordx4 s[0:3], s[4:5], 0x0
	s_mul_hi_u32 s8, s27, s10
	s_mul_i32 s16, s16, s6
	s_add_i32 s8, s10, s8
	s_mul_i32 s14, s19, s24
	s_ashr_i32 s29, s17, 31
	s_mov_b32 s28, s17
	s_ashr_i32 s17, s16, 31
	s_lshr_b32 s13, s8, s9
	s_ashr_i32 s15, s14, 31
	s_mul_i32 s24, s23, s25
	s_lshl_b64 s[8:9], s[16:17], 1
	s_mul_hi_i32 s17, s13, s20
	s_mul_i32 s16, s13, s20
	s_lshl_b64 s[14:15], s[14:15], 1
	s_ashr_i32 s25, s24, 31
	s_lshl_b64 s[16:17], s[16:17], 1
	s_mul_hi_i32 s31, s10, s21
	s_mul_i32 s30, s10, s21
	v_lshlrev_b32_e32 v2, 3, v0
	s_waitcnt lgkmcnt(0)
	s_add_u32 s0, s0, s14
	s_addc_u32 s1, s1, s15
	s_add_u32 s0, s0, s8
	s_addc_u32 s1, s1, s9
	;; [unrolled: 2-line block ×3, first 2 shown]
	s_lshl_b64 s[14:15], s[24:25], 2
	s_lshl_b64 s[8:9], s[28:29], 3
	;; [unrolled: 1-line block ×3, first 2 shown]
	s_add_u32 s2, s2, s14
	s_addc_u32 s3, s3, s15
	v_lshlrev_b32_e32 v1, 2, v0
	s_add_u32 s0, s2, s0
	s_addc_u32 s1, s3, s1
	v_add_co_u32 v3, s0, s0, v2
	v_add_co_ci_u32_e64 v4, null, s1, 0, s0
	v_add_co_u32 v1, s0, s13, v1
	v_add_co_ci_u32_e64 v2, null, s16, 0, s0
	;; [unrolled: 2-line block ×3, first 2 shown]
	v_mov_b32_e32 v6, 0
	v_mov_b32_e32 v7, 0
	;; [unrolled: 1-line block ×3, first 2 shown]
	s_mov_b32 s2, 0
	s_inst_prefetch 0x1
	.p2align	6
.LBB124_10:                             ; =>This Inner Loop Header: Depth=1
	v_add_co_u32 v9, s0, v3, s8
	v_add_co_ci_u32_e64 v10, null, s9, v4, s0
	v_add_nc_u32_e32 v8, 0xa0, v8
	s_clause 0x1
	global_load_dwordx2 v[11:12], v[3:4], off offset:-4
	global_load_dwordx2 v[9:10], v[9:10], off offset:-4
	global_load_dword v13, v[1:2], off
	v_add_co_u32 v1, s0, 0x280, v1
	v_add_co_ci_u32_e64 v2, null, 0, v2, s0
	v_cmp_le_i32_e64 s0, s12, v8
	v_add_co_u32 v3, s1, 0x500, v3
	v_add_co_ci_u32_e64 v4, null, 0, v4, s1
	s_or_b32 s2, s0, s2
	s_waitcnt vmcnt(2)
	v_cvt_f16_f32_e32 v11, v11
	v_cvt_f16_f32_e32 v12, v12
	s_waitcnt vmcnt(1)
	v_cvt_f16_f32_e32 v9, v9
	v_cvt_f16_f32_e32 v10, v10
	v_pack_b32_f16 v11, v11, v12
	v_pack_b32_f16 v9, v9, v10
	s_waitcnt vmcnt(0)
	v_pk_fma_f16 v7, v13, v11, v7
	v_pk_fma_f16 v6, v13, v9, v6
	s_andn2_b32 exec_lo, exec_lo, s2
	s_cbranch_execnz .LBB124_10
; %bb.11:
	s_inst_prefetch 0x2
	s_or_b32 exec_lo, exec_lo, s2
.LBB124_12:
	s_or_b32 exec_lo, exec_lo, s11
	v_mbcnt_lo_u32_b32 v2, -1, 0
	v_cvt_f32_f16_e32 v3, v7
	v_cvt_f32_f16_sdwa v4, v7 dst_sel:DWORD dst_unused:UNUSED_PAD src0_sel:WORD_1
	v_cvt_f32_f16_e32 v11, v6
	v_cvt_f32_f16_sdwa v6, v6 dst_sel:DWORD dst_unused:UNUSED_PAD src0_sel:WORD_1
	v_xor_b32_e32 v1, 16, v2
	v_add_f32_e32 v4, v3, v4
	v_xor_b32_e32 v3, 8, v2
	v_add_f32_e32 v6, v11, v6
	v_cmp_gt_i32_e64 s0, 32, v1
	v_cndmask_b32_e64 v1, v2, v1, s0
	v_cmp_gt_i32_e64 s0, 32, v3
	v_lshlrev_b32_e32 v1, 2, v1
	v_cndmask_b32_e64 v3, v2, v3, s0
	ds_bpermute_b32 v7, v1, v4
	v_lshlrev_b32_e32 v3, 2, v3
	s_waitcnt lgkmcnt(0)
	v_add_f32_e32 v7, v4, v7
	v_xor_b32_e32 v4, 4, v2
	ds_bpermute_b32 v8, v3, v7
	v_cmp_gt_i32_e64 s0, 32, v4
	v_cndmask_b32_e64 v4, v2, v4, s0
	v_lshlrev_b32_e32 v4, 2, v4
	s_waitcnt lgkmcnt(0)
	v_add_f32_e32 v8, v7, v8
	v_xor_b32_e32 v7, 2, v2
	ds_bpermute_b32 v9, v4, v8
	v_cmp_gt_i32_e64 s0, 32, v7
	v_cndmask_b32_e64 v7, v2, v7, s0
	;; [unrolled: 7-line block ×3, first 2 shown]
	v_lshlrev_b32_e32 v8, 2, v2
	s_waitcnt lgkmcnt(0)
	v_add_f32_e32 v2, v9, v10
	v_lshrrev_b32_e32 v9, 3, v0
	ds_bpermute_b32 v10, v8, v2
	v_and_b32_e32 v9, 0x7c, v9
	v_add_nc_u32_e32 v9, 0, v9
	s_waitcnt lgkmcnt(0)
	v_add_f32_e32 v2, v2, v10
	ds_write_b32 v9, v2
	s_waitcnt lgkmcnt(0)
	s_barrier
	buffer_gl0_inv
	s_and_saveexec_b32 s0, vcc_lo
	s_cbranch_execz .LBB124_14
; %bb.13:
	ds_read_b32 v2, v5
	s_waitcnt lgkmcnt(0)
	ds_bpermute_b32 v10, v1, v2
	s_waitcnt lgkmcnt(0)
	v_add_f32_e32 v2, v2, v10
	ds_bpermute_b32 v10, v3, v2
	s_waitcnt lgkmcnt(0)
	v_add_f32_e32 v2, v2, v10
	;; [unrolled: 3-line block ×5, first 2 shown]
.LBB124_14:
	s_or_b32 exec_lo, exec_lo, s0
	ds_bpermute_b32 v10, v1, v6
	s_waitcnt lgkmcnt(0)
	s_barrier
	buffer_gl0_inv
	v_add_f32_e32 v6, v6, v10
	ds_bpermute_b32 v10, v3, v6
	s_waitcnt lgkmcnt(0)
	v_add_f32_e32 v6, v6, v10
	ds_bpermute_b32 v10, v4, v6
	s_waitcnt lgkmcnt(0)
	;; [unrolled: 3-line block ×4, first 2 shown]
	v_add_f32_e32 v6, v6, v10
	ds_write_b32 v9, v6
	s_waitcnt lgkmcnt(0)
	s_barrier
	buffer_gl0_inv
	s_and_saveexec_b32 s0, vcc_lo
	s_cbranch_execz .LBB124_16
; %bb.15:
	ds_read_b32 v5, v5
	s_waitcnt lgkmcnt(0)
	ds_bpermute_b32 v1, v1, v5
	s_waitcnt lgkmcnt(0)
	v_add_f32_e32 v1, v5, v1
	ds_bpermute_b32 v3, v3, v1
	s_waitcnt lgkmcnt(0)
	v_add_f32_e32 v1, v1, v3
	;; [unrolled: 3-line block ×5, first 2 shown]
.LBB124_16:
	s_or_b32 exec_lo, exec_lo, s0
	s_barrier
	buffer_gl0_inv
	s_mov_b32 s0, exec_lo
	v_cmpx_gt_u32_e32 2, v0
	s_cbranch_execz .LBB124_18
; %bb.17:
	s_load_dwordx2 s[0:1], s[4:5], 0x38
	v_mad_u64_u32 v[3:4], null, s18, v0, s[6:7]
	s_mul_hi_i32 s3, s22, s10
	s_mul_i32 s2, s22, s10
	s_mul_i32 s4, s26, s7
	s_lshl_b64 s[2:3], s[2:3], 2
	s_ashr_i32 s5, s4, 31
	v_cmp_eq_u32_e32 vcc_lo, 1, v0
	v_ashrrev_i32_e32 v4, 31, v3
	v_cndmask_b32_e32 v2, v2, v6, vcc_lo
	v_lshlrev_b64 v[3:4], 2, v[3:4]
	s_waitcnt lgkmcnt(0)
	s_add_u32 s2, s0, s2
	s_addc_u32 s3, s1, s3
	s_lshl_b64 s[0:1], s[4:5], 2
	s_add_u32 s0, s2, s0
	s_addc_u32 s1, s3, s1
	v_add_co_u32 v0, vcc_lo, s0, v3
	v_add_co_ci_u32_e64 v1, null, s1, v4, vcc_lo
	global_store_dword v[0:1], v2, off
.LBB124_18:
	s_endpgm
	.section	.rodata,"a",@progbits
	.p2align	6, 0x0
	.amdhsa_kernel _ZL13mul_mat_vec_fI6__halfS0_Li2ELi160ELb0ELb0EEvPKT_PKfPKi31ggml_cuda_mm_fusion_args_devicePfi15HIP_vector_typeIjLj3EEiiiSB_iiiSB_iiii
		.amdhsa_group_segment_fixed_size 0
		.amdhsa_private_segment_fixed_size 0
		.amdhsa_kernarg_size 144
		.amdhsa_user_sgpr_count 6
		.amdhsa_user_sgpr_private_segment_buffer 1
		.amdhsa_user_sgpr_dispatch_ptr 0
		.amdhsa_user_sgpr_queue_ptr 0
		.amdhsa_user_sgpr_kernarg_segment_ptr 1
		.amdhsa_user_sgpr_dispatch_id 0
		.amdhsa_user_sgpr_flat_scratch_init 0
		.amdhsa_user_sgpr_private_segment_size 0
		.amdhsa_wavefront_size32 1
		.amdhsa_uses_dynamic_stack 0
		.amdhsa_system_sgpr_private_segment_wavefront_offset 0
		.amdhsa_system_sgpr_workgroup_id_x 1
		.amdhsa_system_sgpr_workgroup_id_y 1
		.amdhsa_system_sgpr_workgroup_id_z 1
		.amdhsa_system_sgpr_workgroup_info 0
		.amdhsa_system_vgpr_workitem_id 0
		.amdhsa_next_free_vgpr 14
		.amdhsa_next_free_sgpr 32
		.amdhsa_reserve_vcc 1
		.amdhsa_reserve_flat_scratch 0
		.amdhsa_float_round_mode_32 0
		.amdhsa_float_round_mode_16_64 0
		.amdhsa_float_denorm_mode_32 3
		.amdhsa_float_denorm_mode_16_64 3
		.amdhsa_dx10_clamp 1
		.amdhsa_ieee_mode 1
		.amdhsa_fp16_overflow 0
		.amdhsa_workgroup_processor_mode 1
		.amdhsa_memory_ordered 1
		.amdhsa_forward_progress 1
		.amdhsa_shared_vgpr_count 0
		.amdhsa_exception_fp_ieee_invalid_op 0
		.amdhsa_exception_fp_denorm_src 0
		.amdhsa_exception_fp_ieee_div_zero 0
		.amdhsa_exception_fp_ieee_overflow 0
		.amdhsa_exception_fp_ieee_underflow 0
		.amdhsa_exception_fp_ieee_inexact 0
		.amdhsa_exception_int_div_zero 0
	.end_amdhsa_kernel
	.section	.text._ZL13mul_mat_vec_fI6__halfS0_Li2ELi160ELb0ELb0EEvPKT_PKfPKi31ggml_cuda_mm_fusion_args_devicePfi15HIP_vector_typeIjLj3EEiiiSB_iiiSB_iiii,"axG",@progbits,_ZL13mul_mat_vec_fI6__halfS0_Li2ELi160ELb0ELb0EEvPKT_PKfPKi31ggml_cuda_mm_fusion_args_devicePfi15HIP_vector_typeIjLj3EEiiiSB_iiiSB_iiii,comdat
.Lfunc_end124:
	.size	_ZL13mul_mat_vec_fI6__halfS0_Li2ELi160ELb0ELb0EEvPKT_PKfPKi31ggml_cuda_mm_fusion_args_devicePfi15HIP_vector_typeIjLj3EEiiiSB_iiiSB_iiii, .Lfunc_end124-_ZL13mul_mat_vec_fI6__halfS0_Li2ELi160ELb0ELb0EEvPKT_PKfPKi31ggml_cuda_mm_fusion_args_devicePfi15HIP_vector_typeIjLj3EEiiiSB_iiiSB_iiii
                                        ; -- End function
	.set _ZL13mul_mat_vec_fI6__halfS0_Li2ELi160ELb0ELb0EEvPKT_PKfPKi31ggml_cuda_mm_fusion_args_devicePfi15HIP_vector_typeIjLj3EEiiiSB_iiiSB_iiii.num_vgpr, 14
	.set _ZL13mul_mat_vec_fI6__halfS0_Li2ELi160ELb0ELb0EEvPKT_PKfPKi31ggml_cuda_mm_fusion_args_devicePfi15HIP_vector_typeIjLj3EEiiiSB_iiiSB_iiii.num_agpr, 0
	.set _ZL13mul_mat_vec_fI6__halfS0_Li2ELi160ELb0ELb0EEvPKT_PKfPKi31ggml_cuda_mm_fusion_args_devicePfi15HIP_vector_typeIjLj3EEiiiSB_iiiSB_iiii.numbered_sgpr, 32
	.set _ZL13mul_mat_vec_fI6__halfS0_Li2ELi160ELb0ELb0EEvPKT_PKfPKi31ggml_cuda_mm_fusion_args_devicePfi15HIP_vector_typeIjLj3EEiiiSB_iiiSB_iiii.num_named_barrier, 0
	.set _ZL13mul_mat_vec_fI6__halfS0_Li2ELi160ELb0ELb0EEvPKT_PKfPKi31ggml_cuda_mm_fusion_args_devicePfi15HIP_vector_typeIjLj3EEiiiSB_iiiSB_iiii.private_seg_size, 0
	.set _ZL13mul_mat_vec_fI6__halfS0_Li2ELi160ELb0ELb0EEvPKT_PKfPKi31ggml_cuda_mm_fusion_args_devicePfi15HIP_vector_typeIjLj3EEiiiSB_iiiSB_iiii.uses_vcc, 1
	.set _ZL13mul_mat_vec_fI6__halfS0_Li2ELi160ELb0ELb0EEvPKT_PKfPKi31ggml_cuda_mm_fusion_args_devicePfi15HIP_vector_typeIjLj3EEiiiSB_iiiSB_iiii.uses_flat_scratch, 0
	.set _ZL13mul_mat_vec_fI6__halfS0_Li2ELi160ELb0ELb0EEvPKT_PKfPKi31ggml_cuda_mm_fusion_args_devicePfi15HIP_vector_typeIjLj3EEiiiSB_iiiSB_iiii.has_dyn_sized_stack, 0
	.set _ZL13mul_mat_vec_fI6__halfS0_Li2ELi160ELb0ELb0EEvPKT_PKfPKi31ggml_cuda_mm_fusion_args_devicePfi15HIP_vector_typeIjLj3EEiiiSB_iiiSB_iiii.has_recursion, 0
	.set _ZL13mul_mat_vec_fI6__halfS0_Li2ELi160ELb0ELb0EEvPKT_PKfPKi31ggml_cuda_mm_fusion_args_devicePfi15HIP_vector_typeIjLj3EEiiiSB_iiiSB_iiii.has_indirect_call, 0
	.section	.AMDGPU.csdata,"",@progbits
; Kernel info:
; codeLenInByte = 1432
; TotalNumSgprs: 34
; NumVgprs: 14
; ScratchSize: 0
; MemoryBound: 0
; FloatMode: 240
; IeeeMode: 1
; LDSByteSize: 0 bytes/workgroup (compile time only)
; SGPRBlocks: 0
; VGPRBlocks: 1
; NumSGPRsForWavesPerEU: 34
; NumVGPRsForWavesPerEU: 14
; Occupancy: 16
; WaveLimiterHint : 0
; COMPUTE_PGM_RSRC2:SCRATCH_EN: 0
; COMPUTE_PGM_RSRC2:USER_SGPR: 6
; COMPUTE_PGM_RSRC2:TRAP_HANDLER: 0
; COMPUTE_PGM_RSRC2:TGID_X_EN: 1
; COMPUTE_PGM_RSRC2:TGID_Y_EN: 1
; COMPUTE_PGM_RSRC2:TGID_Z_EN: 1
; COMPUTE_PGM_RSRC2:TIDIG_COMP_CNT: 0
	.section	.text._ZL13mul_mat_vec_fI6__halfS0_Li2ELi192ELb0ELb0EEvPKT_PKfPKi31ggml_cuda_mm_fusion_args_devicePfi15HIP_vector_typeIjLj3EEiiiSB_iiiSB_iiii,"axG",@progbits,_ZL13mul_mat_vec_fI6__halfS0_Li2ELi192ELb0ELb0EEvPKT_PKfPKi31ggml_cuda_mm_fusion_args_devicePfi15HIP_vector_typeIjLj3EEiiiSB_iiiSB_iiii,comdat
	.globl	_ZL13mul_mat_vec_fI6__halfS0_Li2ELi192ELb0ELb0EEvPKT_PKfPKi31ggml_cuda_mm_fusion_args_devicePfi15HIP_vector_typeIjLj3EEiiiSB_iiiSB_iiii ; -- Begin function _ZL13mul_mat_vec_fI6__halfS0_Li2ELi192ELb0ELb0EEvPKT_PKfPKi31ggml_cuda_mm_fusion_args_devicePfi15HIP_vector_typeIjLj3EEiiiSB_iiiSB_iiii
	.p2align	8
	.type	_ZL13mul_mat_vec_fI6__halfS0_Li2ELi192ELb0ELb0EEvPKT_PKfPKi31ggml_cuda_mm_fusion_args_devicePfi15HIP_vector_typeIjLj3EEiiiSB_iiiSB_iiii,@function
_ZL13mul_mat_vec_fI6__halfS0_Li2ELi192ELb0ELb0EEvPKT_PKfPKi31ggml_cuda_mm_fusion_args_devicePfi15HIP_vector_typeIjLj3EEiiiSB_iiiSB_iiii: ; @_ZL13mul_mat_vec_fI6__halfS0_Li2ELi192ELb0ELb0EEvPKT_PKfPKi31ggml_cuda_mm_fusion_args_devicePfi15HIP_vector_typeIjLj3EEiiiSB_iiiSB_iiii
; %bb.0:
	s_clause 0x2
	s_load_dwordx2 s[0:1], s[4:5], 0x10
	s_load_dwordx8 s[12:19], s[4:5], 0x40
	s_load_dwordx4 s[20:23], s[4:5], 0x80
	s_waitcnt lgkmcnt(0)
	s_cmp_eq_u64 s[0:1], 0
	s_cselect_b32 s10, -1, 0
	s_cmp_lg_u64 s[0:1], 0
	s_cselect_b32 s9, -1, 0
	s_and_b32 vcc_lo, exec_lo, s10
	s_cbranch_vccnz .LBB125_2
; %bb.1:
	s_mul_i32 s2, s23, s8
	s_mov_b32 s3, 0
	s_add_i32 s2, s2, s7
	s_lshl_b64 s[24:25], s[2:3], 2
	s_add_u32 s0, s0, s24
	s_addc_u32 s1, s1, s25
	s_load_dword s19, s[0:1], 0x0
	s_cbranch_execz .LBB125_3
	s_branch .LBB125_4
.LBB125_2:
                                        ; implicit-def: $sgpr19
.LBB125_3:
	s_load_dwordx2 s[0:1], s[4:5], 0x5c
	s_waitcnt lgkmcnt(0)
	s_mul_hi_u32 s0, s0, s7
	s_add_i32 s0, s7, s0
	s_lshr_b32 s19, s0, s1
.LBB125_4:
	s_load_dwordx4 s[24:27], s[4:5], 0x68
	s_andn2_b32 vcc_lo, exec_lo, s9
	s_mov_b32 s23, s7
	s_cbranch_vccnz .LBB125_6
; %bb.5:
	s_mul_hi_u32 s0, s13, s7
	s_add_i32 s0, s7, s0
	s_lshr_b32 s0, s0, s14
	s_mul_i32 s0, s0, s15
	s_sub_i32 s23, s7, s0
.LBB125_6:
	s_load_dword s9, s[4:5], 0x78
	v_cmp_gt_u32_e32 vcc_lo, 32, v0
	v_lshl_add_u32 v5, v0, 2, 0
	s_and_saveexec_b32 s0, vcc_lo
; %bb.7:
	v_mov_b32_e32 v1, 0
	ds_write_b32 v5, v1
; %bb.8:
	s_or_b32 exec_lo, exec_lo, s0
	v_mov_b32_e32 v7, 0
	v_mov_b32_e32 v6, 0
	s_and_b32 s0, exec_lo, s10
	s_cselect_b32 s10, s8, 0
	s_mov_b32 s11, exec_lo
	s_waitcnt lgkmcnt(0)
	s_barrier
	buffer_gl0_inv
	v_cmpx_gt_i32_e64 s12, v0
	s_cbranch_execz .LBB125_12
; %bb.9:
	s_load_dwordx4 s[0:3], s[4:5], 0x0
	s_mul_hi_u32 s8, s27, s10
	s_mul_i32 s16, s16, s6
	s_add_i32 s8, s10, s8
	s_mul_i32 s14, s19, s24
	s_ashr_i32 s29, s17, 31
	s_mov_b32 s28, s17
	s_ashr_i32 s17, s16, 31
	s_lshr_b32 s13, s8, s9
	s_ashr_i32 s15, s14, 31
	s_mul_i32 s24, s23, s25
	s_lshl_b64 s[8:9], s[16:17], 1
	s_mul_hi_i32 s17, s13, s20
	s_mul_i32 s16, s13, s20
	s_lshl_b64 s[14:15], s[14:15], 1
	s_ashr_i32 s25, s24, 31
	s_lshl_b64 s[16:17], s[16:17], 1
	s_mul_hi_i32 s31, s10, s21
	s_mul_i32 s30, s10, s21
	v_lshlrev_b32_e32 v2, 3, v0
	s_waitcnt lgkmcnt(0)
	s_add_u32 s0, s0, s14
	s_addc_u32 s1, s1, s15
	s_add_u32 s0, s0, s8
	s_addc_u32 s1, s1, s9
	;; [unrolled: 2-line block ×3, first 2 shown]
	s_lshl_b64 s[14:15], s[24:25], 2
	s_lshl_b64 s[8:9], s[28:29], 3
	;; [unrolled: 1-line block ×3, first 2 shown]
	s_add_u32 s2, s2, s14
	s_addc_u32 s3, s3, s15
	v_lshlrev_b32_e32 v1, 2, v0
	s_add_u32 s0, s2, s0
	s_addc_u32 s1, s3, s1
	v_add_co_u32 v3, s0, s0, v2
	v_add_co_ci_u32_e64 v4, null, s1, 0, s0
	v_add_co_u32 v1, s0, s13, v1
	v_add_co_ci_u32_e64 v2, null, s16, 0, s0
	;; [unrolled: 2-line block ×3, first 2 shown]
	v_mov_b32_e32 v6, 0
	v_mov_b32_e32 v7, 0
	v_mov_b32_e32 v8, v0
	s_mov_b32 s2, 0
	s_inst_prefetch 0x1
	.p2align	6
.LBB125_10:                             ; =>This Inner Loop Header: Depth=1
	v_add_co_u32 v9, s0, v3, s8
	v_add_co_ci_u32_e64 v10, null, s9, v4, s0
	v_add_nc_u32_e32 v8, 0xc0, v8
	s_clause 0x1
	global_load_dwordx2 v[11:12], v[3:4], off offset:-4
	global_load_dwordx2 v[9:10], v[9:10], off offset:-4
	global_load_dword v13, v[1:2], off
	v_add_co_u32 v1, s0, 0x300, v1
	v_add_co_ci_u32_e64 v2, null, 0, v2, s0
	v_cmp_le_i32_e64 s0, s12, v8
	v_add_co_u32 v3, s1, 0x600, v3
	v_add_co_ci_u32_e64 v4, null, 0, v4, s1
	s_or_b32 s2, s0, s2
	s_waitcnt vmcnt(2)
	v_cvt_f16_f32_e32 v11, v11
	v_cvt_f16_f32_e32 v12, v12
	s_waitcnt vmcnt(1)
	v_cvt_f16_f32_e32 v9, v9
	v_cvt_f16_f32_e32 v10, v10
	v_pack_b32_f16 v11, v11, v12
	v_pack_b32_f16 v9, v9, v10
	s_waitcnt vmcnt(0)
	v_pk_fma_f16 v7, v13, v11, v7
	v_pk_fma_f16 v6, v13, v9, v6
	s_andn2_b32 exec_lo, exec_lo, s2
	s_cbranch_execnz .LBB125_10
; %bb.11:
	s_inst_prefetch 0x2
	s_or_b32 exec_lo, exec_lo, s2
.LBB125_12:
	s_or_b32 exec_lo, exec_lo, s11
	v_mbcnt_lo_u32_b32 v2, -1, 0
	v_cvt_f32_f16_e32 v3, v7
	v_cvt_f32_f16_sdwa v4, v7 dst_sel:DWORD dst_unused:UNUSED_PAD src0_sel:WORD_1
	v_cvt_f32_f16_e32 v11, v6
	v_cvt_f32_f16_sdwa v6, v6 dst_sel:DWORD dst_unused:UNUSED_PAD src0_sel:WORD_1
	v_xor_b32_e32 v1, 16, v2
	v_add_f32_e32 v4, v3, v4
	v_xor_b32_e32 v3, 8, v2
	v_add_f32_e32 v6, v11, v6
	v_cmp_gt_i32_e64 s0, 32, v1
	v_cndmask_b32_e64 v1, v2, v1, s0
	v_cmp_gt_i32_e64 s0, 32, v3
	v_lshlrev_b32_e32 v1, 2, v1
	v_cndmask_b32_e64 v3, v2, v3, s0
	ds_bpermute_b32 v7, v1, v4
	v_lshlrev_b32_e32 v3, 2, v3
	s_waitcnt lgkmcnt(0)
	v_add_f32_e32 v7, v4, v7
	v_xor_b32_e32 v4, 4, v2
	ds_bpermute_b32 v8, v3, v7
	v_cmp_gt_i32_e64 s0, 32, v4
	v_cndmask_b32_e64 v4, v2, v4, s0
	v_lshlrev_b32_e32 v4, 2, v4
	s_waitcnt lgkmcnt(0)
	v_add_f32_e32 v8, v7, v8
	v_xor_b32_e32 v7, 2, v2
	ds_bpermute_b32 v9, v4, v8
	v_cmp_gt_i32_e64 s0, 32, v7
	v_cndmask_b32_e64 v7, v2, v7, s0
	;; [unrolled: 7-line block ×3, first 2 shown]
	v_lshlrev_b32_e32 v8, 2, v2
	s_waitcnt lgkmcnt(0)
	v_add_f32_e32 v2, v9, v10
	v_lshrrev_b32_e32 v9, 3, v0
	ds_bpermute_b32 v10, v8, v2
	v_and_b32_e32 v9, 0x7c, v9
	v_add_nc_u32_e32 v9, 0, v9
	s_waitcnt lgkmcnt(0)
	v_add_f32_e32 v2, v2, v10
	ds_write_b32 v9, v2
	s_waitcnt lgkmcnt(0)
	s_barrier
	buffer_gl0_inv
	s_and_saveexec_b32 s0, vcc_lo
	s_cbranch_execz .LBB125_14
; %bb.13:
	ds_read_b32 v2, v5
	s_waitcnt lgkmcnt(0)
	ds_bpermute_b32 v10, v1, v2
	s_waitcnt lgkmcnt(0)
	v_add_f32_e32 v2, v2, v10
	ds_bpermute_b32 v10, v3, v2
	s_waitcnt lgkmcnt(0)
	v_add_f32_e32 v2, v2, v10
	;; [unrolled: 3-line block ×5, first 2 shown]
.LBB125_14:
	s_or_b32 exec_lo, exec_lo, s0
	ds_bpermute_b32 v10, v1, v6
	s_waitcnt lgkmcnt(0)
	s_barrier
	buffer_gl0_inv
	v_add_f32_e32 v6, v6, v10
	ds_bpermute_b32 v10, v3, v6
	s_waitcnt lgkmcnt(0)
	v_add_f32_e32 v6, v6, v10
	ds_bpermute_b32 v10, v4, v6
	s_waitcnt lgkmcnt(0)
	;; [unrolled: 3-line block ×4, first 2 shown]
	v_add_f32_e32 v6, v6, v10
	ds_write_b32 v9, v6
	s_waitcnt lgkmcnt(0)
	s_barrier
	buffer_gl0_inv
	s_and_saveexec_b32 s0, vcc_lo
	s_cbranch_execz .LBB125_16
; %bb.15:
	ds_read_b32 v5, v5
	s_waitcnt lgkmcnt(0)
	ds_bpermute_b32 v1, v1, v5
	s_waitcnt lgkmcnt(0)
	v_add_f32_e32 v1, v5, v1
	ds_bpermute_b32 v3, v3, v1
	s_waitcnt lgkmcnt(0)
	v_add_f32_e32 v1, v1, v3
	;; [unrolled: 3-line block ×5, first 2 shown]
.LBB125_16:
	s_or_b32 exec_lo, exec_lo, s0
	s_barrier
	buffer_gl0_inv
	s_mov_b32 s0, exec_lo
	v_cmpx_gt_u32_e32 2, v0
	s_cbranch_execz .LBB125_18
; %bb.17:
	s_load_dwordx2 s[0:1], s[4:5], 0x38
	v_mad_u64_u32 v[3:4], null, s18, v0, s[6:7]
	s_mul_hi_i32 s3, s22, s10
	s_mul_i32 s2, s22, s10
	s_mul_i32 s4, s26, s7
	s_lshl_b64 s[2:3], s[2:3], 2
	s_ashr_i32 s5, s4, 31
	v_cmp_eq_u32_e32 vcc_lo, 1, v0
	v_ashrrev_i32_e32 v4, 31, v3
	v_cndmask_b32_e32 v2, v2, v6, vcc_lo
	v_lshlrev_b64 v[3:4], 2, v[3:4]
	s_waitcnt lgkmcnt(0)
	s_add_u32 s2, s0, s2
	s_addc_u32 s3, s1, s3
	s_lshl_b64 s[0:1], s[4:5], 2
	s_add_u32 s0, s2, s0
	s_addc_u32 s1, s3, s1
	v_add_co_u32 v0, vcc_lo, s0, v3
	v_add_co_ci_u32_e64 v1, null, s1, v4, vcc_lo
	global_store_dword v[0:1], v2, off
.LBB125_18:
	s_endpgm
	.section	.rodata,"a",@progbits
	.p2align	6, 0x0
	.amdhsa_kernel _ZL13mul_mat_vec_fI6__halfS0_Li2ELi192ELb0ELb0EEvPKT_PKfPKi31ggml_cuda_mm_fusion_args_devicePfi15HIP_vector_typeIjLj3EEiiiSB_iiiSB_iiii
		.amdhsa_group_segment_fixed_size 0
		.amdhsa_private_segment_fixed_size 0
		.amdhsa_kernarg_size 144
		.amdhsa_user_sgpr_count 6
		.amdhsa_user_sgpr_private_segment_buffer 1
		.amdhsa_user_sgpr_dispatch_ptr 0
		.amdhsa_user_sgpr_queue_ptr 0
		.amdhsa_user_sgpr_kernarg_segment_ptr 1
		.amdhsa_user_sgpr_dispatch_id 0
		.amdhsa_user_sgpr_flat_scratch_init 0
		.amdhsa_user_sgpr_private_segment_size 0
		.amdhsa_wavefront_size32 1
		.amdhsa_uses_dynamic_stack 0
		.amdhsa_system_sgpr_private_segment_wavefront_offset 0
		.amdhsa_system_sgpr_workgroup_id_x 1
		.amdhsa_system_sgpr_workgroup_id_y 1
		.amdhsa_system_sgpr_workgroup_id_z 1
		.amdhsa_system_sgpr_workgroup_info 0
		.amdhsa_system_vgpr_workitem_id 0
		.amdhsa_next_free_vgpr 14
		.amdhsa_next_free_sgpr 32
		.amdhsa_reserve_vcc 1
		.amdhsa_reserve_flat_scratch 0
		.amdhsa_float_round_mode_32 0
		.amdhsa_float_round_mode_16_64 0
		.amdhsa_float_denorm_mode_32 3
		.amdhsa_float_denorm_mode_16_64 3
		.amdhsa_dx10_clamp 1
		.amdhsa_ieee_mode 1
		.amdhsa_fp16_overflow 0
		.amdhsa_workgroup_processor_mode 1
		.amdhsa_memory_ordered 1
		.amdhsa_forward_progress 1
		.amdhsa_shared_vgpr_count 0
		.amdhsa_exception_fp_ieee_invalid_op 0
		.amdhsa_exception_fp_denorm_src 0
		.amdhsa_exception_fp_ieee_div_zero 0
		.amdhsa_exception_fp_ieee_overflow 0
		.amdhsa_exception_fp_ieee_underflow 0
		.amdhsa_exception_fp_ieee_inexact 0
		.amdhsa_exception_int_div_zero 0
	.end_amdhsa_kernel
	.section	.text._ZL13mul_mat_vec_fI6__halfS0_Li2ELi192ELb0ELb0EEvPKT_PKfPKi31ggml_cuda_mm_fusion_args_devicePfi15HIP_vector_typeIjLj3EEiiiSB_iiiSB_iiii,"axG",@progbits,_ZL13mul_mat_vec_fI6__halfS0_Li2ELi192ELb0ELb0EEvPKT_PKfPKi31ggml_cuda_mm_fusion_args_devicePfi15HIP_vector_typeIjLj3EEiiiSB_iiiSB_iiii,comdat
.Lfunc_end125:
	.size	_ZL13mul_mat_vec_fI6__halfS0_Li2ELi192ELb0ELb0EEvPKT_PKfPKi31ggml_cuda_mm_fusion_args_devicePfi15HIP_vector_typeIjLj3EEiiiSB_iiiSB_iiii, .Lfunc_end125-_ZL13mul_mat_vec_fI6__halfS0_Li2ELi192ELb0ELb0EEvPKT_PKfPKi31ggml_cuda_mm_fusion_args_devicePfi15HIP_vector_typeIjLj3EEiiiSB_iiiSB_iiii
                                        ; -- End function
	.set _ZL13mul_mat_vec_fI6__halfS0_Li2ELi192ELb0ELb0EEvPKT_PKfPKi31ggml_cuda_mm_fusion_args_devicePfi15HIP_vector_typeIjLj3EEiiiSB_iiiSB_iiii.num_vgpr, 14
	.set _ZL13mul_mat_vec_fI6__halfS0_Li2ELi192ELb0ELb0EEvPKT_PKfPKi31ggml_cuda_mm_fusion_args_devicePfi15HIP_vector_typeIjLj3EEiiiSB_iiiSB_iiii.num_agpr, 0
	.set _ZL13mul_mat_vec_fI6__halfS0_Li2ELi192ELb0ELb0EEvPKT_PKfPKi31ggml_cuda_mm_fusion_args_devicePfi15HIP_vector_typeIjLj3EEiiiSB_iiiSB_iiii.numbered_sgpr, 32
	.set _ZL13mul_mat_vec_fI6__halfS0_Li2ELi192ELb0ELb0EEvPKT_PKfPKi31ggml_cuda_mm_fusion_args_devicePfi15HIP_vector_typeIjLj3EEiiiSB_iiiSB_iiii.num_named_barrier, 0
	.set _ZL13mul_mat_vec_fI6__halfS0_Li2ELi192ELb0ELb0EEvPKT_PKfPKi31ggml_cuda_mm_fusion_args_devicePfi15HIP_vector_typeIjLj3EEiiiSB_iiiSB_iiii.private_seg_size, 0
	.set _ZL13mul_mat_vec_fI6__halfS0_Li2ELi192ELb0ELb0EEvPKT_PKfPKi31ggml_cuda_mm_fusion_args_devicePfi15HIP_vector_typeIjLj3EEiiiSB_iiiSB_iiii.uses_vcc, 1
	.set _ZL13mul_mat_vec_fI6__halfS0_Li2ELi192ELb0ELb0EEvPKT_PKfPKi31ggml_cuda_mm_fusion_args_devicePfi15HIP_vector_typeIjLj3EEiiiSB_iiiSB_iiii.uses_flat_scratch, 0
	.set _ZL13mul_mat_vec_fI6__halfS0_Li2ELi192ELb0ELb0EEvPKT_PKfPKi31ggml_cuda_mm_fusion_args_devicePfi15HIP_vector_typeIjLj3EEiiiSB_iiiSB_iiii.has_dyn_sized_stack, 0
	.set _ZL13mul_mat_vec_fI6__halfS0_Li2ELi192ELb0ELb0EEvPKT_PKfPKi31ggml_cuda_mm_fusion_args_devicePfi15HIP_vector_typeIjLj3EEiiiSB_iiiSB_iiii.has_recursion, 0
	.set _ZL13mul_mat_vec_fI6__halfS0_Li2ELi192ELb0ELb0EEvPKT_PKfPKi31ggml_cuda_mm_fusion_args_devicePfi15HIP_vector_typeIjLj3EEiiiSB_iiiSB_iiii.has_indirect_call, 0
	.section	.AMDGPU.csdata,"",@progbits
; Kernel info:
; codeLenInByte = 1432
; TotalNumSgprs: 34
; NumVgprs: 14
; ScratchSize: 0
; MemoryBound: 0
; FloatMode: 240
; IeeeMode: 1
; LDSByteSize: 0 bytes/workgroup (compile time only)
; SGPRBlocks: 0
; VGPRBlocks: 1
; NumSGPRsForWavesPerEU: 34
; NumVGPRsForWavesPerEU: 14
; Occupancy: 16
; WaveLimiterHint : 0
; COMPUTE_PGM_RSRC2:SCRATCH_EN: 0
; COMPUTE_PGM_RSRC2:USER_SGPR: 6
; COMPUTE_PGM_RSRC2:TRAP_HANDLER: 0
; COMPUTE_PGM_RSRC2:TGID_X_EN: 1
; COMPUTE_PGM_RSRC2:TGID_Y_EN: 1
; COMPUTE_PGM_RSRC2:TGID_Z_EN: 1
; COMPUTE_PGM_RSRC2:TIDIG_COMP_CNT: 0
	.section	.text._ZL13mul_mat_vec_fI6__halfS0_Li2ELi224ELb0ELb0EEvPKT_PKfPKi31ggml_cuda_mm_fusion_args_devicePfi15HIP_vector_typeIjLj3EEiiiSB_iiiSB_iiii,"axG",@progbits,_ZL13mul_mat_vec_fI6__halfS0_Li2ELi224ELb0ELb0EEvPKT_PKfPKi31ggml_cuda_mm_fusion_args_devicePfi15HIP_vector_typeIjLj3EEiiiSB_iiiSB_iiii,comdat
	.globl	_ZL13mul_mat_vec_fI6__halfS0_Li2ELi224ELb0ELb0EEvPKT_PKfPKi31ggml_cuda_mm_fusion_args_devicePfi15HIP_vector_typeIjLj3EEiiiSB_iiiSB_iiii ; -- Begin function _ZL13mul_mat_vec_fI6__halfS0_Li2ELi224ELb0ELb0EEvPKT_PKfPKi31ggml_cuda_mm_fusion_args_devicePfi15HIP_vector_typeIjLj3EEiiiSB_iiiSB_iiii
	.p2align	8
	.type	_ZL13mul_mat_vec_fI6__halfS0_Li2ELi224ELb0ELb0EEvPKT_PKfPKi31ggml_cuda_mm_fusion_args_devicePfi15HIP_vector_typeIjLj3EEiiiSB_iiiSB_iiii,@function
_ZL13mul_mat_vec_fI6__halfS0_Li2ELi224ELb0ELb0EEvPKT_PKfPKi31ggml_cuda_mm_fusion_args_devicePfi15HIP_vector_typeIjLj3EEiiiSB_iiiSB_iiii: ; @_ZL13mul_mat_vec_fI6__halfS0_Li2ELi224ELb0ELb0EEvPKT_PKfPKi31ggml_cuda_mm_fusion_args_devicePfi15HIP_vector_typeIjLj3EEiiiSB_iiiSB_iiii
; %bb.0:
	s_clause 0x2
	s_load_dwordx2 s[0:1], s[4:5], 0x10
	s_load_dwordx8 s[12:19], s[4:5], 0x40
	s_load_dwordx4 s[20:23], s[4:5], 0x80
	s_waitcnt lgkmcnt(0)
	s_cmp_eq_u64 s[0:1], 0
	s_cselect_b32 s10, -1, 0
	s_cmp_lg_u64 s[0:1], 0
	s_cselect_b32 s9, -1, 0
	s_and_b32 vcc_lo, exec_lo, s10
	s_cbranch_vccnz .LBB126_2
; %bb.1:
	s_mul_i32 s2, s23, s8
	s_mov_b32 s3, 0
	s_add_i32 s2, s2, s7
	s_lshl_b64 s[24:25], s[2:3], 2
	s_add_u32 s0, s0, s24
	s_addc_u32 s1, s1, s25
	s_load_dword s19, s[0:1], 0x0
	s_cbranch_execz .LBB126_3
	s_branch .LBB126_4
.LBB126_2:
                                        ; implicit-def: $sgpr19
.LBB126_3:
	s_load_dwordx2 s[0:1], s[4:5], 0x5c
	s_waitcnt lgkmcnt(0)
	s_mul_hi_u32 s0, s0, s7
	s_add_i32 s0, s7, s0
	s_lshr_b32 s19, s0, s1
.LBB126_4:
	s_load_dwordx4 s[24:27], s[4:5], 0x68
	s_andn2_b32 vcc_lo, exec_lo, s9
	s_mov_b32 s23, s7
	s_cbranch_vccnz .LBB126_6
; %bb.5:
	s_mul_hi_u32 s0, s13, s7
	s_add_i32 s0, s7, s0
	s_lshr_b32 s0, s0, s14
	s_mul_i32 s0, s0, s15
	s_sub_i32 s23, s7, s0
.LBB126_6:
	s_load_dword s9, s[4:5], 0x78
	v_cmp_gt_u32_e32 vcc_lo, 32, v0
	v_lshl_add_u32 v5, v0, 2, 0
	s_and_saveexec_b32 s0, vcc_lo
; %bb.7:
	v_mov_b32_e32 v1, 0
	ds_write_b32 v5, v1
; %bb.8:
	s_or_b32 exec_lo, exec_lo, s0
	v_mov_b32_e32 v7, 0
	v_mov_b32_e32 v6, 0
	s_and_b32 s0, exec_lo, s10
	s_cselect_b32 s10, s8, 0
	s_mov_b32 s11, exec_lo
	s_waitcnt lgkmcnt(0)
	s_barrier
	buffer_gl0_inv
	v_cmpx_gt_i32_e64 s12, v0
	s_cbranch_execz .LBB126_12
; %bb.9:
	s_load_dwordx4 s[0:3], s[4:5], 0x0
	s_mul_hi_u32 s8, s27, s10
	s_mul_i32 s16, s16, s6
	s_add_i32 s8, s10, s8
	s_mul_i32 s14, s19, s24
	s_ashr_i32 s29, s17, 31
	s_mov_b32 s28, s17
	s_ashr_i32 s17, s16, 31
	s_lshr_b32 s13, s8, s9
	s_ashr_i32 s15, s14, 31
	s_mul_i32 s24, s23, s25
	s_lshl_b64 s[8:9], s[16:17], 1
	s_mul_hi_i32 s17, s13, s20
	s_mul_i32 s16, s13, s20
	s_lshl_b64 s[14:15], s[14:15], 1
	s_ashr_i32 s25, s24, 31
	s_lshl_b64 s[16:17], s[16:17], 1
	s_mul_hi_i32 s31, s10, s21
	s_mul_i32 s30, s10, s21
	v_lshlrev_b32_e32 v2, 3, v0
	s_waitcnt lgkmcnt(0)
	s_add_u32 s0, s0, s14
	s_addc_u32 s1, s1, s15
	s_add_u32 s0, s0, s8
	s_addc_u32 s1, s1, s9
	s_add_u32 s13, s0, s16
	s_addc_u32 s16, s1, s17
	s_lshl_b64 s[14:15], s[24:25], 2
	s_lshl_b64 s[8:9], s[28:29], 3
	;; [unrolled: 1-line block ×3, first 2 shown]
	s_add_u32 s2, s2, s14
	s_addc_u32 s3, s3, s15
	v_lshlrev_b32_e32 v1, 2, v0
	s_add_u32 s0, s2, s0
	s_addc_u32 s1, s3, s1
	v_add_co_u32 v3, s0, s0, v2
	v_add_co_ci_u32_e64 v4, null, s1, 0, s0
	v_add_co_u32 v1, s0, s13, v1
	v_add_co_ci_u32_e64 v2, null, s16, 0, s0
	;; [unrolled: 2-line block ×3, first 2 shown]
	v_mov_b32_e32 v6, 0
	v_mov_b32_e32 v7, 0
	;; [unrolled: 1-line block ×3, first 2 shown]
	s_mov_b32 s2, 0
	s_inst_prefetch 0x1
	.p2align	6
.LBB126_10:                             ; =>This Inner Loop Header: Depth=1
	v_add_co_u32 v9, s0, v3, s8
	v_add_co_ci_u32_e64 v10, null, s9, v4, s0
	v_add_nc_u32_e32 v8, 0xe0, v8
	s_clause 0x1
	global_load_dwordx2 v[11:12], v[3:4], off offset:-4
	global_load_dwordx2 v[9:10], v[9:10], off offset:-4
	global_load_dword v13, v[1:2], off
	v_add_co_u32 v1, s0, 0x380, v1
	v_add_co_ci_u32_e64 v2, null, 0, v2, s0
	v_cmp_le_i32_e64 s0, s12, v8
	v_add_co_u32 v3, s1, 0x700, v3
	v_add_co_ci_u32_e64 v4, null, 0, v4, s1
	s_or_b32 s2, s0, s2
	s_waitcnt vmcnt(2)
	v_cvt_f16_f32_e32 v11, v11
	v_cvt_f16_f32_e32 v12, v12
	s_waitcnt vmcnt(1)
	v_cvt_f16_f32_e32 v9, v9
	v_cvt_f16_f32_e32 v10, v10
	v_pack_b32_f16 v11, v11, v12
	v_pack_b32_f16 v9, v9, v10
	s_waitcnt vmcnt(0)
	v_pk_fma_f16 v7, v13, v11, v7
	v_pk_fma_f16 v6, v13, v9, v6
	s_andn2_b32 exec_lo, exec_lo, s2
	s_cbranch_execnz .LBB126_10
; %bb.11:
	s_inst_prefetch 0x2
	s_or_b32 exec_lo, exec_lo, s2
.LBB126_12:
	s_or_b32 exec_lo, exec_lo, s11
	v_mbcnt_lo_u32_b32 v2, -1, 0
	v_cvt_f32_f16_e32 v3, v7
	v_cvt_f32_f16_sdwa v4, v7 dst_sel:DWORD dst_unused:UNUSED_PAD src0_sel:WORD_1
	v_cvt_f32_f16_e32 v11, v6
	v_cvt_f32_f16_sdwa v6, v6 dst_sel:DWORD dst_unused:UNUSED_PAD src0_sel:WORD_1
	v_xor_b32_e32 v1, 16, v2
	v_add_f32_e32 v4, v3, v4
	v_xor_b32_e32 v3, 8, v2
	v_add_f32_e32 v6, v11, v6
	v_cmp_gt_i32_e64 s0, 32, v1
	v_cndmask_b32_e64 v1, v2, v1, s0
	v_cmp_gt_i32_e64 s0, 32, v3
	v_lshlrev_b32_e32 v1, 2, v1
	v_cndmask_b32_e64 v3, v2, v3, s0
	ds_bpermute_b32 v7, v1, v4
	v_lshlrev_b32_e32 v3, 2, v3
	s_waitcnt lgkmcnt(0)
	v_add_f32_e32 v7, v4, v7
	v_xor_b32_e32 v4, 4, v2
	ds_bpermute_b32 v8, v3, v7
	v_cmp_gt_i32_e64 s0, 32, v4
	v_cndmask_b32_e64 v4, v2, v4, s0
	v_lshlrev_b32_e32 v4, 2, v4
	s_waitcnt lgkmcnt(0)
	v_add_f32_e32 v8, v7, v8
	v_xor_b32_e32 v7, 2, v2
	ds_bpermute_b32 v9, v4, v8
	v_cmp_gt_i32_e64 s0, 32, v7
	v_cndmask_b32_e64 v7, v2, v7, s0
	;; [unrolled: 7-line block ×3, first 2 shown]
	v_lshlrev_b32_e32 v8, 2, v2
	s_waitcnt lgkmcnt(0)
	v_add_f32_e32 v2, v9, v10
	v_lshrrev_b32_e32 v9, 3, v0
	ds_bpermute_b32 v10, v8, v2
	v_and_b32_e32 v9, 0x7c, v9
	v_add_nc_u32_e32 v9, 0, v9
	s_waitcnt lgkmcnt(0)
	v_add_f32_e32 v2, v2, v10
	ds_write_b32 v9, v2
	s_waitcnt lgkmcnt(0)
	s_barrier
	buffer_gl0_inv
	s_and_saveexec_b32 s0, vcc_lo
	s_cbranch_execz .LBB126_14
; %bb.13:
	ds_read_b32 v2, v5
	s_waitcnt lgkmcnt(0)
	ds_bpermute_b32 v10, v1, v2
	s_waitcnt lgkmcnt(0)
	v_add_f32_e32 v2, v2, v10
	ds_bpermute_b32 v10, v3, v2
	s_waitcnt lgkmcnt(0)
	v_add_f32_e32 v2, v2, v10
	;; [unrolled: 3-line block ×5, first 2 shown]
.LBB126_14:
	s_or_b32 exec_lo, exec_lo, s0
	ds_bpermute_b32 v10, v1, v6
	s_waitcnt lgkmcnt(0)
	s_barrier
	buffer_gl0_inv
	v_add_f32_e32 v6, v6, v10
	ds_bpermute_b32 v10, v3, v6
	s_waitcnt lgkmcnt(0)
	v_add_f32_e32 v6, v6, v10
	ds_bpermute_b32 v10, v4, v6
	s_waitcnt lgkmcnt(0)
	;; [unrolled: 3-line block ×4, first 2 shown]
	v_add_f32_e32 v6, v6, v10
	ds_write_b32 v9, v6
	s_waitcnt lgkmcnt(0)
	s_barrier
	buffer_gl0_inv
	s_and_saveexec_b32 s0, vcc_lo
	s_cbranch_execz .LBB126_16
; %bb.15:
	ds_read_b32 v5, v5
	s_waitcnt lgkmcnt(0)
	ds_bpermute_b32 v1, v1, v5
	s_waitcnt lgkmcnt(0)
	v_add_f32_e32 v1, v5, v1
	ds_bpermute_b32 v3, v3, v1
	s_waitcnt lgkmcnt(0)
	v_add_f32_e32 v1, v1, v3
	;; [unrolled: 3-line block ×5, first 2 shown]
.LBB126_16:
	s_or_b32 exec_lo, exec_lo, s0
	s_barrier
	buffer_gl0_inv
	s_mov_b32 s0, exec_lo
	v_cmpx_gt_u32_e32 2, v0
	s_cbranch_execz .LBB126_18
; %bb.17:
	s_load_dwordx2 s[0:1], s[4:5], 0x38
	v_mad_u64_u32 v[3:4], null, s18, v0, s[6:7]
	s_mul_hi_i32 s3, s22, s10
	s_mul_i32 s2, s22, s10
	s_mul_i32 s4, s26, s7
	s_lshl_b64 s[2:3], s[2:3], 2
	s_ashr_i32 s5, s4, 31
	v_cmp_eq_u32_e32 vcc_lo, 1, v0
	v_ashrrev_i32_e32 v4, 31, v3
	v_cndmask_b32_e32 v2, v2, v6, vcc_lo
	v_lshlrev_b64 v[3:4], 2, v[3:4]
	s_waitcnt lgkmcnt(0)
	s_add_u32 s2, s0, s2
	s_addc_u32 s3, s1, s3
	s_lshl_b64 s[0:1], s[4:5], 2
	s_add_u32 s0, s2, s0
	s_addc_u32 s1, s3, s1
	v_add_co_u32 v0, vcc_lo, s0, v3
	v_add_co_ci_u32_e64 v1, null, s1, v4, vcc_lo
	global_store_dword v[0:1], v2, off
.LBB126_18:
	s_endpgm
	.section	.rodata,"a",@progbits
	.p2align	6, 0x0
	.amdhsa_kernel _ZL13mul_mat_vec_fI6__halfS0_Li2ELi224ELb0ELb0EEvPKT_PKfPKi31ggml_cuda_mm_fusion_args_devicePfi15HIP_vector_typeIjLj3EEiiiSB_iiiSB_iiii
		.amdhsa_group_segment_fixed_size 0
		.amdhsa_private_segment_fixed_size 0
		.amdhsa_kernarg_size 144
		.amdhsa_user_sgpr_count 6
		.amdhsa_user_sgpr_private_segment_buffer 1
		.amdhsa_user_sgpr_dispatch_ptr 0
		.amdhsa_user_sgpr_queue_ptr 0
		.amdhsa_user_sgpr_kernarg_segment_ptr 1
		.amdhsa_user_sgpr_dispatch_id 0
		.amdhsa_user_sgpr_flat_scratch_init 0
		.amdhsa_user_sgpr_private_segment_size 0
		.amdhsa_wavefront_size32 1
		.amdhsa_uses_dynamic_stack 0
		.amdhsa_system_sgpr_private_segment_wavefront_offset 0
		.amdhsa_system_sgpr_workgroup_id_x 1
		.amdhsa_system_sgpr_workgroup_id_y 1
		.amdhsa_system_sgpr_workgroup_id_z 1
		.amdhsa_system_sgpr_workgroup_info 0
		.amdhsa_system_vgpr_workitem_id 0
		.amdhsa_next_free_vgpr 14
		.amdhsa_next_free_sgpr 32
		.amdhsa_reserve_vcc 1
		.amdhsa_reserve_flat_scratch 0
		.amdhsa_float_round_mode_32 0
		.amdhsa_float_round_mode_16_64 0
		.amdhsa_float_denorm_mode_32 3
		.amdhsa_float_denorm_mode_16_64 3
		.amdhsa_dx10_clamp 1
		.amdhsa_ieee_mode 1
		.amdhsa_fp16_overflow 0
		.amdhsa_workgroup_processor_mode 1
		.amdhsa_memory_ordered 1
		.amdhsa_forward_progress 1
		.amdhsa_shared_vgpr_count 0
		.amdhsa_exception_fp_ieee_invalid_op 0
		.amdhsa_exception_fp_denorm_src 0
		.amdhsa_exception_fp_ieee_div_zero 0
		.amdhsa_exception_fp_ieee_overflow 0
		.amdhsa_exception_fp_ieee_underflow 0
		.amdhsa_exception_fp_ieee_inexact 0
		.amdhsa_exception_int_div_zero 0
	.end_amdhsa_kernel
	.section	.text._ZL13mul_mat_vec_fI6__halfS0_Li2ELi224ELb0ELb0EEvPKT_PKfPKi31ggml_cuda_mm_fusion_args_devicePfi15HIP_vector_typeIjLj3EEiiiSB_iiiSB_iiii,"axG",@progbits,_ZL13mul_mat_vec_fI6__halfS0_Li2ELi224ELb0ELb0EEvPKT_PKfPKi31ggml_cuda_mm_fusion_args_devicePfi15HIP_vector_typeIjLj3EEiiiSB_iiiSB_iiii,comdat
.Lfunc_end126:
	.size	_ZL13mul_mat_vec_fI6__halfS0_Li2ELi224ELb0ELb0EEvPKT_PKfPKi31ggml_cuda_mm_fusion_args_devicePfi15HIP_vector_typeIjLj3EEiiiSB_iiiSB_iiii, .Lfunc_end126-_ZL13mul_mat_vec_fI6__halfS0_Li2ELi224ELb0ELb0EEvPKT_PKfPKi31ggml_cuda_mm_fusion_args_devicePfi15HIP_vector_typeIjLj3EEiiiSB_iiiSB_iiii
                                        ; -- End function
	.set _ZL13mul_mat_vec_fI6__halfS0_Li2ELi224ELb0ELb0EEvPKT_PKfPKi31ggml_cuda_mm_fusion_args_devicePfi15HIP_vector_typeIjLj3EEiiiSB_iiiSB_iiii.num_vgpr, 14
	.set _ZL13mul_mat_vec_fI6__halfS0_Li2ELi224ELb0ELb0EEvPKT_PKfPKi31ggml_cuda_mm_fusion_args_devicePfi15HIP_vector_typeIjLj3EEiiiSB_iiiSB_iiii.num_agpr, 0
	.set _ZL13mul_mat_vec_fI6__halfS0_Li2ELi224ELb0ELb0EEvPKT_PKfPKi31ggml_cuda_mm_fusion_args_devicePfi15HIP_vector_typeIjLj3EEiiiSB_iiiSB_iiii.numbered_sgpr, 32
	.set _ZL13mul_mat_vec_fI6__halfS0_Li2ELi224ELb0ELb0EEvPKT_PKfPKi31ggml_cuda_mm_fusion_args_devicePfi15HIP_vector_typeIjLj3EEiiiSB_iiiSB_iiii.num_named_barrier, 0
	.set _ZL13mul_mat_vec_fI6__halfS0_Li2ELi224ELb0ELb0EEvPKT_PKfPKi31ggml_cuda_mm_fusion_args_devicePfi15HIP_vector_typeIjLj3EEiiiSB_iiiSB_iiii.private_seg_size, 0
	.set _ZL13mul_mat_vec_fI6__halfS0_Li2ELi224ELb0ELb0EEvPKT_PKfPKi31ggml_cuda_mm_fusion_args_devicePfi15HIP_vector_typeIjLj3EEiiiSB_iiiSB_iiii.uses_vcc, 1
	.set _ZL13mul_mat_vec_fI6__halfS0_Li2ELi224ELb0ELb0EEvPKT_PKfPKi31ggml_cuda_mm_fusion_args_devicePfi15HIP_vector_typeIjLj3EEiiiSB_iiiSB_iiii.uses_flat_scratch, 0
	.set _ZL13mul_mat_vec_fI6__halfS0_Li2ELi224ELb0ELb0EEvPKT_PKfPKi31ggml_cuda_mm_fusion_args_devicePfi15HIP_vector_typeIjLj3EEiiiSB_iiiSB_iiii.has_dyn_sized_stack, 0
	.set _ZL13mul_mat_vec_fI6__halfS0_Li2ELi224ELb0ELb0EEvPKT_PKfPKi31ggml_cuda_mm_fusion_args_devicePfi15HIP_vector_typeIjLj3EEiiiSB_iiiSB_iiii.has_recursion, 0
	.set _ZL13mul_mat_vec_fI6__halfS0_Li2ELi224ELb0ELb0EEvPKT_PKfPKi31ggml_cuda_mm_fusion_args_devicePfi15HIP_vector_typeIjLj3EEiiiSB_iiiSB_iiii.has_indirect_call, 0
	.section	.AMDGPU.csdata,"",@progbits
; Kernel info:
; codeLenInByte = 1432
; TotalNumSgprs: 34
; NumVgprs: 14
; ScratchSize: 0
; MemoryBound: 0
; FloatMode: 240
; IeeeMode: 1
; LDSByteSize: 0 bytes/workgroup (compile time only)
; SGPRBlocks: 0
; VGPRBlocks: 1
; NumSGPRsForWavesPerEU: 34
; NumVGPRsForWavesPerEU: 14
; Occupancy: 16
; WaveLimiterHint : 0
; COMPUTE_PGM_RSRC2:SCRATCH_EN: 0
; COMPUTE_PGM_RSRC2:USER_SGPR: 6
; COMPUTE_PGM_RSRC2:TRAP_HANDLER: 0
; COMPUTE_PGM_RSRC2:TGID_X_EN: 1
; COMPUTE_PGM_RSRC2:TGID_Y_EN: 1
; COMPUTE_PGM_RSRC2:TGID_Z_EN: 1
; COMPUTE_PGM_RSRC2:TIDIG_COMP_CNT: 0
	.section	.text._ZL13mul_mat_vec_fI6__halfS0_Li2ELi256ELb0ELb0EEvPKT_PKfPKi31ggml_cuda_mm_fusion_args_devicePfi15HIP_vector_typeIjLj3EEiiiSB_iiiSB_iiii,"axG",@progbits,_ZL13mul_mat_vec_fI6__halfS0_Li2ELi256ELb0ELb0EEvPKT_PKfPKi31ggml_cuda_mm_fusion_args_devicePfi15HIP_vector_typeIjLj3EEiiiSB_iiiSB_iiii,comdat
	.globl	_ZL13mul_mat_vec_fI6__halfS0_Li2ELi256ELb0ELb0EEvPKT_PKfPKi31ggml_cuda_mm_fusion_args_devicePfi15HIP_vector_typeIjLj3EEiiiSB_iiiSB_iiii ; -- Begin function _ZL13mul_mat_vec_fI6__halfS0_Li2ELi256ELb0ELb0EEvPKT_PKfPKi31ggml_cuda_mm_fusion_args_devicePfi15HIP_vector_typeIjLj3EEiiiSB_iiiSB_iiii
	.p2align	8
	.type	_ZL13mul_mat_vec_fI6__halfS0_Li2ELi256ELb0ELb0EEvPKT_PKfPKi31ggml_cuda_mm_fusion_args_devicePfi15HIP_vector_typeIjLj3EEiiiSB_iiiSB_iiii,@function
_ZL13mul_mat_vec_fI6__halfS0_Li2ELi256ELb0ELb0EEvPKT_PKfPKi31ggml_cuda_mm_fusion_args_devicePfi15HIP_vector_typeIjLj3EEiiiSB_iiiSB_iiii: ; @_ZL13mul_mat_vec_fI6__halfS0_Li2ELi256ELb0ELb0EEvPKT_PKfPKi31ggml_cuda_mm_fusion_args_devicePfi15HIP_vector_typeIjLj3EEiiiSB_iiiSB_iiii
; %bb.0:
	s_clause 0x2
	s_load_dwordx2 s[0:1], s[4:5], 0x10
	s_load_dwordx8 s[12:19], s[4:5], 0x40
	s_load_dwordx4 s[20:23], s[4:5], 0x80
	s_waitcnt lgkmcnt(0)
	s_cmp_eq_u64 s[0:1], 0
	s_cselect_b32 s10, -1, 0
	s_cmp_lg_u64 s[0:1], 0
	s_cselect_b32 s9, -1, 0
	s_and_b32 vcc_lo, exec_lo, s10
	s_cbranch_vccnz .LBB127_2
; %bb.1:
	s_mul_i32 s2, s23, s8
	s_mov_b32 s3, 0
	s_add_i32 s2, s2, s7
	s_lshl_b64 s[24:25], s[2:3], 2
	s_add_u32 s0, s0, s24
	s_addc_u32 s1, s1, s25
	s_load_dword s19, s[0:1], 0x0
	s_cbranch_execz .LBB127_3
	s_branch .LBB127_4
.LBB127_2:
                                        ; implicit-def: $sgpr19
.LBB127_3:
	s_load_dwordx2 s[0:1], s[4:5], 0x5c
	s_waitcnt lgkmcnt(0)
	s_mul_hi_u32 s0, s0, s7
	s_add_i32 s0, s7, s0
	s_lshr_b32 s19, s0, s1
.LBB127_4:
	s_load_dwordx4 s[24:27], s[4:5], 0x68
	s_andn2_b32 vcc_lo, exec_lo, s9
	s_mov_b32 s23, s7
	s_cbranch_vccnz .LBB127_6
; %bb.5:
	s_mul_hi_u32 s0, s13, s7
	s_add_i32 s0, s7, s0
	s_lshr_b32 s0, s0, s14
	s_mul_i32 s0, s0, s15
	s_sub_i32 s23, s7, s0
.LBB127_6:
	s_load_dword s9, s[4:5], 0x78
	v_cmp_gt_u32_e32 vcc_lo, 32, v0
	v_lshl_add_u32 v5, v0, 2, 0
	s_and_saveexec_b32 s0, vcc_lo
; %bb.7:
	v_mov_b32_e32 v1, 0
	ds_write_b32 v5, v1
; %bb.8:
	s_or_b32 exec_lo, exec_lo, s0
	v_mov_b32_e32 v7, 0
	v_mov_b32_e32 v6, 0
	s_and_b32 s0, exec_lo, s10
	s_cselect_b32 s10, s8, 0
	s_mov_b32 s11, exec_lo
	s_waitcnt lgkmcnt(0)
	s_barrier
	buffer_gl0_inv
	v_cmpx_gt_i32_e64 s12, v0
	s_cbranch_execz .LBB127_12
; %bb.9:
	s_load_dwordx4 s[0:3], s[4:5], 0x0
	s_mul_hi_u32 s8, s27, s10
	s_mul_i32 s16, s16, s6
	s_add_i32 s8, s10, s8
	s_mul_i32 s14, s19, s24
	s_ashr_i32 s29, s17, 31
	s_mov_b32 s28, s17
	s_ashr_i32 s17, s16, 31
	s_lshr_b32 s13, s8, s9
	s_ashr_i32 s15, s14, 31
	s_mul_i32 s24, s23, s25
	s_lshl_b64 s[8:9], s[16:17], 1
	s_mul_hi_i32 s17, s13, s20
	s_mul_i32 s16, s13, s20
	s_lshl_b64 s[14:15], s[14:15], 1
	s_ashr_i32 s25, s24, 31
	s_lshl_b64 s[16:17], s[16:17], 1
	s_mul_hi_i32 s31, s10, s21
	s_mul_i32 s30, s10, s21
	v_lshlrev_b32_e32 v2, 3, v0
	s_waitcnt lgkmcnt(0)
	s_add_u32 s0, s0, s14
	s_addc_u32 s1, s1, s15
	s_add_u32 s0, s0, s8
	s_addc_u32 s1, s1, s9
	;; [unrolled: 2-line block ×3, first 2 shown]
	s_lshl_b64 s[14:15], s[24:25], 2
	s_lshl_b64 s[8:9], s[28:29], 3
	;; [unrolled: 1-line block ×3, first 2 shown]
	s_add_u32 s2, s2, s14
	s_addc_u32 s3, s3, s15
	v_lshlrev_b32_e32 v1, 2, v0
	s_add_u32 s0, s2, s0
	s_addc_u32 s1, s3, s1
	v_add_co_u32 v3, s0, s0, v2
	v_add_co_ci_u32_e64 v4, null, s1, 0, s0
	v_add_co_u32 v1, s0, s13, v1
	v_add_co_ci_u32_e64 v2, null, s16, 0, s0
	v_add_co_u32 v3, s0, v3, 4
	v_add_co_ci_u32_e64 v4, null, 0, v4, s0
	v_mov_b32_e32 v6, 0
	v_mov_b32_e32 v7, 0
	;; [unrolled: 1-line block ×3, first 2 shown]
	s_mov_b32 s2, 0
	s_inst_prefetch 0x1
	.p2align	6
.LBB127_10:                             ; =>This Inner Loop Header: Depth=1
	v_add_co_u32 v9, s0, v3, s8
	v_add_co_ci_u32_e64 v10, null, s9, v4, s0
	v_add_nc_u32_e32 v8, 0x100, v8
	s_clause 0x1
	global_load_dwordx2 v[11:12], v[3:4], off offset:-4
	global_load_dwordx2 v[9:10], v[9:10], off offset:-4
	global_load_dword v13, v[1:2], off
	v_add_co_u32 v1, s0, 0x400, v1
	v_add_co_ci_u32_e64 v2, null, 0, v2, s0
	v_cmp_le_i32_e64 s0, s12, v8
	v_add_co_u32 v3, s1, 0x800, v3
	v_add_co_ci_u32_e64 v4, null, 0, v4, s1
	s_or_b32 s2, s0, s2
	s_waitcnt vmcnt(2)
	v_cvt_f16_f32_e32 v11, v11
	v_cvt_f16_f32_e32 v12, v12
	s_waitcnt vmcnt(1)
	v_cvt_f16_f32_e32 v9, v9
	v_cvt_f16_f32_e32 v10, v10
	v_pack_b32_f16 v11, v11, v12
	v_pack_b32_f16 v9, v9, v10
	s_waitcnt vmcnt(0)
	v_pk_fma_f16 v7, v13, v11, v7
	v_pk_fma_f16 v6, v13, v9, v6
	s_andn2_b32 exec_lo, exec_lo, s2
	s_cbranch_execnz .LBB127_10
; %bb.11:
	s_inst_prefetch 0x2
	s_or_b32 exec_lo, exec_lo, s2
.LBB127_12:
	s_or_b32 exec_lo, exec_lo, s11
	v_mbcnt_lo_u32_b32 v2, -1, 0
	v_cvt_f32_f16_e32 v3, v7
	v_cvt_f32_f16_sdwa v4, v7 dst_sel:DWORD dst_unused:UNUSED_PAD src0_sel:WORD_1
	v_cvt_f32_f16_e32 v11, v6
	v_cvt_f32_f16_sdwa v6, v6 dst_sel:DWORD dst_unused:UNUSED_PAD src0_sel:WORD_1
	v_xor_b32_e32 v1, 16, v2
	v_add_f32_e32 v4, v3, v4
	v_xor_b32_e32 v3, 8, v2
	v_add_f32_e32 v6, v11, v6
	v_cmp_gt_i32_e64 s0, 32, v1
	v_cndmask_b32_e64 v1, v2, v1, s0
	v_cmp_gt_i32_e64 s0, 32, v3
	v_lshlrev_b32_e32 v1, 2, v1
	v_cndmask_b32_e64 v3, v2, v3, s0
	ds_bpermute_b32 v7, v1, v4
	v_lshlrev_b32_e32 v3, 2, v3
	s_waitcnt lgkmcnt(0)
	v_add_f32_e32 v7, v4, v7
	v_xor_b32_e32 v4, 4, v2
	ds_bpermute_b32 v8, v3, v7
	v_cmp_gt_i32_e64 s0, 32, v4
	v_cndmask_b32_e64 v4, v2, v4, s0
	v_lshlrev_b32_e32 v4, 2, v4
	s_waitcnt lgkmcnt(0)
	v_add_f32_e32 v8, v7, v8
	v_xor_b32_e32 v7, 2, v2
	ds_bpermute_b32 v9, v4, v8
	v_cmp_gt_i32_e64 s0, 32, v7
	v_cndmask_b32_e64 v7, v2, v7, s0
	v_lshlrev_b32_e32 v7, 2, v7
	s_waitcnt lgkmcnt(0)
	v_add_f32_e32 v9, v8, v9
	v_xor_b32_e32 v8, 1, v2
	ds_bpermute_b32 v10, v7, v9
	v_cmp_gt_i32_e64 s0, 32, v8
	v_cndmask_b32_e64 v2, v2, v8, s0
	v_lshlrev_b32_e32 v8, 2, v2
	s_waitcnt lgkmcnt(0)
	v_add_f32_e32 v2, v9, v10
	v_lshrrev_b32_e32 v9, 3, v0
	ds_bpermute_b32 v10, v8, v2
	v_and_b32_e32 v9, 0x7c, v9
	v_add_nc_u32_e32 v9, 0, v9
	s_waitcnt lgkmcnt(0)
	v_add_f32_e32 v2, v2, v10
	ds_write_b32 v9, v2
	s_waitcnt lgkmcnt(0)
	s_barrier
	buffer_gl0_inv
	s_and_saveexec_b32 s0, vcc_lo
	s_cbranch_execz .LBB127_14
; %bb.13:
	ds_read_b32 v2, v5
	s_waitcnt lgkmcnt(0)
	ds_bpermute_b32 v10, v1, v2
	s_waitcnt lgkmcnt(0)
	v_add_f32_e32 v2, v2, v10
	ds_bpermute_b32 v10, v3, v2
	s_waitcnt lgkmcnt(0)
	v_add_f32_e32 v2, v2, v10
	;; [unrolled: 3-line block ×5, first 2 shown]
.LBB127_14:
	s_or_b32 exec_lo, exec_lo, s0
	ds_bpermute_b32 v10, v1, v6
	s_waitcnt lgkmcnt(0)
	s_barrier
	buffer_gl0_inv
	v_add_f32_e32 v6, v6, v10
	ds_bpermute_b32 v10, v3, v6
	s_waitcnt lgkmcnt(0)
	v_add_f32_e32 v6, v6, v10
	ds_bpermute_b32 v10, v4, v6
	s_waitcnt lgkmcnt(0)
	;; [unrolled: 3-line block ×4, first 2 shown]
	v_add_f32_e32 v6, v6, v10
	ds_write_b32 v9, v6
	s_waitcnt lgkmcnt(0)
	s_barrier
	buffer_gl0_inv
	s_and_saveexec_b32 s0, vcc_lo
	s_cbranch_execz .LBB127_16
; %bb.15:
	ds_read_b32 v5, v5
	s_waitcnt lgkmcnt(0)
	ds_bpermute_b32 v1, v1, v5
	s_waitcnt lgkmcnt(0)
	v_add_f32_e32 v1, v5, v1
	ds_bpermute_b32 v3, v3, v1
	s_waitcnt lgkmcnt(0)
	v_add_f32_e32 v1, v1, v3
	;; [unrolled: 3-line block ×5, first 2 shown]
.LBB127_16:
	s_or_b32 exec_lo, exec_lo, s0
	s_barrier
	buffer_gl0_inv
	s_mov_b32 s0, exec_lo
	v_cmpx_gt_u32_e32 2, v0
	s_cbranch_execz .LBB127_18
; %bb.17:
	s_load_dwordx2 s[0:1], s[4:5], 0x38
	v_mad_u64_u32 v[3:4], null, s18, v0, s[6:7]
	s_mul_hi_i32 s3, s22, s10
	s_mul_i32 s2, s22, s10
	s_mul_i32 s4, s26, s7
	s_lshl_b64 s[2:3], s[2:3], 2
	s_ashr_i32 s5, s4, 31
	v_cmp_eq_u32_e32 vcc_lo, 1, v0
	v_ashrrev_i32_e32 v4, 31, v3
	v_cndmask_b32_e32 v2, v2, v6, vcc_lo
	v_lshlrev_b64 v[3:4], 2, v[3:4]
	s_waitcnt lgkmcnt(0)
	s_add_u32 s2, s0, s2
	s_addc_u32 s3, s1, s3
	s_lshl_b64 s[0:1], s[4:5], 2
	s_add_u32 s0, s2, s0
	s_addc_u32 s1, s3, s1
	v_add_co_u32 v0, vcc_lo, s0, v3
	v_add_co_ci_u32_e64 v1, null, s1, v4, vcc_lo
	global_store_dword v[0:1], v2, off
.LBB127_18:
	s_endpgm
	.section	.rodata,"a",@progbits
	.p2align	6, 0x0
	.amdhsa_kernel _ZL13mul_mat_vec_fI6__halfS0_Li2ELi256ELb0ELb0EEvPKT_PKfPKi31ggml_cuda_mm_fusion_args_devicePfi15HIP_vector_typeIjLj3EEiiiSB_iiiSB_iiii
		.amdhsa_group_segment_fixed_size 0
		.amdhsa_private_segment_fixed_size 0
		.amdhsa_kernarg_size 144
		.amdhsa_user_sgpr_count 6
		.amdhsa_user_sgpr_private_segment_buffer 1
		.amdhsa_user_sgpr_dispatch_ptr 0
		.amdhsa_user_sgpr_queue_ptr 0
		.amdhsa_user_sgpr_kernarg_segment_ptr 1
		.amdhsa_user_sgpr_dispatch_id 0
		.amdhsa_user_sgpr_flat_scratch_init 0
		.amdhsa_user_sgpr_private_segment_size 0
		.amdhsa_wavefront_size32 1
		.amdhsa_uses_dynamic_stack 0
		.amdhsa_system_sgpr_private_segment_wavefront_offset 0
		.amdhsa_system_sgpr_workgroup_id_x 1
		.amdhsa_system_sgpr_workgroup_id_y 1
		.amdhsa_system_sgpr_workgroup_id_z 1
		.amdhsa_system_sgpr_workgroup_info 0
		.amdhsa_system_vgpr_workitem_id 0
		.amdhsa_next_free_vgpr 14
		.amdhsa_next_free_sgpr 32
		.amdhsa_reserve_vcc 1
		.amdhsa_reserve_flat_scratch 0
		.amdhsa_float_round_mode_32 0
		.amdhsa_float_round_mode_16_64 0
		.amdhsa_float_denorm_mode_32 3
		.amdhsa_float_denorm_mode_16_64 3
		.amdhsa_dx10_clamp 1
		.amdhsa_ieee_mode 1
		.amdhsa_fp16_overflow 0
		.amdhsa_workgroup_processor_mode 1
		.amdhsa_memory_ordered 1
		.amdhsa_forward_progress 1
		.amdhsa_shared_vgpr_count 0
		.amdhsa_exception_fp_ieee_invalid_op 0
		.amdhsa_exception_fp_denorm_src 0
		.amdhsa_exception_fp_ieee_div_zero 0
		.amdhsa_exception_fp_ieee_overflow 0
		.amdhsa_exception_fp_ieee_underflow 0
		.amdhsa_exception_fp_ieee_inexact 0
		.amdhsa_exception_int_div_zero 0
	.end_amdhsa_kernel
	.section	.text._ZL13mul_mat_vec_fI6__halfS0_Li2ELi256ELb0ELb0EEvPKT_PKfPKi31ggml_cuda_mm_fusion_args_devicePfi15HIP_vector_typeIjLj3EEiiiSB_iiiSB_iiii,"axG",@progbits,_ZL13mul_mat_vec_fI6__halfS0_Li2ELi256ELb0ELb0EEvPKT_PKfPKi31ggml_cuda_mm_fusion_args_devicePfi15HIP_vector_typeIjLj3EEiiiSB_iiiSB_iiii,comdat
.Lfunc_end127:
	.size	_ZL13mul_mat_vec_fI6__halfS0_Li2ELi256ELb0ELb0EEvPKT_PKfPKi31ggml_cuda_mm_fusion_args_devicePfi15HIP_vector_typeIjLj3EEiiiSB_iiiSB_iiii, .Lfunc_end127-_ZL13mul_mat_vec_fI6__halfS0_Li2ELi256ELb0ELb0EEvPKT_PKfPKi31ggml_cuda_mm_fusion_args_devicePfi15HIP_vector_typeIjLj3EEiiiSB_iiiSB_iiii
                                        ; -- End function
	.set _ZL13mul_mat_vec_fI6__halfS0_Li2ELi256ELb0ELb0EEvPKT_PKfPKi31ggml_cuda_mm_fusion_args_devicePfi15HIP_vector_typeIjLj3EEiiiSB_iiiSB_iiii.num_vgpr, 14
	.set _ZL13mul_mat_vec_fI6__halfS0_Li2ELi256ELb0ELb0EEvPKT_PKfPKi31ggml_cuda_mm_fusion_args_devicePfi15HIP_vector_typeIjLj3EEiiiSB_iiiSB_iiii.num_agpr, 0
	.set _ZL13mul_mat_vec_fI6__halfS0_Li2ELi256ELb0ELb0EEvPKT_PKfPKi31ggml_cuda_mm_fusion_args_devicePfi15HIP_vector_typeIjLj3EEiiiSB_iiiSB_iiii.numbered_sgpr, 32
	.set _ZL13mul_mat_vec_fI6__halfS0_Li2ELi256ELb0ELb0EEvPKT_PKfPKi31ggml_cuda_mm_fusion_args_devicePfi15HIP_vector_typeIjLj3EEiiiSB_iiiSB_iiii.num_named_barrier, 0
	.set _ZL13mul_mat_vec_fI6__halfS0_Li2ELi256ELb0ELb0EEvPKT_PKfPKi31ggml_cuda_mm_fusion_args_devicePfi15HIP_vector_typeIjLj3EEiiiSB_iiiSB_iiii.private_seg_size, 0
	.set _ZL13mul_mat_vec_fI6__halfS0_Li2ELi256ELb0ELb0EEvPKT_PKfPKi31ggml_cuda_mm_fusion_args_devicePfi15HIP_vector_typeIjLj3EEiiiSB_iiiSB_iiii.uses_vcc, 1
	.set _ZL13mul_mat_vec_fI6__halfS0_Li2ELi256ELb0ELb0EEvPKT_PKfPKi31ggml_cuda_mm_fusion_args_devicePfi15HIP_vector_typeIjLj3EEiiiSB_iiiSB_iiii.uses_flat_scratch, 0
	.set _ZL13mul_mat_vec_fI6__halfS0_Li2ELi256ELb0ELb0EEvPKT_PKfPKi31ggml_cuda_mm_fusion_args_devicePfi15HIP_vector_typeIjLj3EEiiiSB_iiiSB_iiii.has_dyn_sized_stack, 0
	.set _ZL13mul_mat_vec_fI6__halfS0_Li2ELi256ELb0ELb0EEvPKT_PKfPKi31ggml_cuda_mm_fusion_args_devicePfi15HIP_vector_typeIjLj3EEiiiSB_iiiSB_iiii.has_recursion, 0
	.set _ZL13mul_mat_vec_fI6__halfS0_Li2ELi256ELb0ELb0EEvPKT_PKfPKi31ggml_cuda_mm_fusion_args_devicePfi15HIP_vector_typeIjLj3EEiiiSB_iiiSB_iiii.has_indirect_call, 0
	.section	.AMDGPU.csdata,"",@progbits
; Kernel info:
; codeLenInByte = 1432
; TotalNumSgprs: 34
; NumVgprs: 14
; ScratchSize: 0
; MemoryBound: 0
; FloatMode: 240
; IeeeMode: 1
; LDSByteSize: 0 bytes/workgroup (compile time only)
; SGPRBlocks: 0
; VGPRBlocks: 1
; NumSGPRsForWavesPerEU: 34
; NumVGPRsForWavesPerEU: 14
; Occupancy: 16
; WaveLimiterHint : 0
; COMPUTE_PGM_RSRC2:SCRATCH_EN: 0
; COMPUTE_PGM_RSRC2:USER_SGPR: 6
; COMPUTE_PGM_RSRC2:TRAP_HANDLER: 0
; COMPUTE_PGM_RSRC2:TGID_X_EN: 1
; COMPUTE_PGM_RSRC2:TGID_Y_EN: 1
; COMPUTE_PGM_RSRC2:TGID_Z_EN: 1
; COMPUTE_PGM_RSRC2:TIDIG_COMP_CNT: 0
	.section	.text._ZL13mul_mat_vec_fI6__halfS0_Li3ELi32ELb0ELb0EEvPKT_PKfPKi31ggml_cuda_mm_fusion_args_devicePfi15HIP_vector_typeIjLj3EEiiiSB_iiiSB_iiii,"axG",@progbits,_ZL13mul_mat_vec_fI6__halfS0_Li3ELi32ELb0ELb0EEvPKT_PKfPKi31ggml_cuda_mm_fusion_args_devicePfi15HIP_vector_typeIjLj3EEiiiSB_iiiSB_iiii,comdat
	.globl	_ZL13mul_mat_vec_fI6__halfS0_Li3ELi32ELb0ELb0EEvPKT_PKfPKi31ggml_cuda_mm_fusion_args_devicePfi15HIP_vector_typeIjLj3EEiiiSB_iiiSB_iiii ; -- Begin function _ZL13mul_mat_vec_fI6__halfS0_Li3ELi32ELb0ELb0EEvPKT_PKfPKi31ggml_cuda_mm_fusion_args_devicePfi15HIP_vector_typeIjLj3EEiiiSB_iiiSB_iiii
	.p2align	8
	.type	_ZL13mul_mat_vec_fI6__halfS0_Li3ELi32ELb0ELb0EEvPKT_PKfPKi31ggml_cuda_mm_fusion_args_devicePfi15HIP_vector_typeIjLj3EEiiiSB_iiiSB_iiii,@function
_ZL13mul_mat_vec_fI6__halfS0_Li3ELi32ELb0ELb0EEvPKT_PKfPKi31ggml_cuda_mm_fusion_args_devicePfi15HIP_vector_typeIjLj3EEiiiSB_iiiSB_iiii: ; @_ZL13mul_mat_vec_fI6__halfS0_Li3ELi32ELb0ELb0EEvPKT_PKfPKi31ggml_cuda_mm_fusion_args_devicePfi15HIP_vector_typeIjLj3EEiiiSB_iiiSB_iiii
; %bb.0:
	s_clause 0x2
	s_load_dwordx2 s[20:21], s[4:5], 0x10
	s_load_dwordx8 s[12:19], s[4:5], 0x40
	s_load_dwordx4 s[0:3], s[4:5], 0x80
	s_waitcnt lgkmcnt(0)
	s_cmp_eq_u64 s[20:21], 0
	s_cselect_b32 s9, -1, 0
	s_cmp_lg_u64 s[20:21], 0
	s_cselect_b32 s25, -1, 0
	s_and_b32 vcc_lo, exec_lo, s9
	s_cbranch_vccnz .LBB128_2
; %bb.1:
	s_mul_i32 s3, s3, s8
	s_mov_b32 s11, 0
	s_add_i32 s10, s3, s7
	s_lshl_b64 s[22:23], s[10:11], 2
	s_add_u32 s20, s20, s22
	s_addc_u32 s21, s21, s23
	s_load_dword s24, s[20:21], 0x0
	s_load_dwordx4 s[20:23], s[4:5], 0x68
	s_cbranch_execz .LBB128_3
	s_branch .LBB128_4
.LBB128_2:
                                        ; implicit-def: $sgpr24
	s_load_dwordx4 s[20:23], s[4:5], 0x68
.LBB128_3:
	s_load_dwordx2 s[10:11], s[4:5], 0x5c
	s_waitcnt lgkmcnt(0)
	s_mul_hi_u32 s3, s10, s7
	s_add_i32 s3, s7, s3
	s_lshr_b32 s24, s3, s11
.LBB128_4:
	s_load_dword s19, s[4:5], 0x78
	s_andn2_b32 vcc_lo, exec_lo, s25
	s_mov_b32 s25, s7
	s_cbranch_vccnz .LBB128_6
; %bb.5:
	s_mul_hi_u32 s3, s13, s7
	s_add_i32 s3, s7, s3
	s_lshr_b32 s3, s3, s14
	s_mul_i32 s3, s3, s15
	s_sub_i32 s25, s7, s3
.LBB128_6:
	v_mov_b32_e32 v7, 0
	v_mov_b32_e32 v6, 0
	;; [unrolled: 1-line block ×3, first 2 shown]
	s_and_b32 s3, exec_lo, s9
	s_cselect_b32 s3, s8, 0
	s_mov_b32 s13, exec_lo
	v_cmpx_gt_i32_e64 s12, v0
	s_cbranch_execz .LBB128_10
; %bb.7:
	s_load_dwordx4 s[8:11], s[4:5], 0x0
	s_waitcnt lgkmcnt(0)
	s_mul_hi_u32 s23, s23, s3
	s_mul_hi_i32 s15, s1, s3
	s_mul_i32 s14, s1, s3
	s_mul_i32 s20, s24, s20
	s_add_i32 s1, s3, s23
	s_lshl_b64 s[30:31], s[14:15], 2
	s_mul_i32 s24, s16, s6
	s_mul_i32 s26, s25, s21
	s_ashr_i32 s21, s20, 31
	s_lshr_b32 s16, s1, s19
	s_mov_b32 s28, s17
	s_mul_hi_i32 s1, s16, s0
	s_mul_i32 s0, s16, s0
	v_lshlrev_b32_e32 v2, 3, v0
	v_lshlrev_b32_e32 v1, 2, v0
	v_mov_b32_e32 v5, 0
	v_mov_b32_e32 v6, 0
	;; [unrolled: 1-line block ×4, first 2 shown]
	s_add_u32 s14, s10, s30
	s_addc_u32 s15, s11, s31
	s_ashr_i32 s27, s26, 31
	s_ashr_i32 s25, s24, 31
	s_lshl_b64 s[26:27], s[26:27], 2
	s_add_u32 s14, s14, s26
	s_addc_u32 s15, s15, s27
	s_lshl_b64 s[20:21], s[20:21], 1
	s_ashr_i32 s29, s17, 31
	s_add_i32 s16, s17, s17
	s_lshl_b64 s[0:1], s[0:1], 1
	s_lshl_b64 s[24:25], s[24:25], 1
	s_add_u32 s8, s8, s20
	s_addc_u32 s9, s9, s21
	s_add_u32 s8, s8, s24
	s_addc_u32 s9, s9, s25
	;; [unrolled: 2-line block ×3, first 2 shown]
	s_lshl_b64 s[0:1], s[28:29], 3
	s_add_u32 s10, s10, s26
	s_addc_u32 s11, s11, s27
	s_add_u32 s10, s10, s30
	s_addc_u32 s11, s11, s31
	v_add_co_u32 v3, s10, s10, v2
	v_add_co_ci_u32_e64 v4, null, s11, 0, s10
	v_add_co_u32 v1, s8, s8, v1
	v_add_co_u32 v3, vcc_lo, v3, 4
	v_add_co_ci_u32_e64 v2, null, s9, 0, s8
	v_add_co_ci_u32_e64 v4, null, 0, v4, vcc_lo
	s_mov_b32 s8, 0
.LBB128_8:                              ; =>This Inner Loop Header: Depth=1
	v_add_nc_u32_e32 v11, s16, v8
	v_add_co_u32 v13, vcc_lo, v3, s0
	v_add_co_ci_u32_e64 v14, null, s1, v4, vcc_lo
	v_ashrrev_i32_e32 v12, 31, v11
	global_load_dwordx2 v[9:10], v[3:4], off offset:-4
	v_add_nc_u32_e32 v8, 32, v8
	v_lshlrev_b64 v[11:12], 3, v[11:12]
	v_add_co_u32 v11, vcc_lo, s14, v11
	v_add_co_ci_u32_e64 v12, null, s15, v12, vcc_lo
	global_load_dwordx2 v[13:14], v[13:14], off offset:-4
	global_load_dwordx2 v[11:12], v[11:12], off
	global_load_dword v15, v[1:2], off
	v_add_co_u32 v1, vcc_lo, 0x80, v1
	v_add_co_ci_u32_e64 v2, null, 0, v2, vcc_lo
	v_add_co_u32 v3, vcc_lo, 0x100, v3
	v_add_co_ci_u32_e64 v4, null, 0, v4, vcc_lo
	v_cmp_le_i32_e32 vcc_lo, s12, v8
	s_or_b32 s8, vcc_lo, s8
	s_waitcnt vmcnt(3)
	v_cvt_f16_f32_e32 v9, v9
	v_cvt_f16_f32_e32 v10, v10
	v_pack_b32_f16 v9, v9, v10
	s_waitcnt vmcnt(2)
	v_cvt_f16_f32_e32 v13, v13
	v_cvt_f16_f32_e32 v14, v14
	s_waitcnt vmcnt(1)
	v_cvt_f16_f32_e32 v11, v11
	v_cvt_f16_f32_e32 v12, v12
	s_waitcnt vmcnt(0)
	v_pk_fma_f16 v7, v15, v9, v7
	v_pack_b32_f16 v10, v13, v14
	v_pack_b32_f16 v11, v11, v12
	v_pk_fma_f16 v6, v15, v10, v6
	v_pk_fma_f16 v5, v15, v11, v5
	s_andn2_b32 exec_lo, exec_lo, s8
	s_cbranch_execnz .LBB128_8
; %bb.9:
	s_or_b32 exec_lo, exec_lo, s8
.LBB128_10:
	s_or_b32 exec_lo, exec_lo, s13
	v_mbcnt_lo_u32_b32 v1, -1, 0
	v_cvt_f32_f16_e32 v3, v7
	v_cvt_f32_f16_sdwa v4, v7 dst_sel:DWORD dst_unused:UNUSED_PAD src0_sel:WORD_1
	v_cvt_f32_f16_e32 v7, v6
	v_cvt_f32_f16_sdwa v6, v6 dst_sel:DWORD dst_unused:UNUSED_PAD src0_sel:WORD_1
	v_xor_b32_e32 v2, 16, v1
	v_cvt_f32_f16_e32 v8, v5
	v_cvt_f32_f16_sdwa v5, v5 dst_sel:DWORD dst_unused:UNUSED_PAD src0_sel:WORD_1
	v_add_f32_e32 v3, v3, v4
	v_add_f32_e32 v4, v7, v6
	v_cmp_gt_i32_e32 vcc_lo, 32, v2
	s_mov_b32 s0, exec_lo
	v_add_f32_e32 v5, v8, v5
	v_xor_b32_e32 v8, 8, v1
	v_cndmask_b32_e32 v2, v1, v2, vcc_lo
	v_cmp_gt_i32_e32 vcc_lo, 32, v8
	v_lshlrev_b32_e32 v2, 2, v2
	v_cndmask_b32_e32 v8, v1, v8, vcc_lo
	ds_bpermute_b32 v6, v2, v3
	ds_bpermute_b32 v7, v2, v4
	;; [unrolled: 1-line block ×3, first 2 shown]
	v_lshlrev_b32_e32 v8, 2, v8
	s_waitcnt lgkmcnt(0)
	v_add_f32_e32 v3, v3, v6
	v_add_f32_e32 v4, v4, v7
	;; [unrolled: 1-line block ×3, first 2 shown]
	ds_bpermute_b32 v5, v8, v3
	ds_bpermute_b32 v6, v8, v4
	ds_bpermute_b32 v7, v8, v2
	v_xor_b32_e32 v8, 4, v1
	v_cmp_gt_i32_e32 vcc_lo, 32, v8
	v_cndmask_b32_e32 v8, v1, v8, vcc_lo
	v_lshlrev_b32_e32 v8, 2, v8
	s_waitcnt lgkmcnt(2)
	v_add_f32_e32 v3, v3, v5
	s_waitcnt lgkmcnt(1)
	v_add_f32_e32 v4, v4, v6
	s_waitcnt lgkmcnt(0)
	v_add_f32_e32 v2, v2, v7
	ds_bpermute_b32 v5, v8, v3
	ds_bpermute_b32 v6, v8, v4
	ds_bpermute_b32 v7, v8, v2
	v_xor_b32_e32 v8, 2, v1
	v_cmp_gt_i32_e32 vcc_lo, 32, v8
	v_cndmask_b32_e32 v8, v1, v8, vcc_lo
	v_lshlrev_b32_e32 v8, 2, v8
	s_waitcnt lgkmcnt(2)
	v_add_f32_e32 v3, v3, v5
	s_waitcnt lgkmcnt(1)
	v_add_f32_e32 v4, v4, v6
	s_waitcnt lgkmcnt(0)
	v_add_f32_e32 v5, v2, v7
	;; [unrolled: 13-line block ×3, first 2 shown]
	ds_bpermute_b32 v4, v8, v1
	ds_bpermute_b32 v5, v8, v2
	;; [unrolled: 1-line block ×3, first 2 shown]
	v_cmpx_gt_u32_e32 3, v0
	s_cbranch_execz .LBB128_12
; %bb.11:
	s_load_dwordx2 s[0:1], s[4:5], 0x38
	v_mad_u64_u32 v[7:8], null, s18, v0, s[6:7]
	s_mul_hi_i32 s5, s2, s3
	s_mul_i32 s4, s2, s3
	s_waitcnt lgkmcnt(0)
	v_add_f32_e32 v1, v1, v4
	v_add_f32_e32 v2, v2, v5
	v_cmp_eq_u32_e32 vcc_lo, 1, v0
	s_lshl_b64 s[4:5], s[4:5], 2
	v_ashrrev_i32_e32 v8, 31, v7
	s_mul_i32 s2, s22, s7
	v_add_f32_e32 v3, v3, v6
	v_cndmask_b32_e32 v4, v1, v2, vcc_lo
	v_cmp_eq_u32_e32 vcc_lo, 2, v0
	v_lshlrev_b64 v[1:2], 2, v[7:8]
	v_cndmask_b32_e32 v3, v4, v3, vcc_lo
	s_add_u32 s4, s0, s4
	s_addc_u32 s5, s1, s5
	s_ashr_i32 s3, s2, 31
	s_lshl_b64 s[0:1], s[2:3], 2
	s_add_u32 s0, s4, s0
	s_addc_u32 s1, s5, s1
	v_add_co_u32 v0, vcc_lo, s0, v1
	v_add_co_ci_u32_e64 v1, null, s1, v2, vcc_lo
	global_store_dword v[0:1], v3, off
.LBB128_12:
	s_endpgm
	.section	.rodata,"a",@progbits
	.p2align	6, 0x0
	.amdhsa_kernel _ZL13mul_mat_vec_fI6__halfS0_Li3ELi32ELb0ELb0EEvPKT_PKfPKi31ggml_cuda_mm_fusion_args_devicePfi15HIP_vector_typeIjLj3EEiiiSB_iiiSB_iiii
		.amdhsa_group_segment_fixed_size 0
		.amdhsa_private_segment_fixed_size 0
		.amdhsa_kernarg_size 144
		.amdhsa_user_sgpr_count 6
		.amdhsa_user_sgpr_private_segment_buffer 1
		.amdhsa_user_sgpr_dispatch_ptr 0
		.amdhsa_user_sgpr_queue_ptr 0
		.amdhsa_user_sgpr_kernarg_segment_ptr 1
		.amdhsa_user_sgpr_dispatch_id 0
		.amdhsa_user_sgpr_flat_scratch_init 0
		.amdhsa_user_sgpr_private_segment_size 0
		.amdhsa_wavefront_size32 1
		.amdhsa_uses_dynamic_stack 0
		.amdhsa_system_sgpr_private_segment_wavefront_offset 0
		.amdhsa_system_sgpr_workgroup_id_x 1
		.amdhsa_system_sgpr_workgroup_id_y 1
		.amdhsa_system_sgpr_workgroup_id_z 1
		.amdhsa_system_sgpr_workgroup_info 0
		.amdhsa_system_vgpr_workitem_id 0
		.amdhsa_next_free_vgpr 16
		.amdhsa_next_free_sgpr 32
		.amdhsa_reserve_vcc 1
		.amdhsa_reserve_flat_scratch 0
		.amdhsa_float_round_mode_32 0
		.amdhsa_float_round_mode_16_64 0
		.amdhsa_float_denorm_mode_32 3
		.amdhsa_float_denorm_mode_16_64 3
		.amdhsa_dx10_clamp 1
		.amdhsa_ieee_mode 1
		.amdhsa_fp16_overflow 0
		.amdhsa_workgroup_processor_mode 1
		.amdhsa_memory_ordered 1
		.amdhsa_forward_progress 1
		.amdhsa_shared_vgpr_count 0
		.amdhsa_exception_fp_ieee_invalid_op 0
		.amdhsa_exception_fp_denorm_src 0
		.amdhsa_exception_fp_ieee_div_zero 0
		.amdhsa_exception_fp_ieee_overflow 0
		.amdhsa_exception_fp_ieee_underflow 0
		.amdhsa_exception_fp_ieee_inexact 0
		.amdhsa_exception_int_div_zero 0
	.end_amdhsa_kernel
	.section	.text._ZL13mul_mat_vec_fI6__halfS0_Li3ELi32ELb0ELb0EEvPKT_PKfPKi31ggml_cuda_mm_fusion_args_devicePfi15HIP_vector_typeIjLj3EEiiiSB_iiiSB_iiii,"axG",@progbits,_ZL13mul_mat_vec_fI6__halfS0_Li3ELi32ELb0ELb0EEvPKT_PKfPKi31ggml_cuda_mm_fusion_args_devicePfi15HIP_vector_typeIjLj3EEiiiSB_iiiSB_iiii,comdat
.Lfunc_end128:
	.size	_ZL13mul_mat_vec_fI6__halfS0_Li3ELi32ELb0ELb0EEvPKT_PKfPKi31ggml_cuda_mm_fusion_args_devicePfi15HIP_vector_typeIjLj3EEiiiSB_iiiSB_iiii, .Lfunc_end128-_ZL13mul_mat_vec_fI6__halfS0_Li3ELi32ELb0ELb0EEvPKT_PKfPKi31ggml_cuda_mm_fusion_args_devicePfi15HIP_vector_typeIjLj3EEiiiSB_iiiSB_iiii
                                        ; -- End function
	.set _ZL13mul_mat_vec_fI6__halfS0_Li3ELi32ELb0ELb0EEvPKT_PKfPKi31ggml_cuda_mm_fusion_args_devicePfi15HIP_vector_typeIjLj3EEiiiSB_iiiSB_iiii.num_vgpr, 16
	.set _ZL13mul_mat_vec_fI6__halfS0_Li3ELi32ELb0ELb0EEvPKT_PKfPKi31ggml_cuda_mm_fusion_args_devicePfi15HIP_vector_typeIjLj3EEiiiSB_iiiSB_iiii.num_agpr, 0
	.set _ZL13mul_mat_vec_fI6__halfS0_Li3ELi32ELb0ELb0EEvPKT_PKfPKi31ggml_cuda_mm_fusion_args_devicePfi15HIP_vector_typeIjLj3EEiiiSB_iiiSB_iiii.numbered_sgpr, 32
	.set _ZL13mul_mat_vec_fI6__halfS0_Li3ELi32ELb0ELb0EEvPKT_PKfPKi31ggml_cuda_mm_fusion_args_devicePfi15HIP_vector_typeIjLj3EEiiiSB_iiiSB_iiii.num_named_barrier, 0
	.set _ZL13mul_mat_vec_fI6__halfS0_Li3ELi32ELb0ELb0EEvPKT_PKfPKi31ggml_cuda_mm_fusion_args_devicePfi15HIP_vector_typeIjLj3EEiiiSB_iiiSB_iiii.private_seg_size, 0
	.set _ZL13mul_mat_vec_fI6__halfS0_Li3ELi32ELb0ELb0EEvPKT_PKfPKi31ggml_cuda_mm_fusion_args_devicePfi15HIP_vector_typeIjLj3EEiiiSB_iiiSB_iiii.uses_vcc, 1
	.set _ZL13mul_mat_vec_fI6__halfS0_Li3ELi32ELb0ELb0EEvPKT_PKfPKi31ggml_cuda_mm_fusion_args_devicePfi15HIP_vector_typeIjLj3EEiiiSB_iiiSB_iiii.uses_flat_scratch, 0
	.set _ZL13mul_mat_vec_fI6__halfS0_Li3ELi32ELb0ELb0EEvPKT_PKfPKi31ggml_cuda_mm_fusion_args_devicePfi15HIP_vector_typeIjLj3EEiiiSB_iiiSB_iiii.has_dyn_sized_stack, 0
	.set _ZL13mul_mat_vec_fI6__halfS0_Li3ELi32ELb0ELb0EEvPKT_PKfPKi31ggml_cuda_mm_fusion_args_devicePfi15HIP_vector_typeIjLj3EEiiiSB_iiiSB_iiii.has_recursion, 0
	.set _ZL13mul_mat_vec_fI6__halfS0_Li3ELi32ELb0ELb0EEvPKT_PKfPKi31ggml_cuda_mm_fusion_args_devicePfi15HIP_vector_typeIjLj3EEiiiSB_iiiSB_iiii.has_indirect_call, 0
	.section	.AMDGPU.csdata,"",@progbits
; Kernel info:
; codeLenInByte = 1164
; TotalNumSgprs: 34
; NumVgprs: 16
; ScratchSize: 0
; MemoryBound: 0
; FloatMode: 240
; IeeeMode: 1
; LDSByteSize: 0 bytes/workgroup (compile time only)
; SGPRBlocks: 0
; VGPRBlocks: 1
; NumSGPRsForWavesPerEU: 34
; NumVGPRsForWavesPerEU: 16
; Occupancy: 16
; WaveLimiterHint : 0
; COMPUTE_PGM_RSRC2:SCRATCH_EN: 0
; COMPUTE_PGM_RSRC2:USER_SGPR: 6
; COMPUTE_PGM_RSRC2:TRAP_HANDLER: 0
; COMPUTE_PGM_RSRC2:TGID_X_EN: 1
; COMPUTE_PGM_RSRC2:TGID_Y_EN: 1
; COMPUTE_PGM_RSRC2:TGID_Z_EN: 1
; COMPUTE_PGM_RSRC2:TIDIG_COMP_CNT: 0
	.section	.text._ZL13mul_mat_vec_fI6__halfS0_Li3ELi64ELb0ELb0EEvPKT_PKfPKi31ggml_cuda_mm_fusion_args_devicePfi15HIP_vector_typeIjLj3EEiiiSB_iiiSB_iiii,"axG",@progbits,_ZL13mul_mat_vec_fI6__halfS0_Li3ELi64ELb0ELb0EEvPKT_PKfPKi31ggml_cuda_mm_fusion_args_devicePfi15HIP_vector_typeIjLj3EEiiiSB_iiiSB_iiii,comdat
	.globl	_ZL13mul_mat_vec_fI6__halfS0_Li3ELi64ELb0ELb0EEvPKT_PKfPKi31ggml_cuda_mm_fusion_args_devicePfi15HIP_vector_typeIjLj3EEiiiSB_iiiSB_iiii ; -- Begin function _ZL13mul_mat_vec_fI6__halfS0_Li3ELi64ELb0ELb0EEvPKT_PKfPKi31ggml_cuda_mm_fusion_args_devicePfi15HIP_vector_typeIjLj3EEiiiSB_iiiSB_iiii
	.p2align	8
	.type	_ZL13mul_mat_vec_fI6__halfS0_Li3ELi64ELb0ELb0EEvPKT_PKfPKi31ggml_cuda_mm_fusion_args_devicePfi15HIP_vector_typeIjLj3EEiiiSB_iiiSB_iiii,@function
_ZL13mul_mat_vec_fI6__halfS0_Li3ELi64ELb0ELb0EEvPKT_PKfPKi31ggml_cuda_mm_fusion_args_devicePfi15HIP_vector_typeIjLj3EEiiiSB_iiiSB_iiii: ; @_ZL13mul_mat_vec_fI6__halfS0_Li3ELi64ELb0ELb0EEvPKT_PKfPKi31ggml_cuda_mm_fusion_args_devicePfi15HIP_vector_typeIjLj3EEiiiSB_iiiSB_iiii
; %bb.0:
	s_clause 0x2
	s_load_dwordx2 s[0:1], s[4:5], 0x10
	s_load_dwordx8 s[12:19], s[4:5], 0x40
	s_load_dwordx4 s[20:23], s[4:5], 0x80
	s_waitcnt lgkmcnt(0)
	s_cmp_eq_u64 s[0:1], 0
	s_cselect_b32 s10, -1, 0
	s_cmp_lg_u64 s[0:1], 0
	s_cselect_b32 s9, -1, 0
	s_and_b32 vcc_lo, exec_lo, s10
	s_cbranch_vccnz .LBB129_2
; %bb.1:
	s_mul_i32 s2, s23, s8
	s_mov_b32 s3, 0
	s_add_i32 s2, s2, s7
	s_lshl_b64 s[24:25], s[2:3], 2
	s_add_u32 s0, s0, s24
	s_addc_u32 s1, s1, s25
	s_load_dword s19, s[0:1], 0x0
	s_cbranch_execz .LBB129_3
	s_branch .LBB129_4
.LBB129_2:
                                        ; implicit-def: $sgpr19
.LBB129_3:
	s_load_dwordx2 s[0:1], s[4:5], 0x5c
	s_waitcnt lgkmcnt(0)
	s_mul_hi_u32 s0, s0, s7
	s_add_i32 s0, s7, s0
	s_lshr_b32 s19, s0, s1
.LBB129_4:
	s_load_dwordx4 s[24:27], s[4:5], 0x68
	s_andn2_b32 vcc_lo, exec_lo, s9
	s_mov_b32 s23, s7
	s_cbranch_vccnz .LBB129_6
; %bb.5:
	s_mul_hi_u32 s0, s13, s7
	s_add_i32 s0, s7, s0
	s_lshr_b32 s0, s0, s14
	s_mul_i32 s0, s0, s15
	s_sub_i32 s23, s7, s0
.LBB129_6:
	s_load_dword s9, s[4:5], 0x78
	v_cmp_gt_u32_e32 vcc_lo, 32, v0
	v_lshl_add_u32 v5, v0, 2, 0
	s_and_saveexec_b32 s0, vcc_lo
; %bb.7:
	v_mov_b32_e32 v1, 0
	ds_write_b32 v5, v1
; %bb.8:
	s_or_b32 exec_lo, exec_lo, s0
	v_mov_b32_e32 v8, 0
	v_mov_b32_e32 v7, 0
	;; [unrolled: 1-line block ×3, first 2 shown]
	s_and_b32 s0, exec_lo, s10
	s_cselect_b32 s10, s8, 0
	s_mov_b32 s11, exec_lo
	s_waitcnt lgkmcnt(0)
	s_barrier
	buffer_gl0_inv
	v_cmpx_gt_i32_e64 s12, v0
	s_cbranch_execz .LBB129_12
; %bb.9:
	s_load_dwordx4 s[0:3], s[4:5], 0x0
	s_mul_hi_u32 s13, s27, s10
	s_mul_hi_i32 s15, s21, s10
	s_mul_i32 s14, s21, s10
	s_mul_i32 s24, s19, s24
	;; [unrolled: 1-line block ×4, first 2 shown]
	s_add_i32 s13, s10, s13
	s_lshl_b64 s[34:35], s[14:15], 2
	s_ashr_i32 s25, s24, 31
	s_ashr_i32 s29, s28, 31
	;; [unrolled: 1-line block ×3, first 2 shown]
	s_lshr_b32 s9, s13, s9
	s_mov_b32 s8, s17
	s_mul_hi_i32 s21, s9, s20
	s_mul_i32 s20, s9, s20
	v_lshlrev_b32_e32 v2, 3, v0
	v_lshlrev_b32_e32 v1, 2, v0
	v_mov_b32_e32 v6, 0
	v_mov_b32_e32 v7, 0
	s_waitcnt lgkmcnt(0)
	s_add_u32 s13, s2, s34
	s_addc_u32 s14, s3, s35
	s_lshl_b64 s[30:31], s[30:31], 2
	v_mov_b32_e32 v8, 0
	s_add_u32 s13, s13, s30
	s_addc_u32 s14, s14, s31
	s_ashr_i32 s9, s17, 31
	s_add_i32 s15, s17, s17
	s_lshl_b64 s[16:17], s[20:21], 1
	s_lshl_b64 s[20:21], s[24:25], 1
	;; [unrolled: 1-line block ×3, first 2 shown]
	s_add_u32 s0, s0, s20
	s_addc_u32 s1, s1, s21
	s_add_u32 s0, s0, s24
	s_addc_u32 s1, s1, s25
	;; [unrolled: 2-line block ×3, first 2 shown]
	s_lshl_b64 s[8:9], s[8:9], 3
	s_add_u32 s2, s2, s30
	s_addc_u32 s3, s3, s31
	s_add_u32 s2, s2, s34
	s_addc_u32 s3, s3, s35
	v_add_co_u32 v3, s2, s2, v2
	v_add_co_ci_u32_e64 v4, null, s3, 0, s2
	v_add_co_u32 v1, s0, s0, v1
	v_add_co_ci_u32_e64 v2, null, s1, 0, s0
	;; [unrolled: 2-line block ×3, first 2 shown]
	v_mov_b32_e32 v9, v0
	s_mov_b32 s1, 0
.LBB129_10:                             ; =>This Inner Loop Header: Depth=1
	v_add_nc_u32_e32 v12, s15, v9
	v_add_co_u32 v14, s0, v3, s8
	v_add_co_ci_u32_e64 v15, null, s9, v4, s0
	v_ashrrev_i32_e32 v13, 31, v12
	global_load_dwordx2 v[10:11], v[3:4], off offset:-4
	v_add_nc_u32_e32 v9, 64, v9
	v_lshlrev_b64 v[12:13], 3, v[12:13]
	v_add_co_u32 v12, s0, s13, v12
	v_add_co_ci_u32_e64 v13, null, s14, v13, s0
	global_load_dwordx2 v[14:15], v[14:15], off offset:-4
	global_load_dwordx2 v[12:13], v[12:13], off
	global_load_dword v16, v[1:2], off
	v_add_co_u32 v1, s0, 0x100, v1
	v_add_co_ci_u32_e64 v2, null, 0, v2, s0
	v_add_co_u32 v3, s0, 0x200, v3
	v_add_co_ci_u32_e64 v4, null, 0, v4, s0
	v_cmp_le_i32_e64 s0, s12, v9
	s_or_b32 s1, s0, s1
	s_waitcnt vmcnt(3)
	v_cvt_f16_f32_e32 v10, v10
	v_cvt_f16_f32_e32 v11, v11
	v_pack_b32_f16 v10, v10, v11
	s_waitcnt vmcnt(2)
	v_cvt_f16_f32_e32 v14, v14
	v_cvt_f16_f32_e32 v15, v15
	s_waitcnt vmcnt(1)
	v_cvt_f16_f32_e32 v12, v12
	v_cvt_f16_f32_e32 v13, v13
	s_waitcnt vmcnt(0)
	v_pk_fma_f16 v8, v16, v10, v8
	v_pack_b32_f16 v11, v14, v15
	v_pack_b32_f16 v12, v12, v13
	v_pk_fma_f16 v7, v16, v11, v7
	v_pk_fma_f16 v6, v16, v12, v6
	s_andn2_b32 exec_lo, exec_lo, s1
	s_cbranch_execnz .LBB129_10
; %bb.11:
	s_or_b32 exec_lo, exec_lo, s1
.LBB129_12:
	s_or_b32 exec_lo, exec_lo, s11
	v_mbcnt_lo_u32_b32 v2, -1, 0
	v_cvt_f32_f16_e32 v3, v8
	v_cvt_f32_f16_sdwa v4, v8 dst_sel:DWORD dst_unused:UNUSED_PAD src0_sel:WORD_1
	v_cvt_f32_f16_e32 v12, v7
	v_cvt_f32_f16_sdwa v13, v7 dst_sel:DWORD dst_unused:UNUSED_PAD src0_sel:WORD_1
	v_xor_b32_e32 v1, 16, v2
	v_add_f32_e32 v4, v3, v4
	v_xor_b32_e32 v3, 8, v2
	v_cmp_gt_i32_e64 s0, 32, v1
	v_cndmask_b32_e64 v1, v2, v1, s0
	v_cmp_gt_i32_e64 s0, 32, v3
	v_lshlrev_b32_e32 v1, 2, v1
	v_cndmask_b32_e64 v3, v2, v3, s0
	ds_bpermute_b32 v8, v1, v4
	v_lshlrev_b32_e32 v3, 2, v3
	s_waitcnt lgkmcnt(0)
	v_add_f32_e32 v8, v4, v8
	v_xor_b32_e32 v4, 4, v2
	ds_bpermute_b32 v9, v3, v8
	v_cmp_gt_i32_e64 s0, 32, v4
	v_cndmask_b32_e64 v4, v2, v4, s0
	v_lshlrev_b32_e32 v4, 2, v4
	s_waitcnt lgkmcnt(0)
	v_add_f32_e32 v9, v8, v9
	v_xor_b32_e32 v8, 2, v2
	ds_bpermute_b32 v10, v4, v9
	v_cmp_gt_i32_e64 s0, 32, v8
	v_cndmask_b32_e64 v8, v2, v8, s0
	;; [unrolled: 7-line block ×3, first 2 shown]
	v_lshlrev_b32_e32 v9, 2, v2
	s_waitcnt lgkmcnt(0)
	v_add_f32_e32 v2, v10, v11
	v_lshrrev_b32_e32 v11, 3, v0
	ds_bpermute_b32 v10, v9, v2
	v_and_b32_e32 v11, 0x7c, v11
	v_add_nc_u32_e32 v7, 0, v11
	v_cvt_f32_f16_sdwa v11, v6 dst_sel:DWORD dst_unused:UNUSED_PAD src0_sel:WORD_1
	s_waitcnt lgkmcnt(0)
	v_add_f32_e32 v2, v2, v10
	v_cvt_f32_f16_e32 v10, v6
	v_add_f32_e32 v6, v12, v13
	ds_write_b32 v7, v2
	s_waitcnt lgkmcnt(0)
	s_barrier
	buffer_gl0_inv
	s_and_saveexec_b32 s0, vcc_lo
	s_cbranch_execz .LBB129_14
; %bb.13:
	ds_read_b32 v2, v5
	s_waitcnt lgkmcnt(0)
	ds_bpermute_b32 v12, v1, v2
	s_waitcnt lgkmcnt(0)
	v_add_f32_e32 v2, v2, v12
	ds_bpermute_b32 v12, v3, v2
	s_waitcnt lgkmcnt(0)
	v_add_f32_e32 v2, v2, v12
	;; [unrolled: 3-line block ×5, first 2 shown]
.LBB129_14:
	s_or_b32 exec_lo, exec_lo, s0
	ds_bpermute_b32 v12, v1, v6
	v_add_f32_e32 v10, v10, v11
	s_waitcnt lgkmcnt(0)
	s_barrier
	buffer_gl0_inv
	v_add_f32_e32 v6, v6, v12
	ds_bpermute_b32 v12, v3, v6
	s_waitcnt lgkmcnt(0)
	v_add_f32_e32 v6, v6, v12
	ds_bpermute_b32 v12, v4, v6
	s_waitcnt lgkmcnt(0)
	;; [unrolled: 3-line block ×4, first 2 shown]
	v_add_f32_e32 v6, v6, v12
	ds_write_b32 v7, v6
	s_waitcnt lgkmcnt(0)
	s_barrier
	buffer_gl0_inv
	s_and_saveexec_b32 s0, vcc_lo
	s_cbranch_execz .LBB129_16
; %bb.15:
	ds_read_b32 v6, v5
	s_waitcnt lgkmcnt(0)
	ds_bpermute_b32 v11, v1, v6
	s_waitcnt lgkmcnt(0)
	v_add_f32_e32 v6, v6, v11
	ds_bpermute_b32 v11, v3, v6
	s_waitcnt lgkmcnt(0)
	v_add_f32_e32 v6, v6, v11
	;; [unrolled: 3-line block ×5, first 2 shown]
.LBB129_16:
	s_or_b32 exec_lo, exec_lo, s0
	ds_bpermute_b32 v11, v1, v10
	s_waitcnt lgkmcnt(0)
	s_barrier
	buffer_gl0_inv
	v_add_f32_e32 v10, v10, v11
	ds_bpermute_b32 v11, v3, v10
	s_waitcnt lgkmcnt(0)
	v_add_f32_e32 v10, v10, v11
	ds_bpermute_b32 v11, v4, v10
	s_waitcnt lgkmcnt(0)
	;; [unrolled: 3-line block ×4, first 2 shown]
	v_add_f32_e32 v10, v10, v11
	ds_write_b32 v7, v10
	s_waitcnt lgkmcnt(0)
	s_barrier
	buffer_gl0_inv
	s_and_saveexec_b32 s0, vcc_lo
	s_cbranch_execz .LBB129_18
; %bb.17:
	ds_read_b32 v5, v5
	s_waitcnt lgkmcnt(0)
	ds_bpermute_b32 v1, v1, v5
	s_waitcnt lgkmcnt(0)
	v_add_f32_e32 v1, v5, v1
	ds_bpermute_b32 v3, v3, v1
	s_waitcnt lgkmcnt(0)
	v_add_f32_e32 v1, v1, v3
	;; [unrolled: 3-line block ×5, first 2 shown]
.LBB129_18:
	s_or_b32 exec_lo, exec_lo, s0
	s_barrier
	buffer_gl0_inv
	s_mov_b32 s0, exec_lo
	v_cmpx_gt_u32_e32 3, v0
	s_cbranch_execz .LBB129_20
; %bb.19:
	s_load_dwordx2 s[0:1], s[4:5], 0x38
	v_mad_u64_u32 v[3:4], null, s18, v0, s[6:7]
	v_cmp_eq_u32_e32 vcc_lo, 1, v0
	s_mul_hi_i32 s3, s22, s10
	s_mul_i32 s2, s22, s10
	s_mul_i32 s4, s26, s7
	s_lshl_b64 s[2:3], s[2:3], 2
	v_cndmask_b32_e32 v5, v2, v6, vcc_lo
	v_ashrrev_i32_e32 v4, 31, v3
	s_ashr_i32 s5, s4, 31
	v_cmp_eq_u32_e32 vcc_lo, 2, v0
	v_lshlrev_b64 v[1:2], 2, v[3:4]
	v_cndmask_b32_e32 v3, v5, v10, vcc_lo
	s_waitcnt lgkmcnt(0)
	s_add_u32 s2, s0, s2
	s_addc_u32 s3, s1, s3
	s_lshl_b64 s[0:1], s[4:5], 2
	s_add_u32 s0, s2, s0
	s_addc_u32 s1, s3, s1
	v_add_co_u32 v0, vcc_lo, s0, v1
	v_add_co_ci_u32_e64 v1, null, s1, v2, vcc_lo
	global_store_dword v[0:1], v3, off
.LBB129_20:
	s_endpgm
	.section	.rodata,"a",@progbits
	.p2align	6, 0x0
	.amdhsa_kernel _ZL13mul_mat_vec_fI6__halfS0_Li3ELi64ELb0ELb0EEvPKT_PKfPKi31ggml_cuda_mm_fusion_args_devicePfi15HIP_vector_typeIjLj3EEiiiSB_iiiSB_iiii
		.amdhsa_group_segment_fixed_size 0
		.amdhsa_private_segment_fixed_size 0
		.amdhsa_kernarg_size 144
		.amdhsa_user_sgpr_count 6
		.amdhsa_user_sgpr_private_segment_buffer 1
		.amdhsa_user_sgpr_dispatch_ptr 0
		.amdhsa_user_sgpr_queue_ptr 0
		.amdhsa_user_sgpr_kernarg_segment_ptr 1
		.amdhsa_user_sgpr_dispatch_id 0
		.amdhsa_user_sgpr_flat_scratch_init 0
		.amdhsa_user_sgpr_private_segment_size 0
		.amdhsa_wavefront_size32 1
		.amdhsa_uses_dynamic_stack 0
		.amdhsa_system_sgpr_private_segment_wavefront_offset 0
		.amdhsa_system_sgpr_workgroup_id_x 1
		.amdhsa_system_sgpr_workgroup_id_y 1
		.amdhsa_system_sgpr_workgroup_id_z 1
		.amdhsa_system_sgpr_workgroup_info 0
		.amdhsa_system_vgpr_workitem_id 0
		.amdhsa_next_free_vgpr 17
		.amdhsa_next_free_sgpr 36
		.amdhsa_reserve_vcc 1
		.amdhsa_reserve_flat_scratch 0
		.amdhsa_float_round_mode_32 0
		.amdhsa_float_round_mode_16_64 0
		.amdhsa_float_denorm_mode_32 3
		.amdhsa_float_denorm_mode_16_64 3
		.amdhsa_dx10_clamp 1
		.amdhsa_ieee_mode 1
		.amdhsa_fp16_overflow 0
		.amdhsa_workgroup_processor_mode 1
		.amdhsa_memory_ordered 1
		.amdhsa_forward_progress 1
		.amdhsa_shared_vgpr_count 0
		.amdhsa_exception_fp_ieee_invalid_op 0
		.amdhsa_exception_fp_denorm_src 0
		.amdhsa_exception_fp_ieee_div_zero 0
		.amdhsa_exception_fp_ieee_overflow 0
		.amdhsa_exception_fp_ieee_underflow 0
		.amdhsa_exception_fp_ieee_inexact 0
		.amdhsa_exception_int_div_zero 0
	.end_amdhsa_kernel
	.section	.text._ZL13mul_mat_vec_fI6__halfS0_Li3ELi64ELb0ELb0EEvPKT_PKfPKi31ggml_cuda_mm_fusion_args_devicePfi15HIP_vector_typeIjLj3EEiiiSB_iiiSB_iiii,"axG",@progbits,_ZL13mul_mat_vec_fI6__halfS0_Li3ELi64ELb0ELb0EEvPKT_PKfPKi31ggml_cuda_mm_fusion_args_devicePfi15HIP_vector_typeIjLj3EEiiiSB_iiiSB_iiii,comdat
.Lfunc_end129:
	.size	_ZL13mul_mat_vec_fI6__halfS0_Li3ELi64ELb0ELb0EEvPKT_PKfPKi31ggml_cuda_mm_fusion_args_devicePfi15HIP_vector_typeIjLj3EEiiiSB_iiiSB_iiii, .Lfunc_end129-_ZL13mul_mat_vec_fI6__halfS0_Li3ELi64ELb0ELb0EEvPKT_PKfPKi31ggml_cuda_mm_fusion_args_devicePfi15HIP_vector_typeIjLj3EEiiiSB_iiiSB_iiii
                                        ; -- End function
	.set _ZL13mul_mat_vec_fI6__halfS0_Li3ELi64ELb0ELb0EEvPKT_PKfPKi31ggml_cuda_mm_fusion_args_devicePfi15HIP_vector_typeIjLj3EEiiiSB_iiiSB_iiii.num_vgpr, 17
	.set _ZL13mul_mat_vec_fI6__halfS0_Li3ELi64ELb0ELb0EEvPKT_PKfPKi31ggml_cuda_mm_fusion_args_devicePfi15HIP_vector_typeIjLj3EEiiiSB_iiiSB_iiii.num_agpr, 0
	.set _ZL13mul_mat_vec_fI6__halfS0_Li3ELi64ELb0ELb0EEvPKT_PKfPKi31ggml_cuda_mm_fusion_args_devicePfi15HIP_vector_typeIjLj3EEiiiSB_iiiSB_iiii.numbered_sgpr, 36
	.set _ZL13mul_mat_vec_fI6__halfS0_Li3ELi64ELb0ELb0EEvPKT_PKfPKi31ggml_cuda_mm_fusion_args_devicePfi15HIP_vector_typeIjLj3EEiiiSB_iiiSB_iiii.num_named_barrier, 0
	.set _ZL13mul_mat_vec_fI6__halfS0_Li3ELi64ELb0ELb0EEvPKT_PKfPKi31ggml_cuda_mm_fusion_args_devicePfi15HIP_vector_typeIjLj3EEiiiSB_iiiSB_iiii.private_seg_size, 0
	.set _ZL13mul_mat_vec_fI6__halfS0_Li3ELi64ELb0ELb0EEvPKT_PKfPKi31ggml_cuda_mm_fusion_args_devicePfi15HIP_vector_typeIjLj3EEiiiSB_iiiSB_iiii.uses_vcc, 1
	.set _ZL13mul_mat_vec_fI6__halfS0_Li3ELi64ELb0ELb0EEvPKT_PKfPKi31ggml_cuda_mm_fusion_args_devicePfi15HIP_vector_typeIjLj3EEiiiSB_iiiSB_iiii.uses_flat_scratch, 0
	.set _ZL13mul_mat_vec_fI6__halfS0_Li3ELi64ELb0ELb0EEvPKT_PKfPKi31ggml_cuda_mm_fusion_args_devicePfi15HIP_vector_typeIjLj3EEiiiSB_iiiSB_iiii.has_dyn_sized_stack, 0
	.set _ZL13mul_mat_vec_fI6__halfS0_Li3ELi64ELb0ELb0EEvPKT_PKfPKi31ggml_cuda_mm_fusion_args_devicePfi15HIP_vector_typeIjLj3EEiiiSB_iiiSB_iiii.has_recursion, 0
	.set _ZL13mul_mat_vec_fI6__halfS0_Li3ELi64ELb0ELb0EEvPKT_PKfPKi31ggml_cuda_mm_fusion_args_devicePfi15HIP_vector_typeIjLj3EEiiiSB_iiiSB_iiii.has_indirect_call, 0
	.section	.AMDGPU.csdata,"",@progbits
; Kernel info:
; codeLenInByte = 1704
; TotalNumSgprs: 38
; NumVgprs: 17
; ScratchSize: 0
; MemoryBound: 0
; FloatMode: 240
; IeeeMode: 1
; LDSByteSize: 0 bytes/workgroup (compile time only)
; SGPRBlocks: 0
; VGPRBlocks: 2
; NumSGPRsForWavesPerEU: 38
; NumVGPRsForWavesPerEU: 17
; Occupancy: 16
; WaveLimiterHint : 0
; COMPUTE_PGM_RSRC2:SCRATCH_EN: 0
; COMPUTE_PGM_RSRC2:USER_SGPR: 6
; COMPUTE_PGM_RSRC2:TRAP_HANDLER: 0
; COMPUTE_PGM_RSRC2:TGID_X_EN: 1
; COMPUTE_PGM_RSRC2:TGID_Y_EN: 1
; COMPUTE_PGM_RSRC2:TGID_Z_EN: 1
; COMPUTE_PGM_RSRC2:TIDIG_COMP_CNT: 0
	.section	.text._ZL13mul_mat_vec_fI6__halfS0_Li3ELi96ELb0ELb0EEvPKT_PKfPKi31ggml_cuda_mm_fusion_args_devicePfi15HIP_vector_typeIjLj3EEiiiSB_iiiSB_iiii,"axG",@progbits,_ZL13mul_mat_vec_fI6__halfS0_Li3ELi96ELb0ELb0EEvPKT_PKfPKi31ggml_cuda_mm_fusion_args_devicePfi15HIP_vector_typeIjLj3EEiiiSB_iiiSB_iiii,comdat
	.globl	_ZL13mul_mat_vec_fI6__halfS0_Li3ELi96ELb0ELb0EEvPKT_PKfPKi31ggml_cuda_mm_fusion_args_devicePfi15HIP_vector_typeIjLj3EEiiiSB_iiiSB_iiii ; -- Begin function _ZL13mul_mat_vec_fI6__halfS0_Li3ELi96ELb0ELb0EEvPKT_PKfPKi31ggml_cuda_mm_fusion_args_devicePfi15HIP_vector_typeIjLj3EEiiiSB_iiiSB_iiii
	.p2align	8
	.type	_ZL13mul_mat_vec_fI6__halfS0_Li3ELi96ELb0ELb0EEvPKT_PKfPKi31ggml_cuda_mm_fusion_args_devicePfi15HIP_vector_typeIjLj3EEiiiSB_iiiSB_iiii,@function
_ZL13mul_mat_vec_fI6__halfS0_Li3ELi96ELb0ELb0EEvPKT_PKfPKi31ggml_cuda_mm_fusion_args_devicePfi15HIP_vector_typeIjLj3EEiiiSB_iiiSB_iiii: ; @_ZL13mul_mat_vec_fI6__halfS0_Li3ELi96ELb0ELb0EEvPKT_PKfPKi31ggml_cuda_mm_fusion_args_devicePfi15HIP_vector_typeIjLj3EEiiiSB_iiiSB_iiii
; %bb.0:
	s_clause 0x2
	s_load_dwordx2 s[0:1], s[4:5], 0x10
	s_load_dwordx8 s[12:19], s[4:5], 0x40
	s_load_dwordx4 s[20:23], s[4:5], 0x80
	s_waitcnt lgkmcnt(0)
	s_cmp_eq_u64 s[0:1], 0
	s_cselect_b32 s10, -1, 0
	s_cmp_lg_u64 s[0:1], 0
	s_cselect_b32 s9, -1, 0
	s_and_b32 vcc_lo, exec_lo, s10
	s_cbranch_vccnz .LBB130_2
; %bb.1:
	s_mul_i32 s2, s23, s8
	s_mov_b32 s3, 0
	s_add_i32 s2, s2, s7
	s_lshl_b64 s[24:25], s[2:3], 2
	s_add_u32 s0, s0, s24
	s_addc_u32 s1, s1, s25
	s_load_dword s19, s[0:1], 0x0
	s_cbranch_execz .LBB130_3
	s_branch .LBB130_4
.LBB130_2:
                                        ; implicit-def: $sgpr19
.LBB130_3:
	s_load_dwordx2 s[0:1], s[4:5], 0x5c
	s_waitcnt lgkmcnt(0)
	s_mul_hi_u32 s0, s0, s7
	s_add_i32 s0, s7, s0
	s_lshr_b32 s19, s0, s1
.LBB130_4:
	s_load_dwordx4 s[24:27], s[4:5], 0x68
	s_andn2_b32 vcc_lo, exec_lo, s9
	s_mov_b32 s23, s7
	s_cbranch_vccnz .LBB130_6
; %bb.5:
	s_mul_hi_u32 s0, s13, s7
	s_add_i32 s0, s7, s0
	s_lshr_b32 s0, s0, s14
	s_mul_i32 s0, s0, s15
	s_sub_i32 s23, s7, s0
.LBB130_6:
	s_load_dword s9, s[4:5], 0x78
	v_cmp_gt_u32_e32 vcc_lo, 32, v0
	v_lshl_add_u32 v5, v0, 2, 0
	s_and_saveexec_b32 s0, vcc_lo
; %bb.7:
	v_mov_b32_e32 v1, 0
	ds_write_b32 v5, v1
; %bb.8:
	s_or_b32 exec_lo, exec_lo, s0
	v_mov_b32_e32 v8, 0
	v_mov_b32_e32 v7, 0
	v_mov_b32_e32 v6, 0
	s_and_b32 s0, exec_lo, s10
	s_cselect_b32 s10, s8, 0
	s_mov_b32 s11, exec_lo
	s_waitcnt lgkmcnt(0)
	s_barrier
	buffer_gl0_inv
	v_cmpx_gt_i32_e64 s12, v0
	s_cbranch_execz .LBB130_12
; %bb.9:
	s_load_dwordx4 s[0:3], s[4:5], 0x0
	s_mul_hi_u32 s13, s27, s10
	s_mul_hi_i32 s15, s21, s10
	s_mul_i32 s14, s21, s10
	s_mul_i32 s24, s19, s24
	s_mul_i32 s28, s16, s6
	s_mul_i32 s30, s23, s25
	s_add_i32 s13, s10, s13
	s_lshl_b64 s[34:35], s[14:15], 2
	s_ashr_i32 s25, s24, 31
	s_ashr_i32 s29, s28, 31
	;; [unrolled: 1-line block ×3, first 2 shown]
	s_lshr_b32 s9, s13, s9
	s_mov_b32 s8, s17
	s_mul_hi_i32 s21, s9, s20
	s_mul_i32 s20, s9, s20
	v_lshlrev_b32_e32 v2, 3, v0
	v_lshlrev_b32_e32 v1, 2, v0
	v_mov_b32_e32 v6, 0
	v_mov_b32_e32 v7, 0
	s_waitcnt lgkmcnt(0)
	s_add_u32 s13, s2, s34
	s_addc_u32 s14, s3, s35
	s_lshl_b64 s[30:31], s[30:31], 2
	v_mov_b32_e32 v8, 0
	s_add_u32 s13, s13, s30
	s_addc_u32 s14, s14, s31
	s_ashr_i32 s9, s17, 31
	s_add_i32 s15, s17, s17
	s_lshl_b64 s[16:17], s[20:21], 1
	s_lshl_b64 s[20:21], s[24:25], 1
	;; [unrolled: 1-line block ×3, first 2 shown]
	s_add_u32 s0, s0, s20
	s_addc_u32 s1, s1, s21
	s_add_u32 s0, s0, s24
	s_addc_u32 s1, s1, s25
	;; [unrolled: 2-line block ×3, first 2 shown]
	s_lshl_b64 s[8:9], s[8:9], 3
	s_add_u32 s2, s2, s30
	s_addc_u32 s3, s3, s31
	s_add_u32 s2, s2, s34
	s_addc_u32 s3, s3, s35
	v_add_co_u32 v3, s2, s2, v2
	v_add_co_ci_u32_e64 v4, null, s3, 0, s2
	v_add_co_u32 v1, s0, s0, v1
	v_add_co_ci_u32_e64 v2, null, s1, 0, s0
	;; [unrolled: 2-line block ×3, first 2 shown]
	v_mov_b32_e32 v9, v0
	s_mov_b32 s1, 0
.LBB130_10:                             ; =>This Inner Loop Header: Depth=1
	v_add_nc_u32_e32 v12, s15, v9
	v_add_co_u32 v14, s0, v3, s8
	v_add_co_ci_u32_e64 v15, null, s9, v4, s0
	v_ashrrev_i32_e32 v13, 31, v12
	global_load_dwordx2 v[10:11], v[3:4], off offset:-4
	v_add_nc_u32_e32 v9, 0x60, v9
	v_lshlrev_b64 v[12:13], 3, v[12:13]
	v_add_co_u32 v12, s0, s13, v12
	v_add_co_ci_u32_e64 v13, null, s14, v13, s0
	global_load_dwordx2 v[14:15], v[14:15], off offset:-4
	global_load_dwordx2 v[12:13], v[12:13], off
	global_load_dword v16, v[1:2], off
	v_add_co_u32 v1, s0, 0x180, v1
	v_add_co_ci_u32_e64 v2, null, 0, v2, s0
	v_add_co_u32 v3, s0, 0x300, v3
	v_add_co_ci_u32_e64 v4, null, 0, v4, s0
	v_cmp_le_i32_e64 s0, s12, v9
	s_or_b32 s1, s0, s1
	s_waitcnt vmcnt(3)
	v_cvt_f16_f32_e32 v10, v10
	v_cvt_f16_f32_e32 v11, v11
	v_pack_b32_f16 v10, v10, v11
	s_waitcnt vmcnt(2)
	v_cvt_f16_f32_e32 v14, v14
	v_cvt_f16_f32_e32 v15, v15
	s_waitcnt vmcnt(1)
	v_cvt_f16_f32_e32 v12, v12
	v_cvt_f16_f32_e32 v13, v13
	s_waitcnt vmcnt(0)
	v_pk_fma_f16 v8, v16, v10, v8
	v_pack_b32_f16 v11, v14, v15
	v_pack_b32_f16 v12, v12, v13
	v_pk_fma_f16 v7, v16, v11, v7
	v_pk_fma_f16 v6, v16, v12, v6
	s_andn2_b32 exec_lo, exec_lo, s1
	s_cbranch_execnz .LBB130_10
; %bb.11:
	s_or_b32 exec_lo, exec_lo, s1
.LBB130_12:
	s_or_b32 exec_lo, exec_lo, s11
	v_mbcnt_lo_u32_b32 v2, -1, 0
	v_cvt_f32_f16_e32 v3, v8
	v_cvt_f32_f16_sdwa v4, v8 dst_sel:DWORD dst_unused:UNUSED_PAD src0_sel:WORD_1
	v_cvt_f32_f16_e32 v12, v7
	v_cvt_f32_f16_sdwa v13, v7 dst_sel:DWORD dst_unused:UNUSED_PAD src0_sel:WORD_1
	v_xor_b32_e32 v1, 16, v2
	v_add_f32_e32 v4, v3, v4
	v_xor_b32_e32 v3, 8, v2
	v_cmp_gt_i32_e64 s0, 32, v1
	v_cndmask_b32_e64 v1, v2, v1, s0
	v_cmp_gt_i32_e64 s0, 32, v3
	v_lshlrev_b32_e32 v1, 2, v1
	v_cndmask_b32_e64 v3, v2, v3, s0
	ds_bpermute_b32 v8, v1, v4
	v_lshlrev_b32_e32 v3, 2, v3
	s_waitcnt lgkmcnt(0)
	v_add_f32_e32 v8, v4, v8
	v_xor_b32_e32 v4, 4, v2
	ds_bpermute_b32 v9, v3, v8
	v_cmp_gt_i32_e64 s0, 32, v4
	v_cndmask_b32_e64 v4, v2, v4, s0
	v_lshlrev_b32_e32 v4, 2, v4
	s_waitcnt lgkmcnt(0)
	v_add_f32_e32 v9, v8, v9
	v_xor_b32_e32 v8, 2, v2
	ds_bpermute_b32 v10, v4, v9
	v_cmp_gt_i32_e64 s0, 32, v8
	v_cndmask_b32_e64 v8, v2, v8, s0
	;; [unrolled: 7-line block ×3, first 2 shown]
	v_lshlrev_b32_e32 v9, 2, v2
	s_waitcnt lgkmcnt(0)
	v_add_f32_e32 v2, v10, v11
	v_lshrrev_b32_e32 v11, 3, v0
	ds_bpermute_b32 v10, v9, v2
	v_and_b32_e32 v11, 0x7c, v11
	v_add_nc_u32_e32 v7, 0, v11
	v_cvt_f32_f16_sdwa v11, v6 dst_sel:DWORD dst_unused:UNUSED_PAD src0_sel:WORD_1
	s_waitcnt lgkmcnt(0)
	v_add_f32_e32 v2, v2, v10
	v_cvt_f32_f16_e32 v10, v6
	v_add_f32_e32 v6, v12, v13
	ds_write_b32 v7, v2
	s_waitcnt lgkmcnt(0)
	s_barrier
	buffer_gl0_inv
	s_and_saveexec_b32 s0, vcc_lo
	s_cbranch_execz .LBB130_14
; %bb.13:
	ds_read_b32 v2, v5
	s_waitcnt lgkmcnt(0)
	ds_bpermute_b32 v12, v1, v2
	s_waitcnt lgkmcnt(0)
	v_add_f32_e32 v2, v2, v12
	ds_bpermute_b32 v12, v3, v2
	s_waitcnt lgkmcnt(0)
	v_add_f32_e32 v2, v2, v12
	;; [unrolled: 3-line block ×5, first 2 shown]
.LBB130_14:
	s_or_b32 exec_lo, exec_lo, s0
	ds_bpermute_b32 v12, v1, v6
	v_add_f32_e32 v10, v10, v11
	s_waitcnt lgkmcnt(0)
	s_barrier
	buffer_gl0_inv
	v_add_f32_e32 v6, v6, v12
	ds_bpermute_b32 v12, v3, v6
	s_waitcnt lgkmcnt(0)
	v_add_f32_e32 v6, v6, v12
	ds_bpermute_b32 v12, v4, v6
	s_waitcnt lgkmcnt(0)
	;; [unrolled: 3-line block ×4, first 2 shown]
	v_add_f32_e32 v6, v6, v12
	ds_write_b32 v7, v6
	s_waitcnt lgkmcnt(0)
	s_barrier
	buffer_gl0_inv
	s_and_saveexec_b32 s0, vcc_lo
	s_cbranch_execz .LBB130_16
; %bb.15:
	ds_read_b32 v6, v5
	s_waitcnt lgkmcnt(0)
	ds_bpermute_b32 v11, v1, v6
	s_waitcnt lgkmcnt(0)
	v_add_f32_e32 v6, v6, v11
	ds_bpermute_b32 v11, v3, v6
	s_waitcnt lgkmcnt(0)
	v_add_f32_e32 v6, v6, v11
	;; [unrolled: 3-line block ×5, first 2 shown]
.LBB130_16:
	s_or_b32 exec_lo, exec_lo, s0
	ds_bpermute_b32 v11, v1, v10
	s_waitcnt lgkmcnt(0)
	s_barrier
	buffer_gl0_inv
	v_add_f32_e32 v10, v10, v11
	ds_bpermute_b32 v11, v3, v10
	s_waitcnt lgkmcnt(0)
	v_add_f32_e32 v10, v10, v11
	ds_bpermute_b32 v11, v4, v10
	s_waitcnt lgkmcnt(0)
	;; [unrolled: 3-line block ×4, first 2 shown]
	v_add_f32_e32 v10, v10, v11
	ds_write_b32 v7, v10
	s_waitcnt lgkmcnt(0)
	s_barrier
	buffer_gl0_inv
	s_and_saveexec_b32 s0, vcc_lo
	s_cbranch_execz .LBB130_18
; %bb.17:
	ds_read_b32 v5, v5
	s_waitcnt lgkmcnt(0)
	ds_bpermute_b32 v1, v1, v5
	s_waitcnt lgkmcnt(0)
	v_add_f32_e32 v1, v5, v1
	ds_bpermute_b32 v3, v3, v1
	s_waitcnt lgkmcnt(0)
	v_add_f32_e32 v1, v1, v3
	ds_bpermute_b32 v3, v4, v1
	s_waitcnt lgkmcnt(0)
	v_add_f32_e32 v1, v1, v3
	ds_bpermute_b32 v3, v8, v1
	s_waitcnt lgkmcnt(0)
	v_add_f32_e32 v1, v1, v3
	ds_bpermute_b32 v3, v9, v1
	s_waitcnt lgkmcnt(0)
	v_add_f32_e32 v10, v1, v3
.LBB130_18:
	s_or_b32 exec_lo, exec_lo, s0
	s_barrier
	buffer_gl0_inv
	s_mov_b32 s0, exec_lo
	v_cmpx_gt_u32_e32 3, v0
	s_cbranch_execz .LBB130_20
; %bb.19:
	s_load_dwordx2 s[0:1], s[4:5], 0x38
	v_mad_u64_u32 v[3:4], null, s18, v0, s[6:7]
	v_cmp_eq_u32_e32 vcc_lo, 1, v0
	s_mul_hi_i32 s3, s22, s10
	s_mul_i32 s2, s22, s10
	s_mul_i32 s4, s26, s7
	s_lshl_b64 s[2:3], s[2:3], 2
	v_cndmask_b32_e32 v5, v2, v6, vcc_lo
	v_ashrrev_i32_e32 v4, 31, v3
	s_ashr_i32 s5, s4, 31
	v_cmp_eq_u32_e32 vcc_lo, 2, v0
	v_lshlrev_b64 v[1:2], 2, v[3:4]
	v_cndmask_b32_e32 v3, v5, v10, vcc_lo
	s_waitcnt lgkmcnt(0)
	s_add_u32 s2, s0, s2
	s_addc_u32 s3, s1, s3
	s_lshl_b64 s[0:1], s[4:5], 2
	s_add_u32 s0, s2, s0
	s_addc_u32 s1, s3, s1
	v_add_co_u32 v0, vcc_lo, s0, v1
	v_add_co_ci_u32_e64 v1, null, s1, v2, vcc_lo
	global_store_dword v[0:1], v3, off
.LBB130_20:
	s_endpgm
	.section	.rodata,"a",@progbits
	.p2align	6, 0x0
	.amdhsa_kernel _ZL13mul_mat_vec_fI6__halfS0_Li3ELi96ELb0ELb0EEvPKT_PKfPKi31ggml_cuda_mm_fusion_args_devicePfi15HIP_vector_typeIjLj3EEiiiSB_iiiSB_iiii
		.amdhsa_group_segment_fixed_size 0
		.amdhsa_private_segment_fixed_size 0
		.amdhsa_kernarg_size 144
		.amdhsa_user_sgpr_count 6
		.amdhsa_user_sgpr_private_segment_buffer 1
		.amdhsa_user_sgpr_dispatch_ptr 0
		.amdhsa_user_sgpr_queue_ptr 0
		.amdhsa_user_sgpr_kernarg_segment_ptr 1
		.amdhsa_user_sgpr_dispatch_id 0
		.amdhsa_user_sgpr_flat_scratch_init 0
		.amdhsa_user_sgpr_private_segment_size 0
		.amdhsa_wavefront_size32 1
		.amdhsa_uses_dynamic_stack 0
		.amdhsa_system_sgpr_private_segment_wavefront_offset 0
		.amdhsa_system_sgpr_workgroup_id_x 1
		.amdhsa_system_sgpr_workgroup_id_y 1
		.amdhsa_system_sgpr_workgroup_id_z 1
		.amdhsa_system_sgpr_workgroup_info 0
		.amdhsa_system_vgpr_workitem_id 0
		.amdhsa_next_free_vgpr 17
		.amdhsa_next_free_sgpr 36
		.amdhsa_reserve_vcc 1
		.amdhsa_reserve_flat_scratch 0
		.amdhsa_float_round_mode_32 0
		.amdhsa_float_round_mode_16_64 0
		.amdhsa_float_denorm_mode_32 3
		.amdhsa_float_denorm_mode_16_64 3
		.amdhsa_dx10_clamp 1
		.amdhsa_ieee_mode 1
		.amdhsa_fp16_overflow 0
		.amdhsa_workgroup_processor_mode 1
		.amdhsa_memory_ordered 1
		.amdhsa_forward_progress 1
		.amdhsa_shared_vgpr_count 0
		.amdhsa_exception_fp_ieee_invalid_op 0
		.amdhsa_exception_fp_denorm_src 0
		.amdhsa_exception_fp_ieee_div_zero 0
		.amdhsa_exception_fp_ieee_overflow 0
		.amdhsa_exception_fp_ieee_underflow 0
		.amdhsa_exception_fp_ieee_inexact 0
		.amdhsa_exception_int_div_zero 0
	.end_amdhsa_kernel
	.section	.text._ZL13mul_mat_vec_fI6__halfS0_Li3ELi96ELb0ELb0EEvPKT_PKfPKi31ggml_cuda_mm_fusion_args_devicePfi15HIP_vector_typeIjLj3EEiiiSB_iiiSB_iiii,"axG",@progbits,_ZL13mul_mat_vec_fI6__halfS0_Li3ELi96ELb0ELb0EEvPKT_PKfPKi31ggml_cuda_mm_fusion_args_devicePfi15HIP_vector_typeIjLj3EEiiiSB_iiiSB_iiii,comdat
.Lfunc_end130:
	.size	_ZL13mul_mat_vec_fI6__halfS0_Li3ELi96ELb0ELb0EEvPKT_PKfPKi31ggml_cuda_mm_fusion_args_devicePfi15HIP_vector_typeIjLj3EEiiiSB_iiiSB_iiii, .Lfunc_end130-_ZL13mul_mat_vec_fI6__halfS0_Li3ELi96ELb0ELb0EEvPKT_PKfPKi31ggml_cuda_mm_fusion_args_devicePfi15HIP_vector_typeIjLj3EEiiiSB_iiiSB_iiii
                                        ; -- End function
	.set _ZL13mul_mat_vec_fI6__halfS0_Li3ELi96ELb0ELb0EEvPKT_PKfPKi31ggml_cuda_mm_fusion_args_devicePfi15HIP_vector_typeIjLj3EEiiiSB_iiiSB_iiii.num_vgpr, 17
	.set _ZL13mul_mat_vec_fI6__halfS0_Li3ELi96ELb0ELb0EEvPKT_PKfPKi31ggml_cuda_mm_fusion_args_devicePfi15HIP_vector_typeIjLj3EEiiiSB_iiiSB_iiii.num_agpr, 0
	.set _ZL13mul_mat_vec_fI6__halfS0_Li3ELi96ELb0ELb0EEvPKT_PKfPKi31ggml_cuda_mm_fusion_args_devicePfi15HIP_vector_typeIjLj3EEiiiSB_iiiSB_iiii.numbered_sgpr, 36
	.set _ZL13mul_mat_vec_fI6__halfS0_Li3ELi96ELb0ELb0EEvPKT_PKfPKi31ggml_cuda_mm_fusion_args_devicePfi15HIP_vector_typeIjLj3EEiiiSB_iiiSB_iiii.num_named_barrier, 0
	.set _ZL13mul_mat_vec_fI6__halfS0_Li3ELi96ELb0ELb0EEvPKT_PKfPKi31ggml_cuda_mm_fusion_args_devicePfi15HIP_vector_typeIjLj3EEiiiSB_iiiSB_iiii.private_seg_size, 0
	.set _ZL13mul_mat_vec_fI6__halfS0_Li3ELi96ELb0ELb0EEvPKT_PKfPKi31ggml_cuda_mm_fusion_args_devicePfi15HIP_vector_typeIjLj3EEiiiSB_iiiSB_iiii.uses_vcc, 1
	.set _ZL13mul_mat_vec_fI6__halfS0_Li3ELi96ELb0ELb0EEvPKT_PKfPKi31ggml_cuda_mm_fusion_args_devicePfi15HIP_vector_typeIjLj3EEiiiSB_iiiSB_iiii.uses_flat_scratch, 0
	.set _ZL13mul_mat_vec_fI6__halfS0_Li3ELi96ELb0ELb0EEvPKT_PKfPKi31ggml_cuda_mm_fusion_args_devicePfi15HIP_vector_typeIjLj3EEiiiSB_iiiSB_iiii.has_dyn_sized_stack, 0
	.set _ZL13mul_mat_vec_fI6__halfS0_Li3ELi96ELb0ELb0EEvPKT_PKfPKi31ggml_cuda_mm_fusion_args_devicePfi15HIP_vector_typeIjLj3EEiiiSB_iiiSB_iiii.has_recursion, 0
	.set _ZL13mul_mat_vec_fI6__halfS0_Li3ELi96ELb0ELb0EEvPKT_PKfPKi31ggml_cuda_mm_fusion_args_devicePfi15HIP_vector_typeIjLj3EEiiiSB_iiiSB_iiii.has_indirect_call, 0
	.section	.AMDGPU.csdata,"",@progbits
; Kernel info:
; codeLenInByte = 1708
; TotalNumSgprs: 38
; NumVgprs: 17
; ScratchSize: 0
; MemoryBound: 0
; FloatMode: 240
; IeeeMode: 1
; LDSByteSize: 0 bytes/workgroup (compile time only)
; SGPRBlocks: 0
; VGPRBlocks: 2
; NumSGPRsForWavesPerEU: 38
; NumVGPRsForWavesPerEU: 17
; Occupancy: 16
; WaveLimiterHint : 0
; COMPUTE_PGM_RSRC2:SCRATCH_EN: 0
; COMPUTE_PGM_RSRC2:USER_SGPR: 6
; COMPUTE_PGM_RSRC2:TRAP_HANDLER: 0
; COMPUTE_PGM_RSRC2:TGID_X_EN: 1
; COMPUTE_PGM_RSRC2:TGID_Y_EN: 1
; COMPUTE_PGM_RSRC2:TGID_Z_EN: 1
; COMPUTE_PGM_RSRC2:TIDIG_COMP_CNT: 0
	.section	.text._ZL13mul_mat_vec_fI6__halfS0_Li3ELi128ELb0ELb0EEvPKT_PKfPKi31ggml_cuda_mm_fusion_args_devicePfi15HIP_vector_typeIjLj3EEiiiSB_iiiSB_iiii,"axG",@progbits,_ZL13mul_mat_vec_fI6__halfS0_Li3ELi128ELb0ELb0EEvPKT_PKfPKi31ggml_cuda_mm_fusion_args_devicePfi15HIP_vector_typeIjLj3EEiiiSB_iiiSB_iiii,comdat
	.globl	_ZL13mul_mat_vec_fI6__halfS0_Li3ELi128ELb0ELb0EEvPKT_PKfPKi31ggml_cuda_mm_fusion_args_devicePfi15HIP_vector_typeIjLj3EEiiiSB_iiiSB_iiii ; -- Begin function _ZL13mul_mat_vec_fI6__halfS0_Li3ELi128ELb0ELb0EEvPKT_PKfPKi31ggml_cuda_mm_fusion_args_devicePfi15HIP_vector_typeIjLj3EEiiiSB_iiiSB_iiii
	.p2align	8
	.type	_ZL13mul_mat_vec_fI6__halfS0_Li3ELi128ELb0ELb0EEvPKT_PKfPKi31ggml_cuda_mm_fusion_args_devicePfi15HIP_vector_typeIjLj3EEiiiSB_iiiSB_iiii,@function
_ZL13mul_mat_vec_fI6__halfS0_Li3ELi128ELb0ELb0EEvPKT_PKfPKi31ggml_cuda_mm_fusion_args_devicePfi15HIP_vector_typeIjLj3EEiiiSB_iiiSB_iiii: ; @_ZL13mul_mat_vec_fI6__halfS0_Li3ELi128ELb0ELb0EEvPKT_PKfPKi31ggml_cuda_mm_fusion_args_devicePfi15HIP_vector_typeIjLj3EEiiiSB_iiiSB_iiii
; %bb.0:
	s_clause 0x2
	s_load_dwordx2 s[0:1], s[4:5], 0x10
	s_load_dwordx8 s[12:19], s[4:5], 0x40
	s_load_dwordx4 s[20:23], s[4:5], 0x80
	s_waitcnt lgkmcnt(0)
	s_cmp_eq_u64 s[0:1], 0
	s_cselect_b32 s10, -1, 0
	s_cmp_lg_u64 s[0:1], 0
	s_cselect_b32 s9, -1, 0
	s_and_b32 vcc_lo, exec_lo, s10
	s_cbranch_vccnz .LBB131_2
; %bb.1:
	s_mul_i32 s2, s23, s8
	s_mov_b32 s3, 0
	s_add_i32 s2, s2, s7
	s_lshl_b64 s[24:25], s[2:3], 2
	s_add_u32 s0, s0, s24
	s_addc_u32 s1, s1, s25
	s_load_dword s19, s[0:1], 0x0
	s_cbranch_execz .LBB131_3
	s_branch .LBB131_4
.LBB131_2:
                                        ; implicit-def: $sgpr19
.LBB131_3:
	s_load_dwordx2 s[0:1], s[4:5], 0x5c
	s_waitcnt lgkmcnt(0)
	s_mul_hi_u32 s0, s0, s7
	s_add_i32 s0, s7, s0
	s_lshr_b32 s19, s0, s1
.LBB131_4:
	s_load_dwordx4 s[24:27], s[4:5], 0x68
	s_andn2_b32 vcc_lo, exec_lo, s9
	s_mov_b32 s23, s7
	s_cbranch_vccnz .LBB131_6
; %bb.5:
	s_mul_hi_u32 s0, s13, s7
	s_add_i32 s0, s7, s0
	s_lshr_b32 s0, s0, s14
	s_mul_i32 s0, s0, s15
	s_sub_i32 s23, s7, s0
.LBB131_6:
	s_load_dword s9, s[4:5], 0x78
	v_cmp_gt_u32_e32 vcc_lo, 32, v0
	v_lshl_add_u32 v5, v0, 2, 0
	s_and_saveexec_b32 s0, vcc_lo
; %bb.7:
	v_mov_b32_e32 v1, 0
	ds_write_b32 v5, v1
; %bb.8:
	s_or_b32 exec_lo, exec_lo, s0
	v_mov_b32_e32 v8, 0
	v_mov_b32_e32 v7, 0
	;; [unrolled: 1-line block ×3, first 2 shown]
	s_and_b32 s0, exec_lo, s10
	s_cselect_b32 s10, s8, 0
	s_mov_b32 s11, exec_lo
	s_waitcnt lgkmcnt(0)
	s_barrier
	buffer_gl0_inv
	v_cmpx_gt_i32_e64 s12, v0
	s_cbranch_execz .LBB131_12
; %bb.9:
	s_load_dwordx4 s[0:3], s[4:5], 0x0
	s_mul_hi_u32 s13, s27, s10
	s_mul_hi_i32 s15, s21, s10
	s_mul_i32 s14, s21, s10
	s_mul_i32 s24, s19, s24
	s_mul_i32 s28, s16, s6
	s_mul_i32 s30, s23, s25
	s_add_i32 s13, s10, s13
	s_lshl_b64 s[34:35], s[14:15], 2
	s_ashr_i32 s25, s24, 31
	s_ashr_i32 s29, s28, 31
	;; [unrolled: 1-line block ×3, first 2 shown]
	s_lshr_b32 s9, s13, s9
	s_mov_b32 s8, s17
	s_mul_hi_i32 s21, s9, s20
	s_mul_i32 s20, s9, s20
	v_lshlrev_b32_e32 v2, 3, v0
	v_lshlrev_b32_e32 v1, 2, v0
	v_mov_b32_e32 v6, 0
	v_mov_b32_e32 v7, 0
	s_waitcnt lgkmcnt(0)
	s_add_u32 s13, s2, s34
	s_addc_u32 s14, s3, s35
	s_lshl_b64 s[30:31], s[30:31], 2
	v_mov_b32_e32 v8, 0
	s_add_u32 s13, s13, s30
	s_addc_u32 s14, s14, s31
	s_ashr_i32 s9, s17, 31
	s_add_i32 s15, s17, s17
	s_lshl_b64 s[16:17], s[20:21], 1
	s_lshl_b64 s[20:21], s[24:25], 1
	;; [unrolled: 1-line block ×3, first 2 shown]
	s_add_u32 s0, s0, s20
	s_addc_u32 s1, s1, s21
	s_add_u32 s0, s0, s24
	s_addc_u32 s1, s1, s25
	;; [unrolled: 2-line block ×3, first 2 shown]
	s_lshl_b64 s[8:9], s[8:9], 3
	s_add_u32 s2, s2, s30
	s_addc_u32 s3, s3, s31
	s_add_u32 s2, s2, s34
	s_addc_u32 s3, s3, s35
	v_add_co_u32 v3, s2, s2, v2
	v_add_co_ci_u32_e64 v4, null, s3, 0, s2
	v_add_co_u32 v1, s0, s0, v1
	v_add_co_ci_u32_e64 v2, null, s1, 0, s0
	;; [unrolled: 2-line block ×3, first 2 shown]
	v_mov_b32_e32 v9, v0
	s_mov_b32 s1, 0
.LBB131_10:                             ; =>This Inner Loop Header: Depth=1
	v_add_nc_u32_e32 v12, s15, v9
	v_add_co_u32 v14, s0, v3, s8
	v_add_co_ci_u32_e64 v15, null, s9, v4, s0
	v_ashrrev_i32_e32 v13, 31, v12
	global_load_dwordx2 v[10:11], v[3:4], off offset:-4
	v_add_nc_u32_e32 v9, 0x80, v9
	v_lshlrev_b64 v[12:13], 3, v[12:13]
	v_add_co_u32 v12, s0, s13, v12
	v_add_co_ci_u32_e64 v13, null, s14, v13, s0
	global_load_dwordx2 v[14:15], v[14:15], off offset:-4
	global_load_dwordx2 v[12:13], v[12:13], off
	global_load_dword v16, v[1:2], off
	v_add_co_u32 v1, s0, 0x200, v1
	v_add_co_ci_u32_e64 v2, null, 0, v2, s0
	v_add_co_u32 v3, s0, 0x400, v3
	v_add_co_ci_u32_e64 v4, null, 0, v4, s0
	v_cmp_le_i32_e64 s0, s12, v9
	s_or_b32 s1, s0, s1
	s_waitcnt vmcnt(3)
	v_cvt_f16_f32_e32 v10, v10
	v_cvt_f16_f32_e32 v11, v11
	v_pack_b32_f16 v10, v10, v11
	s_waitcnt vmcnt(2)
	v_cvt_f16_f32_e32 v14, v14
	v_cvt_f16_f32_e32 v15, v15
	s_waitcnt vmcnt(1)
	v_cvt_f16_f32_e32 v12, v12
	v_cvt_f16_f32_e32 v13, v13
	s_waitcnt vmcnt(0)
	v_pk_fma_f16 v8, v16, v10, v8
	v_pack_b32_f16 v11, v14, v15
	v_pack_b32_f16 v12, v12, v13
	v_pk_fma_f16 v7, v16, v11, v7
	v_pk_fma_f16 v6, v16, v12, v6
	s_andn2_b32 exec_lo, exec_lo, s1
	s_cbranch_execnz .LBB131_10
; %bb.11:
	s_or_b32 exec_lo, exec_lo, s1
.LBB131_12:
	s_or_b32 exec_lo, exec_lo, s11
	v_mbcnt_lo_u32_b32 v2, -1, 0
	v_cvt_f32_f16_e32 v3, v8
	v_cvt_f32_f16_sdwa v4, v8 dst_sel:DWORD dst_unused:UNUSED_PAD src0_sel:WORD_1
	v_cvt_f32_f16_e32 v12, v7
	v_cvt_f32_f16_sdwa v13, v7 dst_sel:DWORD dst_unused:UNUSED_PAD src0_sel:WORD_1
	v_xor_b32_e32 v1, 16, v2
	v_add_f32_e32 v4, v3, v4
	v_xor_b32_e32 v3, 8, v2
	v_cmp_gt_i32_e64 s0, 32, v1
	v_cndmask_b32_e64 v1, v2, v1, s0
	v_cmp_gt_i32_e64 s0, 32, v3
	v_lshlrev_b32_e32 v1, 2, v1
	v_cndmask_b32_e64 v3, v2, v3, s0
	ds_bpermute_b32 v8, v1, v4
	v_lshlrev_b32_e32 v3, 2, v3
	s_waitcnt lgkmcnt(0)
	v_add_f32_e32 v8, v4, v8
	v_xor_b32_e32 v4, 4, v2
	ds_bpermute_b32 v9, v3, v8
	v_cmp_gt_i32_e64 s0, 32, v4
	v_cndmask_b32_e64 v4, v2, v4, s0
	v_lshlrev_b32_e32 v4, 2, v4
	s_waitcnt lgkmcnt(0)
	v_add_f32_e32 v9, v8, v9
	v_xor_b32_e32 v8, 2, v2
	ds_bpermute_b32 v10, v4, v9
	v_cmp_gt_i32_e64 s0, 32, v8
	v_cndmask_b32_e64 v8, v2, v8, s0
	;; [unrolled: 7-line block ×3, first 2 shown]
	v_lshlrev_b32_e32 v9, 2, v2
	s_waitcnt lgkmcnt(0)
	v_add_f32_e32 v2, v10, v11
	v_lshrrev_b32_e32 v11, 3, v0
	ds_bpermute_b32 v10, v9, v2
	v_and_b32_e32 v11, 0x7c, v11
	v_add_nc_u32_e32 v7, 0, v11
	v_cvt_f32_f16_sdwa v11, v6 dst_sel:DWORD dst_unused:UNUSED_PAD src0_sel:WORD_1
	s_waitcnt lgkmcnt(0)
	v_add_f32_e32 v2, v2, v10
	v_cvt_f32_f16_e32 v10, v6
	v_add_f32_e32 v6, v12, v13
	ds_write_b32 v7, v2
	s_waitcnt lgkmcnt(0)
	s_barrier
	buffer_gl0_inv
	s_and_saveexec_b32 s0, vcc_lo
	s_cbranch_execz .LBB131_14
; %bb.13:
	ds_read_b32 v2, v5
	s_waitcnt lgkmcnt(0)
	ds_bpermute_b32 v12, v1, v2
	s_waitcnt lgkmcnt(0)
	v_add_f32_e32 v2, v2, v12
	ds_bpermute_b32 v12, v3, v2
	s_waitcnt lgkmcnt(0)
	v_add_f32_e32 v2, v2, v12
	;; [unrolled: 3-line block ×5, first 2 shown]
.LBB131_14:
	s_or_b32 exec_lo, exec_lo, s0
	ds_bpermute_b32 v12, v1, v6
	v_add_f32_e32 v10, v10, v11
	s_waitcnt lgkmcnt(0)
	s_barrier
	buffer_gl0_inv
	v_add_f32_e32 v6, v6, v12
	ds_bpermute_b32 v12, v3, v6
	s_waitcnt lgkmcnt(0)
	v_add_f32_e32 v6, v6, v12
	ds_bpermute_b32 v12, v4, v6
	s_waitcnt lgkmcnt(0)
	;; [unrolled: 3-line block ×4, first 2 shown]
	v_add_f32_e32 v6, v6, v12
	ds_write_b32 v7, v6
	s_waitcnt lgkmcnt(0)
	s_barrier
	buffer_gl0_inv
	s_and_saveexec_b32 s0, vcc_lo
	s_cbranch_execz .LBB131_16
; %bb.15:
	ds_read_b32 v6, v5
	s_waitcnt lgkmcnt(0)
	ds_bpermute_b32 v11, v1, v6
	s_waitcnt lgkmcnt(0)
	v_add_f32_e32 v6, v6, v11
	ds_bpermute_b32 v11, v3, v6
	s_waitcnt lgkmcnt(0)
	v_add_f32_e32 v6, v6, v11
	;; [unrolled: 3-line block ×5, first 2 shown]
.LBB131_16:
	s_or_b32 exec_lo, exec_lo, s0
	ds_bpermute_b32 v11, v1, v10
	s_waitcnt lgkmcnt(0)
	s_barrier
	buffer_gl0_inv
	v_add_f32_e32 v10, v10, v11
	ds_bpermute_b32 v11, v3, v10
	s_waitcnt lgkmcnt(0)
	v_add_f32_e32 v10, v10, v11
	ds_bpermute_b32 v11, v4, v10
	s_waitcnt lgkmcnt(0)
	v_add_f32_e32 v10, v10, v11
	ds_bpermute_b32 v11, v8, v10
	s_waitcnt lgkmcnt(0)
	v_add_f32_e32 v10, v10, v11
	ds_bpermute_b32 v11, v9, v10
	s_waitcnt lgkmcnt(0)
	v_add_f32_e32 v10, v10, v11
	ds_write_b32 v7, v10
	s_waitcnt lgkmcnt(0)
	s_barrier
	buffer_gl0_inv
	s_and_saveexec_b32 s0, vcc_lo
	s_cbranch_execz .LBB131_18
; %bb.17:
	ds_read_b32 v5, v5
	s_waitcnt lgkmcnt(0)
	ds_bpermute_b32 v1, v1, v5
	s_waitcnt lgkmcnt(0)
	v_add_f32_e32 v1, v5, v1
	ds_bpermute_b32 v3, v3, v1
	s_waitcnt lgkmcnt(0)
	v_add_f32_e32 v1, v1, v3
	;; [unrolled: 3-line block ×5, first 2 shown]
.LBB131_18:
	s_or_b32 exec_lo, exec_lo, s0
	s_barrier
	buffer_gl0_inv
	s_mov_b32 s0, exec_lo
	v_cmpx_gt_u32_e32 3, v0
	s_cbranch_execz .LBB131_20
; %bb.19:
	s_load_dwordx2 s[0:1], s[4:5], 0x38
	v_mad_u64_u32 v[3:4], null, s18, v0, s[6:7]
	v_cmp_eq_u32_e32 vcc_lo, 1, v0
	s_mul_hi_i32 s3, s22, s10
	s_mul_i32 s2, s22, s10
	s_mul_i32 s4, s26, s7
	s_lshl_b64 s[2:3], s[2:3], 2
	v_cndmask_b32_e32 v5, v2, v6, vcc_lo
	v_ashrrev_i32_e32 v4, 31, v3
	s_ashr_i32 s5, s4, 31
	v_cmp_eq_u32_e32 vcc_lo, 2, v0
	v_lshlrev_b64 v[1:2], 2, v[3:4]
	v_cndmask_b32_e32 v3, v5, v10, vcc_lo
	s_waitcnt lgkmcnt(0)
	s_add_u32 s2, s0, s2
	s_addc_u32 s3, s1, s3
	s_lshl_b64 s[0:1], s[4:5], 2
	s_add_u32 s0, s2, s0
	s_addc_u32 s1, s3, s1
	v_add_co_u32 v0, vcc_lo, s0, v1
	v_add_co_ci_u32_e64 v1, null, s1, v2, vcc_lo
	global_store_dword v[0:1], v3, off
.LBB131_20:
	s_endpgm
	.section	.rodata,"a",@progbits
	.p2align	6, 0x0
	.amdhsa_kernel _ZL13mul_mat_vec_fI6__halfS0_Li3ELi128ELb0ELb0EEvPKT_PKfPKi31ggml_cuda_mm_fusion_args_devicePfi15HIP_vector_typeIjLj3EEiiiSB_iiiSB_iiii
		.amdhsa_group_segment_fixed_size 0
		.amdhsa_private_segment_fixed_size 0
		.amdhsa_kernarg_size 144
		.amdhsa_user_sgpr_count 6
		.amdhsa_user_sgpr_private_segment_buffer 1
		.amdhsa_user_sgpr_dispatch_ptr 0
		.amdhsa_user_sgpr_queue_ptr 0
		.amdhsa_user_sgpr_kernarg_segment_ptr 1
		.amdhsa_user_sgpr_dispatch_id 0
		.amdhsa_user_sgpr_flat_scratch_init 0
		.amdhsa_user_sgpr_private_segment_size 0
		.amdhsa_wavefront_size32 1
		.amdhsa_uses_dynamic_stack 0
		.amdhsa_system_sgpr_private_segment_wavefront_offset 0
		.amdhsa_system_sgpr_workgroup_id_x 1
		.amdhsa_system_sgpr_workgroup_id_y 1
		.amdhsa_system_sgpr_workgroup_id_z 1
		.amdhsa_system_sgpr_workgroup_info 0
		.amdhsa_system_vgpr_workitem_id 0
		.amdhsa_next_free_vgpr 17
		.amdhsa_next_free_sgpr 36
		.amdhsa_reserve_vcc 1
		.amdhsa_reserve_flat_scratch 0
		.amdhsa_float_round_mode_32 0
		.amdhsa_float_round_mode_16_64 0
		.amdhsa_float_denorm_mode_32 3
		.amdhsa_float_denorm_mode_16_64 3
		.amdhsa_dx10_clamp 1
		.amdhsa_ieee_mode 1
		.amdhsa_fp16_overflow 0
		.amdhsa_workgroup_processor_mode 1
		.amdhsa_memory_ordered 1
		.amdhsa_forward_progress 1
		.amdhsa_shared_vgpr_count 0
		.amdhsa_exception_fp_ieee_invalid_op 0
		.amdhsa_exception_fp_denorm_src 0
		.amdhsa_exception_fp_ieee_div_zero 0
		.amdhsa_exception_fp_ieee_overflow 0
		.amdhsa_exception_fp_ieee_underflow 0
		.amdhsa_exception_fp_ieee_inexact 0
		.amdhsa_exception_int_div_zero 0
	.end_amdhsa_kernel
	.section	.text._ZL13mul_mat_vec_fI6__halfS0_Li3ELi128ELb0ELb0EEvPKT_PKfPKi31ggml_cuda_mm_fusion_args_devicePfi15HIP_vector_typeIjLj3EEiiiSB_iiiSB_iiii,"axG",@progbits,_ZL13mul_mat_vec_fI6__halfS0_Li3ELi128ELb0ELb0EEvPKT_PKfPKi31ggml_cuda_mm_fusion_args_devicePfi15HIP_vector_typeIjLj3EEiiiSB_iiiSB_iiii,comdat
.Lfunc_end131:
	.size	_ZL13mul_mat_vec_fI6__halfS0_Li3ELi128ELb0ELb0EEvPKT_PKfPKi31ggml_cuda_mm_fusion_args_devicePfi15HIP_vector_typeIjLj3EEiiiSB_iiiSB_iiii, .Lfunc_end131-_ZL13mul_mat_vec_fI6__halfS0_Li3ELi128ELb0ELb0EEvPKT_PKfPKi31ggml_cuda_mm_fusion_args_devicePfi15HIP_vector_typeIjLj3EEiiiSB_iiiSB_iiii
                                        ; -- End function
	.set _ZL13mul_mat_vec_fI6__halfS0_Li3ELi128ELb0ELb0EEvPKT_PKfPKi31ggml_cuda_mm_fusion_args_devicePfi15HIP_vector_typeIjLj3EEiiiSB_iiiSB_iiii.num_vgpr, 17
	.set _ZL13mul_mat_vec_fI6__halfS0_Li3ELi128ELb0ELb0EEvPKT_PKfPKi31ggml_cuda_mm_fusion_args_devicePfi15HIP_vector_typeIjLj3EEiiiSB_iiiSB_iiii.num_agpr, 0
	.set _ZL13mul_mat_vec_fI6__halfS0_Li3ELi128ELb0ELb0EEvPKT_PKfPKi31ggml_cuda_mm_fusion_args_devicePfi15HIP_vector_typeIjLj3EEiiiSB_iiiSB_iiii.numbered_sgpr, 36
	.set _ZL13mul_mat_vec_fI6__halfS0_Li3ELi128ELb0ELb0EEvPKT_PKfPKi31ggml_cuda_mm_fusion_args_devicePfi15HIP_vector_typeIjLj3EEiiiSB_iiiSB_iiii.num_named_barrier, 0
	.set _ZL13mul_mat_vec_fI6__halfS0_Li3ELi128ELb0ELb0EEvPKT_PKfPKi31ggml_cuda_mm_fusion_args_devicePfi15HIP_vector_typeIjLj3EEiiiSB_iiiSB_iiii.private_seg_size, 0
	.set _ZL13mul_mat_vec_fI6__halfS0_Li3ELi128ELb0ELb0EEvPKT_PKfPKi31ggml_cuda_mm_fusion_args_devicePfi15HIP_vector_typeIjLj3EEiiiSB_iiiSB_iiii.uses_vcc, 1
	.set _ZL13mul_mat_vec_fI6__halfS0_Li3ELi128ELb0ELb0EEvPKT_PKfPKi31ggml_cuda_mm_fusion_args_devicePfi15HIP_vector_typeIjLj3EEiiiSB_iiiSB_iiii.uses_flat_scratch, 0
	.set _ZL13mul_mat_vec_fI6__halfS0_Li3ELi128ELb0ELb0EEvPKT_PKfPKi31ggml_cuda_mm_fusion_args_devicePfi15HIP_vector_typeIjLj3EEiiiSB_iiiSB_iiii.has_dyn_sized_stack, 0
	.set _ZL13mul_mat_vec_fI6__halfS0_Li3ELi128ELb0ELb0EEvPKT_PKfPKi31ggml_cuda_mm_fusion_args_devicePfi15HIP_vector_typeIjLj3EEiiiSB_iiiSB_iiii.has_recursion, 0
	.set _ZL13mul_mat_vec_fI6__halfS0_Li3ELi128ELb0ELb0EEvPKT_PKfPKi31ggml_cuda_mm_fusion_args_devicePfi15HIP_vector_typeIjLj3EEiiiSB_iiiSB_iiii.has_indirect_call, 0
	.section	.AMDGPU.csdata,"",@progbits
; Kernel info:
; codeLenInByte = 1708
; TotalNumSgprs: 38
; NumVgprs: 17
; ScratchSize: 0
; MemoryBound: 0
; FloatMode: 240
; IeeeMode: 1
; LDSByteSize: 0 bytes/workgroup (compile time only)
; SGPRBlocks: 0
; VGPRBlocks: 2
; NumSGPRsForWavesPerEU: 38
; NumVGPRsForWavesPerEU: 17
; Occupancy: 16
; WaveLimiterHint : 0
; COMPUTE_PGM_RSRC2:SCRATCH_EN: 0
; COMPUTE_PGM_RSRC2:USER_SGPR: 6
; COMPUTE_PGM_RSRC2:TRAP_HANDLER: 0
; COMPUTE_PGM_RSRC2:TGID_X_EN: 1
; COMPUTE_PGM_RSRC2:TGID_Y_EN: 1
; COMPUTE_PGM_RSRC2:TGID_Z_EN: 1
; COMPUTE_PGM_RSRC2:TIDIG_COMP_CNT: 0
	.section	.text._ZL13mul_mat_vec_fI6__halfS0_Li3ELi160ELb0ELb0EEvPKT_PKfPKi31ggml_cuda_mm_fusion_args_devicePfi15HIP_vector_typeIjLj3EEiiiSB_iiiSB_iiii,"axG",@progbits,_ZL13mul_mat_vec_fI6__halfS0_Li3ELi160ELb0ELb0EEvPKT_PKfPKi31ggml_cuda_mm_fusion_args_devicePfi15HIP_vector_typeIjLj3EEiiiSB_iiiSB_iiii,comdat
	.globl	_ZL13mul_mat_vec_fI6__halfS0_Li3ELi160ELb0ELb0EEvPKT_PKfPKi31ggml_cuda_mm_fusion_args_devicePfi15HIP_vector_typeIjLj3EEiiiSB_iiiSB_iiii ; -- Begin function _ZL13mul_mat_vec_fI6__halfS0_Li3ELi160ELb0ELb0EEvPKT_PKfPKi31ggml_cuda_mm_fusion_args_devicePfi15HIP_vector_typeIjLj3EEiiiSB_iiiSB_iiii
	.p2align	8
	.type	_ZL13mul_mat_vec_fI6__halfS0_Li3ELi160ELb0ELb0EEvPKT_PKfPKi31ggml_cuda_mm_fusion_args_devicePfi15HIP_vector_typeIjLj3EEiiiSB_iiiSB_iiii,@function
_ZL13mul_mat_vec_fI6__halfS0_Li3ELi160ELb0ELb0EEvPKT_PKfPKi31ggml_cuda_mm_fusion_args_devicePfi15HIP_vector_typeIjLj3EEiiiSB_iiiSB_iiii: ; @_ZL13mul_mat_vec_fI6__halfS0_Li3ELi160ELb0ELb0EEvPKT_PKfPKi31ggml_cuda_mm_fusion_args_devicePfi15HIP_vector_typeIjLj3EEiiiSB_iiiSB_iiii
; %bb.0:
	s_clause 0x2
	s_load_dwordx2 s[0:1], s[4:5], 0x10
	s_load_dwordx8 s[12:19], s[4:5], 0x40
	s_load_dwordx4 s[20:23], s[4:5], 0x80
	s_waitcnt lgkmcnt(0)
	s_cmp_eq_u64 s[0:1], 0
	s_cselect_b32 s10, -1, 0
	s_cmp_lg_u64 s[0:1], 0
	s_cselect_b32 s9, -1, 0
	s_and_b32 vcc_lo, exec_lo, s10
	s_cbranch_vccnz .LBB132_2
; %bb.1:
	s_mul_i32 s2, s23, s8
	s_mov_b32 s3, 0
	s_add_i32 s2, s2, s7
	s_lshl_b64 s[24:25], s[2:3], 2
	s_add_u32 s0, s0, s24
	s_addc_u32 s1, s1, s25
	s_load_dword s19, s[0:1], 0x0
	s_cbranch_execz .LBB132_3
	s_branch .LBB132_4
.LBB132_2:
                                        ; implicit-def: $sgpr19
.LBB132_3:
	s_load_dwordx2 s[0:1], s[4:5], 0x5c
	s_waitcnt lgkmcnt(0)
	s_mul_hi_u32 s0, s0, s7
	s_add_i32 s0, s7, s0
	s_lshr_b32 s19, s0, s1
.LBB132_4:
	s_load_dwordx4 s[24:27], s[4:5], 0x68
	s_andn2_b32 vcc_lo, exec_lo, s9
	s_mov_b32 s23, s7
	s_cbranch_vccnz .LBB132_6
; %bb.5:
	s_mul_hi_u32 s0, s13, s7
	s_add_i32 s0, s7, s0
	s_lshr_b32 s0, s0, s14
	s_mul_i32 s0, s0, s15
	s_sub_i32 s23, s7, s0
.LBB132_6:
	s_load_dword s9, s[4:5], 0x78
	v_cmp_gt_u32_e32 vcc_lo, 32, v0
	v_lshl_add_u32 v5, v0, 2, 0
	s_and_saveexec_b32 s0, vcc_lo
; %bb.7:
	v_mov_b32_e32 v1, 0
	ds_write_b32 v5, v1
; %bb.8:
	s_or_b32 exec_lo, exec_lo, s0
	v_mov_b32_e32 v8, 0
	v_mov_b32_e32 v7, 0
	;; [unrolled: 1-line block ×3, first 2 shown]
	s_and_b32 s0, exec_lo, s10
	s_cselect_b32 s10, s8, 0
	s_mov_b32 s11, exec_lo
	s_waitcnt lgkmcnt(0)
	s_barrier
	buffer_gl0_inv
	v_cmpx_gt_i32_e64 s12, v0
	s_cbranch_execz .LBB132_12
; %bb.9:
	s_load_dwordx4 s[0:3], s[4:5], 0x0
	s_mul_hi_u32 s13, s27, s10
	s_mul_hi_i32 s15, s21, s10
	s_mul_i32 s14, s21, s10
	s_mul_i32 s24, s19, s24
	;; [unrolled: 1-line block ×4, first 2 shown]
	s_add_i32 s13, s10, s13
	s_lshl_b64 s[34:35], s[14:15], 2
	s_ashr_i32 s25, s24, 31
	s_ashr_i32 s29, s28, 31
	;; [unrolled: 1-line block ×3, first 2 shown]
	s_lshr_b32 s9, s13, s9
	s_mov_b32 s8, s17
	s_mul_hi_i32 s21, s9, s20
	s_mul_i32 s20, s9, s20
	v_lshlrev_b32_e32 v2, 3, v0
	v_lshlrev_b32_e32 v1, 2, v0
	v_mov_b32_e32 v6, 0
	v_mov_b32_e32 v7, 0
	s_waitcnt lgkmcnt(0)
	s_add_u32 s13, s2, s34
	s_addc_u32 s14, s3, s35
	s_lshl_b64 s[30:31], s[30:31], 2
	v_mov_b32_e32 v8, 0
	s_add_u32 s13, s13, s30
	s_addc_u32 s14, s14, s31
	s_ashr_i32 s9, s17, 31
	s_add_i32 s15, s17, s17
	s_lshl_b64 s[16:17], s[20:21], 1
	s_lshl_b64 s[20:21], s[24:25], 1
	;; [unrolled: 1-line block ×3, first 2 shown]
	s_add_u32 s0, s0, s20
	s_addc_u32 s1, s1, s21
	s_add_u32 s0, s0, s24
	s_addc_u32 s1, s1, s25
	s_add_u32 s0, s0, s16
	s_addc_u32 s1, s1, s17
	s_lshl_b64 s[8:9], s[8:9], 3
	s_add_u32 s2, s2, s30
	s_addc_u32 s3, s3, s31
	s_add_u32 s2, s2, s34
	s_addc_u32 s3, s3, s35
	v_add_co_u32 v3, s2, s2, v2
	v_add_co_ci_u32_e64 v4, null, s3, 0, s2
	v_add_co_u32 v1, s0, s0, v1
	v_add_co_ci_u32_e64 v2, null, s1, 0, s0
	;; [unrolled: 2-line block ×3, first 2 shown]
	v_mov_b32_e32 v9, v0
	s_mov_b32 s1, 0
.LBB132_10:                             ; =>This Inner Loop Header: Depth=1
	v_add_nc_u32_e32 v12, s15, v9
	v_add_co_u32 v14, s0, v3, s8
	v_add_co_ci_u32_e64 v15, null, s9, v4, s0
	v_ashrrev_i32_e32 v13, 31, v12
	global_load_dwordx2 v[10:11], v[3:4], off offset:-4
	v_add_nc_u32_e32 v9, 0xa0, v9
	v_lshlrev_b64 v[12:13], 3, v[12:13]
	v_add_co_u32 v12, s0, s13, v12
	v_add_co_ci_u32_e64 v13, null, s14, v13, s0
	global_load_dwordx2 v[14:15], v[14:15], off offset:-4
	global_load_dwordx2 v[12:13], v[12:13], off
	global_load_dword v16, v[1:2], off
	v_add_co_u32 v1, s0, 0x280, v1
	v_add_co_ci_u32_e64 v2, null, 0, v2, s0
	v_add_co_u32 v3, s0, 0x500, v3
	v_add_co_ci_u32_e64 v4, null, 0, v4, s0
	v_cmp_le_i32_e64 s0, s12, v9
	s_or_b32 s1, s0, s1
	s_waitcnt vmcnt(3)
	v_cvt_f16_f32_e32 v10, v10
	v_cvt_f16_f32_e32 v11, v11
	v_pack_b32_f16 v10, v10, v11
	s_waitcnt vmcnt(2)
	v_cvt_f16_f32_e32 v14, v14
	v_cvt_f16_f32_e32 v15, v15
	s_waitcnt vmcnt(1)
	v_cvt_f16_f32_e32 v12, v12
	v_cvt_f16_f32_e32 v13, v13
	s_waitcnt vmcnt(0)
	v_pk_fma_f16 v8, v16, v10, v8
	v_pack_b32_f16 v11, v14, v15
	v_pack_b32_f16 v12, v12, v13
	v_pk_fma_f16 v7, v16, v11, v7
	v_pk_fma_f16 v6, v16, v12, v6
	s_andn2_b32 exec_lo, exec_lo, s1
	s_cbranch_execnz .LBB132_10
; %bb.11:
	s_or_b32 exec_lo, exec_lo, s1
.LBB132_12:
	s_or_b32 exec_lo, exec_lo, s11
	v_mbcnt_lo_u32_b32 v2, -1, 0
	v_cvt_f32_f16_e32 v3, v8
	v_cvt_f32_f16_sdwa v4, v8 dst_sel:DWORD dst_unused:UNUSED_PAD src0_sel:WORD_1
	v_cvt_f32_f16_e32 v12, v7
	v_cvt_f32_f16_sdwa v13, v7 dst_sel:DWORD dst_unused:UNUSED_PAD src0_sel:WORD_1
	v_xor_b32_e32 v1, 16, v2
	v_add_f32_e32 v4, v3, v4
	v_xor_b32_e32 v3, 8, v2
	v_cmp_gt_i32_e64 s0, 32, v1
	v_cndmask_b32_e64 v1, v2, v1, s0
	v_cmp_gt_i32_e64 s0, 32, v3
	v_lshlrev_b32_e32 v1, 2, v1
	v_cndmask_b32_e64 v3, v2, v3, s0
	ds_bpermute_b32 v8, v1, v4
	v_lshlrev_b32_e32 v3, 2, v3
	s_waitcnt lgkmcnt(0)
	v_add_f32_e32 v8, v4, v8
	v_xor_b32_e32 v4, 4, v2
	ds_bpermute_b32 v9, v3, v8
	v_cmp_gt_i32_e64 s0, 32, v4
	v_cndmask_b32_e64 v4, v2, v4, s0
	v_lshlrev_b32_e32 v4, 2, v4
	s_waitcnt lgkmcnt(0)
	v_add_f32_e32 v9, v8, v9
	v_xor_b32_e32 v8, 2, v2
	ds_bpermute_b32 v10, v4, v9
	v_cmp_gt_i32_e64 s0, 32, v8
	v_cndmask_b32_e64 v8, v2, v8, s0
	;; [unrolled: 7-line block ×3, first 2 shown]
	v_lshlrev_b32_e32 v9, 2, v2
	s_waitcnt lgkmcnt(0)
	v_add_f32_e32 v2, v10, v11
	v_lshrrev_b32_e32 v11, 3, v0
	ds_bpermute_b32 v10, v9, v2
	v_and_b32_e32 v11, 0x7c, v11
	v_add_nc_u32_e32 v7, 0, v11
	v_cvt_f32_f16_sdwa v11, v6 dst_sel:DWORD dst_unused:UNUSED_PAD src0_sel:WORD_1
	s_waitcnt lgkmcnt(0)
	v_add_f32_e32 v2, v2, v10
	v_cvt_f32_f16_e32 v10, v6
	v_add_f32_e32 v6, v12, v13
	ds_write_b32 v7, v2
	s_waitcnt lgkmcnt(0)
	s_barrier
	buffer_gl0_inv
	s_and_saveexec_b32 s0, vcc_lo
	s_cbranch_execz .LBB132_14
; %bb.13:
	ds_read_b32 v2, v5
	s_waitcnt lgkmcnt(0)
	ds_bpermute_b32 v12, v1, v2
	s_waitcnt lgkmcnt(0)
	v_add_f32_e32 v2, v2, v12
	ds_bpermute_b32 v12, v3, v2
	s_waitcnt lgkmcnt(0)
	v_add_f32_e32 v2, v2, v12
	;; [unrolled: 3-line block ×5, first 2 shown]
.LBB132_14:
	s_or_b32 exec_lo, exec_lo, s0
	ds_bpermute_b32 v12, v1, v6
	v_add_f32_e32 v10, v10, v11
	s_waitcnt lgkmcnt(0)
	s_barrier
	buffer_gl0_inv
	v_add_f32_e32 v6, v6, v12
	ds_bpermute_b32 v12, v3, v6
	s_waitcnt lgkmcnt(0)
	v_add_f32_e32 v6, v6, v12
	ds_bpermute_b32 v12, v4, v6
	s_waitcnt lgkmcnt(0)
	;; [unrolled: 3-line block ×4, first 2 shown]
	v_add_f32_e32 v6, v6, v12
	ds_write_b32 v7, v6
	s_waitcnt lgkmcnt(0)
	s_barrier
	buffer_gl0_inv
	s_and_saveexec_b32 s0, vcc_lo
	s_cbranch_execz .LBB132_16
; %bb.15:
	ds_read_b32 v6, v5
	s_waitcnt lgkmcnt(0)
	ds_bpermute_b32 v11, v1, v6
	s_waitcnt lgkmcnt(0)
	v_add_f32_e32 v6, v6, v11
	ds_bpermute_b32 v11, v3, v6
	s_waitcnt lgkmcnt(0)
	v_add_f32_e32 v6, v6, v11
	;; [unrolled: 3-line block ×5, first 2 shown]
.LBB132_16:
	s_or_b32 exec_lo, exec_lo, s0
	ds_bpermute_b32 v11, v1, v10
	s_waitcnt lgkmcnt(0)
	s_barrier
	buffer_gl0_inv
	v_add_f32_e32 v10, v10, v11
	ds_bpermute_b32 v11, v3, v10
	s_waitcnt lgkmcnt(0)
	v_add_f32_e32 v10, v10, v11
	ds_bpermute_b32 v11, v4, v10
	s_waitcnt lgkmcnt(0)
	;; [unrolled: 3-line block ×4, first 2 shown]
	v_add_f32_e32 v10, v10, v11
	ds_write_b32 v7, v10
	s_waitcnt lgkmcnt(0)
	s_barrier
	buffer_gl0_inv
	s_and_saveexec_b32 s0, vcc_lo
	s_cbranch_execz .LBB132_18
; %bb.17:
	ds_read_b32 v5, v5
	s_waitcnt lgkmcnt(0)
	ds_bpermute_b32 v1, v1, v5
	s_waitcnt lgkmcnt(0)
	v_add_f32_e32 v1, v5, v1
	ds_bpermute_b32 v3, v3, v1
	s_waitcnt lgkmcnt(0)
	v_add_f32_e32 v1, v1, v3
	;; [unrolled: 3-line block ×5, first 2 shown]
.LBB132_18:
	s_or_b32 exec_lo, exec_lo, s0
	s_barrier
	buffer_gl0_inv
	s_mov_b32 s0, exec_lo
	v_cmpx_gt_u32_e32 3, v0
	s_cbranch_execz .LBB132_20
; %bb.19:
	s_load_dwordx2 s[0:1], s[4:5], 0x38
	v_mad_u64_u32 v[3:4], null, s18, v0, s[6:7]
	v_cmp_eq_u32_e32 vcc_lo, 1, v0
	s_mul_hi_i32 s3, s22, s10
	s_mul_i32 s2, s22, s10
	s_mul_i32 s4, s26, s7
	s_lshl_b64 s[2:3], s[2:3], 2
	v_cndmask_b32_e32 v5, v2, v6, vcc_lo
	v_ashrrev_i32_e32 v4, 31, v3
	s_ashr_i32 s5, s4, 31
	v_cmp_eq_u32_e32 vcc_lo, 2, v0
	v_lshlrev_b64 v[1:2], 2, v[3:4]
	v_cndmask_b32_e32 v3, v5, v10, vcc_lo
	s_waitcnt lgkmcnt(0)
	s_add_u32 s2, s0, s2
	s_addc_u32 s3, s1, s3
	s_lshl_b64 s[0:1], s[4:5], 2
	s_add_u32 s0, s2, s0
	s_addc_u32 s1, s3, s1
	v_add_co_u32 v0, vcc_lo, s0, v1
	v_add_co_ci_u32_e64 v1, null, s1, v2, vcc_lo
	global_store_dword v[0:1], v3, off
.LBB132_20:
	s_endpgm
	.section	.rodata,"a",@progbits
	.p2align	6, 0x0
	.amdhsa_kernel _ZL13mul_mat_vec_fI6__halfS0_Li3ELi160ELb0ELb0EEvPKT_PKfPKi31ggml_cuda_mm_fusion_args_devicePfi15HIP_vector_typeIjLj3EEiiiSB_iiiSB_iiii
		.amdhsa_group_segment_fixed_size 0
		.amdhsa_private_segment_fixed_size 0
		.amdhsa_kernarg_size 144
		.amdhsa_user_sgpr_count 6
		.amdhsa_user_sgpr_private_segment_buffer 1
		.amdhsa_user_sgpr_dispatch_ptr 0
		.amdhsa_user_sgpr_queue_ptr 0
		.amdhsa_user_sgpr_kernarg_segment_ptr 1
		.amdhsa_user_sgpr_dispatch_id 0
		.amdhsa_user_sgpr_flat_scratch_init 0
		.amdhsa_user_sgpr_private_segment_size 0
		.amdhsa_wavefront_size32 1
		.amdhsa_uses_dynamic_stack 0
		.amdhsa_system_sgpr_private_segment_wavefront_offset 0
		.amdhsa_system_sgpr_workgroup_id_x 1
		.amdhsa_system_sgpr_workgroup_id_y 1
		.amdhsa_system_sgpr_workgroup_id_z 1
		.amdhsa_system_sgpr_workgroup_info 0
		.amdhsa_system_vgpr_workitem_id 0
		.amdhsa_next_free_vgpr 17
		.amdhsa_next_free_sgpr 36
		.amdhsa_reserve_vcc 1
		.amdhsa_reserve_flat_scratch 0
		.amdhsa_float_round_mode_32 0
		.amdhsa_float_round_mode_16_64 0
		.amdhsa_float_denorm_mode_32 3
		.amdhsa_float_denorm_mode_16_64 3
		.amdhsa_dx10_clamp 1
		.amdhsa_ieee_mode 1
		.amdhsa_fp16_overflow 0
		.amdhsa_workgroup_processor_mode 1
		.amdhsa_memory_ordered 1
		.amdhsa_forward_progress 1
		.amdhsa_shared_vgpr_count 0
		.amdhsa_exception_fp_ieee_invalid_op 0
		.amdhsa_exception_fp_denorm_src 0
		.amdhsa_exception_fp_ieee_div_zero 0
		.amdhsa_exception_fp_ieee_overflow 0
		.amdhsa_exception_fp_ieee_underflow 0
		.amdhsa_exception_fp_ieee_inexact 0
		.amdhsa_exception_int_div_zero 0
	.end_amdhsa_kernel
	.section	.text._ZL13mul_mat_vec_fI6__halfS0_Li3ELi160ELb0ELb0EEvPKT_PKfPKi31ggml_cuda_mm_fusion_args_devicePfi15HIP_vector_typeIjLj3EEiiiSB_iiiSB_iiii,"axG",@progbits,_ZL13mul_mat_vec_fI6__halfS0_Li3ELi160ELb0ELb0EEvPKT_PKfPKi31ggml_cuda_mm_fusion_args_devicePfi15HIP_vector_typeIjLj3EEiiiSB_iiiSB_iiii,comdat
.Lfunc_end132:
	.size	_ZL13mul_mat_vec_fI6__halfS0_Li3ELi160ELb0ELb0EEvPKT_PKfPKi31ggml_cuda_mm_fusion_args_devicePfi15HIP_vector_typeIjLj3EEiiiSB_iiiSB_iiii, .Lfunc_end132-_ZL13mul_mat_vec_fI6__halfS0_Li3ELi160ELb0ELb0EEvPKT_PKfPKi31ggml_cuda_mm_fusion_args_devicePfi15HIP_vector_typeIjLj3EEiiiSB_iiiSB_iiii
                                        ; -- End function
	.set _ZL13mul_mat_vec_fI6__halfS0_Li3ELi160ELb0ELb0EEvPKT_PKfPKi31ggml_cuda_mm_fusion_args_devicePfi15HIP_vector_typeIjLj3EEiiiSB_iiiSB_iiii.num_vgpr, 17
	.set _ZL13mul_mat_vec_fI6__halfS0_Li3ELi160ELb0ELb0EEvPKT_PKfPKi31ggml_cuda_mm_fusion_args_devicePfi15HIP_vector_typeIjLj3EEiiiSB_iiiSB_iiii.num_agpr, 0
	.set _ZL13mul_mat_vec_fI6__halfS0_Li3ELi160ELb0ELb0EEvPKT_PKfPKi31ggml_cuda_mm_fusion_args_devicePfi15HIP_vector_typeIjLj3EEiiiSB_iiiSB_iiii.numbered_sgpr, 36
	.set _ZL13mul_mat_vec_fI6__halfS0_Li3ELi160ELb0ELb0EEvPKT_PKfPKi31ggml_cuda_mm_fusion_args_devicePfi15HIP_vector_typeIjLj3EEiiiSB_iiiSB_iiii.num_named_barrier, 0
	.set _ZL13mul_mat_vec_fI6__halfS0_Li3ELi160ELb0ELb0EEvPKT_PKfPKi31ggml_cuda_mm_fusion_args_devicePfi15HIP_vector_typeIjLj3EEiiiSB_iiiSB_iiii.private_seg_size, 0
	.set _ZL13mul_mat_vec_fI6__halfS0_Li3ELi160ELb0ELb0EEvPKT_PKfPKi31ggml_cuda_mm_fusion_args_devicePfi15HIP_vector_typeIjLj3EEiiiSB_iiiSB_iiii.uses_vcc, 1
	.set _ZL13mul_mat_vec_fI6__halfS0_Li3ELi160ELb0ELb0EEvPKT_PKfPKi31ggml_cuda_mm_fusion_args_devicePfi15HIP_vector_typeIjLj3EEiiiSB_iiiSB_iiii.uses_flat_scratch, 0
	.set _ZL13mul_mat_vec_fI6__halfS0_Li3ELi160ELb0ELb0EEvPKT_PKfPKi31ggml_cuda_mm_fusion_args_devicePfi15HIP_vector_typeIjLj3EEiiiSB_iiiSB_iiii.has_dyn_sized_stack, 0
	.set _ZL13mul_mat_vec_fI6__halfS0_Li3ELi160ELb0ELb0EEvPKT_PKfPKi31ggml_cuda_mm_fusion_args_devicePfi15HIP_vector_typeIjLj3EEiiiSB_iiiSB_iiii.has_recursion, 0
	.set _ZL13mul_mat_vec_fI6__halfS0_Li3ELi160ELb0ELb0EEvPKT_PKfPKi31ggml_cuda_mm_fusion_args_devicePfi15HIP_vector_typeIjLj3EEiiiSB_iiiSB_iiii.has_indirect_call, 0
	.section	.AMDGPU.csdata,"",@progbits
; Kernel info:
; codeLenInByte = 1708
; TotalNumSgprs: 38
; NumVgprs: 17
; ScratchSize: 0
; MemoryBound: 0
; FloatMode: 240
; IeeeMode: 1
; LDSByteSize: 0 bytes/workgroup (compile time only)
; SGPRBlocks: 0
; VGPRBlocks: 2
; NumSGPRsForWavesPerEU: 38
; NumVGPRsForWavesPerEU: 17
; Occupancy: 16
; WaveLimiterHint : 0
; COMPUTE_PGM_RSRC2:SCRATCH_EN: 0
; COMPUTE_PGM_RSRC2:USER_SGPR: 6
; COMPUTE_PGM_RSRC2:TRAP_HANDLER: 0
; COMPUTE_PGM_RSRC2:TGID_X_EN: 1
; COMPUTE_PGM_RSRC2:TGID_Y_EN: 1
; COMPUTE_PGM_RSRC2:TGID_Z_EN: 1
; COMPUTE_PGM_RSRC2:TIDIG_COMP_CNT: 0
	.section	.text._ZL13mul_mat_vec_fI6__halfS0_Li3ELi192ELb0ELb0EEvPKT_PKfPKi31ggml_cuda_mm_fusion_args_devicePfi15HIP_vector_typeIjLj3EEiiiSB_iiiSB_iiii,"axG",@progbits,_ZL13mul_mat_vec_fI6__halfS0_Li3ELi192ELb0ELb0EEvPKT_PKfPKi31ggml_cuda_mm_fusion_args_devicePfi15HIP_vector_typeIjLj3EEiiiSB_iiiSB_iiii,comdat
	.globl	_ZL13mul_mat_vec_fI6__halfS0_Li3ELi192ELb0ELb0EEvPKT_PKfPKi31ggml_cuda_mm_fusion_args_devicePfi15HIP_vector_typeIjLj3EEiiiSB_iiiSB_iiii ; -- Begin function _ZL13mul_mat_vec_fI6__halfS0_Li3ELi192ELb0ELb0EEvPKT_PKfPKi31ggml_cuda_mm_fusion_args_devicePfi15HIP_vector_typeIjLj3EEiiiSB_iiiSB_iiii
	.p2align	8
	.type	_ZL13mul_mat_vec_fI6__halfS0_Li3ELi192ELb0ELb0EEvPKT_PKfPKi31ggml_cuda_mm_fusion_args_devicePfi15HIP_vector_typeIjLj3EEiiiSB_iiiSB_iiii,@function
_ZL13mul_mat_vec_fI6__halfS0_Li3ELi192ELb0ELb0EEvPKT_PKfPKi31ggml_cuda_mm_fusion_args_devicePfi15HIP_vector_typeIjLj3EEiiiSB_iiiSB_iiii: ; @_ZL13mul_mat_vec_fI6__halfS0_Li3ELi192ELb0ELb0EEvPKT_PKfPKi31ggml_cuda_mm_fusion_args_devicePfi15HIP_vector_typeIjLj3EEiiiSB_iiiSB_iiii
; %bb.0:
	s_clause 0x2
	s_load_dwordx2 s[0:1], s[4:5], 0x10
	s_load_dwordx8 s[12:19], s[4:5], 0x40
	s_load_dwordx4 s[20:23], s[4:5], 0x80
	s_waitcnt lgkmcnt(0)
	s_cmp_eq_u64 s[0:1], 0
	s_cselect_b32 s10, -1, 0
	s_cmp_lg_u64 s[0:1], 0
	s_cselect_b32 s9, -1, 0
	s_and_b32 vcc_lo, exec_lo, s10
	s_cbranch_vccnz .LBB133_2
; %bb.1:
	s_mul_i32 s2, s23, s8
	s_mov_b32 s3, 0
	s_add_i32 s2, s2, s7
	s_lshl_b64 s[24:25], s[2:3], 2
	s_add_u32 s0, s0, s24
	s_addc_u32 s1, s1, s25
	s_load_dword s19, s[0:1], 0x0
	s_cbranch_execz .LBB133_3
	s_branch .LBB133_4
.LBB133_2:
                                        ; implicit-def: $sgpr19
.LBB133_3:
	s_load_dwordx2 s[0:1], s[4:5], 0x5c
	s_waitcnt lgkmcnt(0)
	s_mul_hi_u32 s0, s0, s7
	s_add_i32 s0, s7, s0
	s_lshr_b32 s19, s0, s1
.LBB133_4:
	s_load_dwordx4 s[24:27], s[4:5], 0x68
	s_andn2_b32 vcc_lo, exec_lo, s9
	s_mov_b32 s23, s7
	s_cbranch_vccnz .LBB133_6
; %bb.5:
	s_mul_hi_u32 s0, s13, s7
	s_add_i32 s0, s7, s0
	s_lshr_b32 s0, s0, s14
	s_mul_i32 s0, s0, s15
	s_sub_i32 s23, s7, s0
.LBB133_6:
	s_load_dword s9, s[4:5], 0x78
	v_cmp_gt_u32_e32 vcc_lo, 32, v0
	v_lshl_add_u32 v5, v0, 2, 0
	s_and_saveexec_b32 s0, vcc_lo
; %bb.7:
	v_mov_b32_e32 v1, 0
	ds_write_b32 v5, v1
; %bb.8:
	s_or_b32 exec_lo, exec_lo, s0
	v_mov_b32_e32 v8, 0
	v_mov_b32_e32 v7, 0
	;; [unrolled: 1-line block ×3, first 2 shown]
	s_and_b32 s0, exec_lo, s10
	s_cselect_b32 s10, s8, 0
	s_mov_b32 s11, exec_lo
	s_waitcnt lgkmcnt(0)
	s_barrier
	buffer_gl0_inv
	v_cmpx_gt_i32_e64 s12, v0
	s_cbranch_execz .LBB133_12
; %bb.9:
	s_load_dwordx4 s[0:3], s[4:5], 0x0
	s_mul_hi_u32 s13, s27, s10
	s_mul_hi_i32 s15, s21, s10
	s_mul_i32 s14, s21, s10
	s_mul_i32 s24, s19, s24
	;; [unrolled: 1-line block ×4, first 2 shown]
	s_add_i32 s13, s10, s13
	s_lshl_b64 s[34:35], s[14:15], 2
	s_ashr_i32 s25, s24, 31
	s_ashr_i32 s29, s28, 31
	;; [unrolled: 1-line block ×3, first 2 shown]
	s_lshr_b32 s9, s13, s9
	s_mov_b32 s8, s17
	s_mul_hi_i32 s21, s9, s20
	s_mul_i32 s20, s9, s20
	v_lshlrev_b32_e32 v2, 3, v0
	v_lshlrev_b32_e32 v1, 2, v0
	v_mov_b32_e32 v6, 0
	v_mov_b32_e32 v7, 0
	s_waitcnt lgkmcnt(0)
	s_add_u32 s13, s2, s34
	s_addc_u32 s14, s3, s35
	s_lshl_b64 s[30:31], s[30:31], 2
	v_mov_b32_e32 v8, 0
	s_add_u32 s13, s13, s30
	s_addc_u32 s14, s14, s31
	s_ashr_i32 s9, s17, 31
	s_add_i32 s15, s17, s17
	s_lshl_b64 s[16:17], s[20:21], 1
	s_lshl_b64 s[20:21], s[24:25], 1
	;; [unrolled: 1-line block ×3, first 2 shown]
	s_add_u32 s0, s0, s20
	s_addc_u32 s1, s1, s21
	s_add_u32 s0, s0, s24
	s_addc_u32 s1, s1, s25
	;; [unrolled: 2-line block ×3, first 2 shown]
	s_lshl_b64 s[8:9], s[8:9], 3
	s_add_u32 s2, s2, s30
	s_addc_u32 s3, s3, s31
	s_add_u32 s2, s2, s34
	s_addc_u32 s3, s3, s35
	v_add_co_u32 v3, s2, s2, v2
	v_add_co_ci_u32_e64 v4, null, s3, 0, s2
	v_add_co_u32 v1, s0, s0, v1
	v_add_co_ci_u32_e64 v2, null, s1, 0, s0
	;; [unrolled: 2-line block ×3, first 2 shown]
	v_mov_b32_e32 v9, v0
	s_mov_b32 s1, 0
.LBB133_10:                             ; =>This Inner Loop Header: Depth=1
	v_add_nc_u32_e32 v12, s15, v9
	v_add_co_u32 v14, s0, v3, s8
	v_add_co_ci_u32_e64 v15, null, s9, v4, s0
	v_ashrrev_i32_e32 v13, 31, v12
	global_load_dwordx2 v[10:11], v[3:4], off offset:-4
	v_add_nc_u32_e32 v9, 0xc0, v9
	v_lshlrev_b64 v[12:13], 3, v[12:13]
	v_add_co_u32 v12, s0, s13, v12
	v_add_co_ci_u32_e64 v13, null, s14, v13, s0
	global_load_dwordx2 v[14:15], v[14:15], off offset:-4
	global_load_dwordx2 v[12:13], v[12:13], off
	global_load_dword v16, v[1:2], off
	v_add_co_u32 v1, s0, 0x300, v1
	v_add_co_ci_u32_e64 v2, null, 0, v2, s0
	v_add_co_u32 v3, s0, 0x600, v3
	v_add_co_ci_u32_e64 v4, null, 0, v4, s0
	v_cmp_le_i32_e64 s0, s12, v9
	s_or_b32 s1, s0, s1
	s_waitcnt vmcnt(3)
	v_cvt_f16_f32_e32 v10, v10
	v_cvt_f16_f32_e32 v11, v11
	v_pack_b32_f16 v10, v10, v11
	s_waitcnt vmcnt(2)
	v_cvt_f16_f32_e32 v14, v14
	v_cvt_f16_f32_e32 v15, v15
	s_waitcnt vmcnt(1)
	v_cvt_f16_f32_e32 v12, v12
	v_cvt_f16_f32_e32 v13, v13
	s_waitcnt vmcnt(0)
	v_pk_fma_f16 v8, v16, v10, v8
	v_pack_b32_f16 v11, v14, v15
	v_pack_b32_f16 v12, v12, v13
	v_pk_fma_f16 v7, v16, v11, v7
	v_pk_fma_f16 v6, v16, v12, v6
	s_andn2_b32 exec_lo, exec_lo, s1
	s_cbranch_execnz .LBB133_10
; %bb.11:
	s_or_b32 exec_lo, exec_lo, s1
.LBB133_12:
	s_or_b32 exec_lo, exec_lo, s11
	v_mbcnt_lo_u32_b32 v2, -1, 0
	v_cvt_f32_f16_e32 v3, v8
	v_cvt_f32_f16_sdwa v4, v8 dst_sel:DWORD dst_unused:UNUSED_PAD src0_sel:WORD_1
	v_cvt_f32_f16_e32 v12, v7
	v_cvt_f32_f16_sdwa v13, v7 dst_sel:DWORD dst_unused:UNUSED_PAD src0_sel:WORD_1
	v_xor_b32_e32 v1, 16, v2
	v_add_f32_e32 v4, v3, v4
	v_xor_b32_e32 v3, 8, v2
	v_cmp_gt_i32_e64 s0, 32, v1
	v_cndmask_b32_e64 v1, v2, v1, s0
	v_cmp_gt_i32_e64 s0, 32, v3
	v_lshlrev_b32_e32 v1, 2, v1
	v_cndmask_b32_e64 v3, v2, v3, s0
	ds_bpermute_b32 v8, v1, v4
	v_lshlrev_b32_e32 v3, 2, v3
	s_waitcnt lgkmcnt(0)
	v_add_f32_e32 v8, v4, v8
	v_xor_b32_e32 v4, 4, v2
	ds_bpermute_b32 v9, v3, v8
	v_cmp_gt_i32_e64 s0, 32, v4
	v_cndmask_b32_e64 v4, v2, v4, s0
	v_lshlrev_b32_e32 v4, 2, v4
	s_waitcnt lgkmcnt(0)
	v_add_f32_e32 v9, v8, v9
	v_xor_b32_e32 v8, 2, v2
	ds_bpermute_b32 v10, v4, v9
	v_cmp_gt_i32_e64 s0, 32, v8
	v_cndmask_b32_e64 v8, v2, v8, s0
	;; [unrolled: 7-line block ×3, first 2 shown]
	v_lshlrev_b32_e32 v9, 2, v2
	s_waitcnt lgkmcnt(0)
	v_add_f32_e32 v2, v10, v11
	v_lshrrev_b32_e32 v11, 3, v0
	ds_bpermute_b32 v10, v9, v2
	v_and_b32_e32 v11, 0x7c, v11
	v_add_nc_u32_e32 v7, 0, v11
	v_cvt_f32_f16_sdwa v11, v6 dst_sel:DWORD dst_unused:UNUSED_PAD src0_sel:WORD_1
	s_waitcnt lgkmcnt(0)
	v_add_f32_e32 v2, v2, v10
	v_cvt_f32_f16_e32 v10, v6
	v_add_f32_e32 v6, v12, v13
	ds_write_b32 v7, v2
	s_waitcnt lgkmcnt(0)
	s_barrier
	buffer_gl0_inv
	s_and_saveexec_b32 s0, vcc_lo
	s_cbranch_execz .LBB133_14
; %bb.13:
	ds_read_b32 v2, v5
	s_waitcnt lgkmcnt(0)
	ds_bpermute_b32 v12, v1, v2
	s_waitcnt lgkmcnt(0)
	v_add_f32_e32 v2, v2, v12
	ds_bpermute_b32 v12, v3, v2
	s_waitcnt lgkmcnt(0)
	v_add_f32_e32 v2, v2, v12
	;; [unrolled: 3-line block ×5, first 2 shown]
.LBB133_14:
	s_or_b32 exec_lo, exec_lo, s0
	ds_bpermute_b32 v12, v1, v6
	v_add_f32_e32 v10, v10, v11
	s_waitcnt lgkmcnt(0)
	s_barrier
	buffer_gl0_inv
	v_add_f32_e32 v6, v6, v12
	ds_bpermute_b32 v12, v3, v6
	s_waitcnt lgkmcnt(0)
	v_add_f32_e32 v6, v6, v12
	ds_bpermute_b32 v12, v4, v6
	s_waitcnt lgkmcnt(0)
	;; [unrolled: 3-line block ×4, first 2 shown]
	v_add_f32_e32 v6, v6, v12
	ds_write_b32 v7, v6
	s_waitcnt lgkmcnt(0)
	s_barrier
	buffer_gl0_inv
	s_and_saveexec_b32 s0, vcc_lo
	s_cbranch_execz .LBB133_16
; %bb.15:
	ds_read_b32 v6, v5
	s_waitcnt lgkmcnt(0)
	ds_bpermute_b32 v11, v1, v6
	s_waitcnt lgkmcnt(0)
	v_add_f32_e32 v6, v6, v11
	ds_bpermute_b32 v11, v3, v6
	s_waitcnt lgkmcnt(0)
	v_add_f32_e32 v6, v6, v11
	;; [unrolled: 3-line block ×5, first 2 shown]
.LBB133_16:
	s_or_b32 exec_lo, exec_lo, s0
	ds_bpermute_b32 v11, v1, v10
	s_waitcnt lgkmcnt(0)
	s_barrier
	buffer_gl0_inv
	v_add_f32_e32 v10, v10, v11
	ds_bpermute_b32 v11, v3, v10
	s_waitcnt lgkmcnt(0)
	v_add_f32_e32 v10, v10, v11
	ds_bpermute_b32 v11, v4, v10
	s_waitcnt lgkmcnt(0)
	;; [unrolled: 3-line block ×4, first 2 shown]
	v_add_f32_e32 v10, v10, v11
	ds_write_b32 v7, v10
	s_waitcnt lgkmcnt(0)
	s_barrier
	buffer_gl0_inv
	s_and_saveexec_b32 s0, vcc_lo
	s_cbranch_execz .LBB133_18
; %bb.17:
	ds_read_b32 v5, v5
	s_waitcnt lgkmcnt(0)
	ds_bpermute_b32 v1, v1, v5
	s_waitcnt lgkmcnt(0)
	v_add_f32_e32 v1, v5, v1
	ds_bpermute_b32 v3, v3, v1
	s_waitcnt lgkmcnt(0)
	v_add_f32_e32 v1, v1, v3
	;; [unrolled: 3-line block ×5, first 2 shown]
.LBB133_18:
	s_or_b32 exec_lo, exec_lo, s0
	s_barrier
	buffer_gl0_inv
	s_mov_b32 s0, exec_lo
	v_cmpx_gt_u32_e32 3, v0
	s_cbranch_execz .LBB133_20
; %bb.19:
	s_load_dwordx2 s[0:1], s[4:5], 0x38
	v_mad_u64_u32 v[3:4], null, s18, v0, s[6:7]
	v_cmp_eq_u32_e32 vcc_lo, 1, v0
	s_mul_hi_i32 s3, s22, s10
	s_mul_i32 s2, s22, s10
	s_mul_i32 s4, s26, s7
	s_lshl_b64 s[2:3], s[2:3], 2
	v_cndmask_b32_e32 v5, v2, v6, vcc_lo
	v_ashrrev_i32_e32 v4, 31, v3
	s_ashr_i32 s5, s4, 31
	v_cmp_eq_u32_e32 vcc_lo, 2, v0
	v_lshlrev_b64 v[1:2], 2, v[3:4]
	v_cndmask_b32_e32 v3, v5, v10, vcc_lo
	s_waitcnt lgkmcnt(0)
	s_add_u32 s2, s0, s2
	s_addc_u32 s3, s1, s3
	s_lshl_b64 s[0:1], s[4:5], 2
	s_add_u32 s0, s2, s0
	s_addc_u32 s1, s3, s1
	v_add_co_u32 v0, vcc_lo, s0, v1
	v_add_co_ci_u32_e64 v1, null, s1, v2, vcc_lo
	global_store_dword v[0:1], v3, off
.LBB133_20:
	s_endpgm
	.section	.rodata,"a",@progbits
	.p2align	6, 0x0
	.amdhsa_kernel _ZL13mul_mat_vec_fI6__halfS0_Li3ELi192ELb0ELb0EEvPKT_PKfPKi31ggml_cuda_mm_fusion_args_devicePfi15HIP_vector_typeIjLj3EEiiiSB_iiiSB_iiii
		.amdhsa_group_segment_fixed_size 0
		.amdhsa_private_segment_fixed_size 0
		.amdhsa_kernarg_size 144
		.amdhsa_user_sgpr_count 6
		.amdhsa_user_sgpr_private_segment_buffer 1
		.amdhsa_user_sgpr_dispatch_ptr 0
		.amdhsa_user_sgpr_queue_ptr 0
		.amdhsa_user_sgpr_kernarg_segment_ptr 1
		.amdhsa_user_sgpr_dispatch_id 0
		.amdhsa_user_sgpr_flat_scratch_init 0
		.amdhsa_user_sgpr_private_segment_size 0
		.amdhsa_wavefront_size32 1
		.amdhsa_uses_dynamic_stack 0
		.amdhsa_system_sgpr_private_segment_wavefront_offset 0
		.amdhsa_system_sgpr_workgroup_id_x 1
		.amdhsa_system_sgpr_workgroup_id_y 1
		.amdhsa_system_sgpr_workgroup_id_z 1
		.amdhsa_system_sgpr_workgroup_info 0
		.amdhsa_system_vgpr_workitem_id 0
		.amdhsa_next_free_vgpr 17
		.amdhsa_next_free_sgpr 36
		.amdhsa_reserve_vcc 1
		.amdhsa_reserve_flat_scratch 0
		.amdhsa_float_round_mode_32 0
		.amdhsa_float_round_mode_16_64 0
		.amdhsa_float_denorm_mode_32 3
		.amdhsa_float_denorm_mode_16_64 3
		.amdhsa_dx10_clamp 1
		.amdhsa_ieee_mode 1
		.amdhsa_fp16_overflow 0
		.amdhsa_workgroup_processor_mode 1
		.amdhsa_memory_ordered 1
		.amdhsa_forward_progress 1
		.amdhsa_shared_vgpr_count 0
		.amdhsa_exception_fp_ieee_invalid_op 0
		.amdhsa_exception_fp_denorm_src 0
		.amdhsa_exception_fp_ieee_div_zero 0
		.amdhsa_exception_fp_ieee_overflow 0
		.amdhsa_exception_fp_ieee_underflow 0
		.amdhsa_exception_fp_ieee_inexact 0
		.amdhsa_exception_int_div_zero 0
	.end_amdhsa_kernel
	.section	.text._ZL13mul_mat_vec_fI6__halfS0_Li3ELi192ELb0ELb0EEvPKT_PKfPKi31ggml_cuda_mm_fusion_args_devicePfi15HIP_vector_typeIjLj3EEiiiSB_iiiSB_iiii,"axG",@progbits,_ZL13mul_mat_vec_fI6__halfS0_Li3ELi192ELb0ELb0EEvPKT_PKfPKi31ggml_cuda_mm_fusion_args_devicePfi15HIP_vector_typeIjLj3EEiiiSB_iiiSB_iiii,comdat
.Lfunc_end133:
	.size	_ZL13mul_mat_vec_fI6__halfS0_Li3ELi192ELb0ELb0EEvPKT_PKfPKi31ggml_cuda_mm_fusion_args_devicePfi15HIP_vector_typeIjLj3EEiiiSB_iiiSB_iiii, .Lfunc_end133-_ZL13mul_mat_vec_fI6__halfS0_Li3ELi192ELb0ELb0EEvPKT_PKfPKi31ggml_cuda_mm_fusion_args_devicePfi15HIP_vector_typeIjLj3EEiiiSB_iiiSB_iiii
                                        ; -- End function
	.set _ZL13mul_mat_vec_fI6__halfS0_Li3ELi192ELb0ELb0EEvPKT_PKfPKi31ggml_cuda_mm_fusion_args_devicePfi15HIP_vector_typeIjLj3EEiiiSB_iiiSB_iiii.num_vgpr, 17
	.set _ZL13mul_mat_vec_fI6__halfS0_Li3ELi192ELb0ELb0EEvPKT_PKfPKi31ggml_cuda_mm_fusion_args_devicePfi15HIP_vector_typeIjLj3EEiiiSB_iiiSB_iiii.num_agpr, 0
	.set _ZL13mul_mat_vec_fI6__halfS0_Li3ELi192ELb0ELb0EEvPKT_PKfPKi31ggml_cuda_mm_fusion_args_devicePfi15HIP_vector_typeIjLj3EEiiiSB_iiiSB_iiii.numbered_sgpr, 36
	.set _ZL13mul_mat_vec_fI6__halfS0_Li3ELi192ELb0ELb0EEvPKT_PKfPKi31ggml_cuda_mm_fusion_args_devicePfi15HIP_vector_typeIjLj3EEiiiSB_iiiSB_iiii.num_named_barrier, 0
	.set _ZL13mul_mat_vec_fI6__halfS0_Li3ELi192ELb0ELb0EEvPKT_PKfPKi31ggml_cuda_mm_fusion_args_devicePfi15HIP_vector_typeIjLj3EEiiiSB_iiiSB_iiii.private_seg_size, 0
	.set _ZL13mul_mat_vec_fI6__halfS0_Li3ELi192ELb0ELb0EEvPKT_PKfPKi31ggml_cuda_mm_fusion_args_devicePfi15HIP_vector_typeIjLj3EEiiiSB_iiiSB_iiii.uses_vcc, 1
	.set _ZL13mul_mat_vec_fI6__halfS0_Li3ELi192ELb0ELb0EEvPKT_PKfPKi31ggml_cuda_mm_fusion_args_devicePfi15HIP_vector_typeIjLj3EEiiiSB_iiiSB_iiii.uses_flat_scratch, 0
	.set _ZL13mul_mat_vec_fI6__halfS0_Li3ELi192ELb0ELb0EEvPKT_PKfPKi31ggml_cuda_mm_fusion_args_devicePfi15HIP_vector_typeIjLj3EEiiiSB_iiiSB_iiii.has_dyn_sized_stack, 0
	.set _ZL13mul_mat_vec_fI6__halfS0_Li3ELi192ELb0ELb0EEvPKT_PKfPKi31ggml_cuda_mm_fusion_args_devicePfi15HIP_vector_typeIjLj3EEiiiSB_iiiSB_iiii.has_recursion, 0
	.set _ZL13mul_mat_vec_fI6__halfS0_Li3ELi192ELb0ELb0EEvPKT_PKfPKi31ggml_cuda_mm_fusion_args_devicePfi15HIP_vector_typeIjLj3EEiiiSB_iiiSB_iiii.has_indirect_call, 0
	.section	.AMDGPU.csdata,"",@progbits
; Kernel info:
; codeLenInByte = 1708
; TotalNumSgprs: 38
; NumVgprs: 17
; ScratchSize: 0
; MemoryBound: 0
; FloatMode: 240
; IeeeMode: 1
; LDSByteSize: 0 bytes/workgroup (compile time only)
; SGPRBlocks: 0
; VGPRBlocks: 2
; NumSGPRsForWavesPerEU: 38
; NumVGPRsForWavesPerEU: 17
; Occupancy: 16
; WaveLimiterHint : 0
; COMPUTE_PGM_RSRC2:SCRATCH_EN: 0
; COMPUTE_PGM_RSRC2:USER_SGPR: 6
; COMPUTE_PGM_RSRC2:TRAP_HANDLER: 0
; COMPUTE_PGM_RSRC2:TGID_X_EN: 1
; COMPUTE_PGM_RSRC2:TGID_Y_EN: 1
; COMPUTE_PGM_RSRC2:TGID_Z_EN: 1
; COMPUTE_PGM_RSRC2:TIDIG_COMP_CNT: 0
	.section	.text._ZL13mul_mat_vec_fI6__halfS0_Li3ELi224ELb0ELb0EEvPKT_PKfPKi31ggml_cuda_mm_fusion_args_devicePfi15HIP_vector_typeIjLj3EEiiiSB_iiiSB_iiii,"axG",@progbits,_ZL13mul_mat_vec_fI6__halfS0_Li3ELi224ELb0ELb0EEvPKT_PKfPKi31ggml_cuda_mm_fusion_args_devicePfi15HIP_vector_typeIjLj3EEiiiSB_iiiSB_iiii,comdat
	.globl	_ZL13mul_mat_vec_fI6__halfS0_Li3ELi224ELb0ELb0EEvPKT_PKfPKi31ggml_cuda_mm_fusion_args_devicePfi15HIP_vector_typeIjLj3EEiiiSB_iiiSB_iiii ; -- Begin function _ZL13mul_mat_vec_fI6__halfS0_Li3ELi224ELb0ELb0EEvPKT_PKfPKi31ggml_cuda_mm_fusion_args_devicePfi15HIP_vector_typeIjLj3EEiiiSB_iiiSB_iiii
	.p2align	8
	.type	_ZL13mul_mat_vec_fI6__halfS0_Li3ELi224ELb0ELb0EEvPKT_PKfPKi31ggml_cuda_mm_fusion_args_devicePfi15HIP_vector_typeIjLj3EEiiiSB_iiiSB_iiii,@function
_ZL13mul_mat_vec_fI6__halfS0_Li3ELi224ELb0ELb0EEvPKT_PKfPKi31ggml_cuda_mm_fusion_args_devicePfi15HIP_vector_typeIjLj3EEiiiSB_iiiSB_iiii: ; @_ZL13mul_mat_vec_fI6__halfS0_Li3ELi224ELb0ELb0EEvPKT_PKfPKi31ggml_cuda_mm_fusion_args_devicePfi15HIP_vector_typeIjLj3EEiiiSB_iiiSB_iiii
; %bb.0:
	s_clause 0x2
	s_load_dwordx2 s[0:1], s[4:5], 0x10
	s_load_dwordx8 s[12:19], s[4:5], 0x40
	s_load_dwordx4 s[20:23], s[4:5], 0x80
	s_waitcnt lgkmcnt(0)
	s_cmp_eq_u64 s[0:1], 0
	s_cselect_b32 s10, -1, 0
	s_cmp_lg_u64 s[0:1], 0
	s_cselect_b32 s9, -1, 0
	s_and_b32 vcc_lo, exec_lo, s10
	s_cbranch_vccnz .LBB134_2
; %bb.1:
	s_mul_i32 s2, s23, s8
	s_mov_b32 s3, 0
	s_add_i32 s2, s2, s7
	s_lshl_b64 s[24:25], s[2:3], 2
	s_add_u32 s0, s0, s24
	s_addc_u32 s1, s1, s25
	s_load_dword s19, s[0:1], 0x0
	s_cbranch_execz .LBB134_3
	s_branch .LBB134_4
.LBB134_2:
                                        ; implicit-def: $sgpr19
.LBB134_3:
	s_load_dwordx2 s[0:1], s[4:5], 0x5c
	s_waitcnt lgkmcnt(0)
	s_mul_hi_u32 s0, s0, s7
	s_add_i32 s0, s7, s0
	s_lshr_b32 s19, s0, s1
.LBB134_4:
	s_load_dwordx4 s[24:27], s[4:5], 0x68
	s_andn2_b32 vcc_lo, exec_lo, s9
	s_mov_b32 s23, s7
	s_cbranch_vccnz .LBB134_6
; %bb.5:
	s_mul_hi_u32 s0, s13, s7
	s_add_i32 s0, s7, s0
	s_lshr_b32 s0, s0, s14
	s_mul_i32 s0, s0, s15
	s_sub_i32 s23, s7, s0
.LBB134_6:
	s_load_dword s9, s[4:5], 0x78
	v_cmp_gt_u32_e32 vcc_lo, 32, v0
	v_lshl_add_u32 v5, v0, 2, 0
	s_and_saveexec_b32 s0, vcc_lo
; %bb.7:
	v_mov_b32_e32 v1, 0
	ds_write_b32 v5, v1
; %bb.8:
	s_or_b32 exec_lo, exec_lo, s0
	v_mov_b32_e32 v8, 0
	v_mov_b32_e32 v7, 0
	;; [unrolled: 1-line block ×3, first 2 shown]
	s_and_b32 s0, exec_lo, s10
	s_cselect_b32 s10, s8, 0
	s_mov_b32 s11, exec_lo
	s_waitcnt lgkmcnt(0)
	s_barrier
	buffer_gl0_inv
	v_cmpx_gt_i32_e64 s12, v0
	s_cbranch_execz .LBB134_12
; %bb.9:
	s_load_dwordx4 s[0:3], s[4:5], 0x0
	s_mul_hi_u32 s13, s27, s10
	s_mul_hi_i32 s15, s21, s10
	s_mul_i32 s14, s21, s10
	s_mul_i32 s24, s19, s24
	;; [unrolled: 1-line block ×4, first 2 shown]
	s_add_i32 s13, s10, s13
	s_lshl_b64 s[34:35], s[14:15], 2
	s_ashr_i32 s25, s24, 31
	s_ashr_i32 s29, s28, 31
	;; [unrolled: 1-line block ×3, first 2 shown]
	s_lshr_b32 s9, s13, s9
	s_mov_b32 s8, s17
	s_mul_hi_i32 s21, s9, s20
	s_mul_i32 s20, s9, s20
	v_lshlrev_b32_e32 v2, 3, v0
	v_lshlrev_b32_e32 v1, 2, v0
	v_mov_b32_e32 v6, 0
	v_mov_b32_e32 v7, 0
	s_waitcnt lgkmcnt(0)
	s_add_u32 s13, s2, s34
	s_addc_u32 s14, s3, s35
	s_lshl_b64 s[30:31], s[30:31], 2
	v_mov_b32_e32 v8, 0
	s_add_u32 s13, s13, s30
	s_addc_u32 s14, s14, s31
	s_ashr_i32 s9, s17, 31
	s_add_i32 s15, s17, s17
	s_lshl_b64 s[16:17], s[20:21], 1
	s_lshl_b64 s[20:21], s[24:25], 1
	;; [unrolled: 1-line block ×3, first 2 shown]
	s_add_u32 s0, s0, s20
	s_addc_u32 s1, s1, s21
	s_add_u32 s0, s0, s24
	s_addc_u32 s1, s1, s25
	s_add_u32 s0, s0, s16
	s_addc_u32 s1, s1, s17
	s_lshl_b64 s[8:9], s[8:9], 3
	s_add_u32 s2, s2, s30
	s_addc_u32 s3, s3, s31
	s_add_u32 s2, s2, s34
	s_addc_u32 s3, s3, s35
	v_add_co_u32 v3, s2, s2, v2
	v_add_co_ci_u32_e64 v4, null, s3, 0, s2
	v_add_co_u32 v1, s0, s0, v1
	v_add_co_ci_u32_e64 v2, null, s1, 0, s0
	;; [unrolled: 2-line block ×3, first 2 shown]
	v_mov_b32_e32 v9, v0
	s_mov_b32 s1, 0
.LBB134_10:                             ; =>This Inner Loop Header: Depth=1
	v_add_nc_u32_e32 v12, s15, v9
	v_add_co_u32 v14, s0, v3, s8
	v_add_co_ci_u32_e64 v15, null, s9, v4, s0
	v_ashrrev_i32_e32 v13, 31, v12
	global_load_dwordx2 v[10:11], v[3:4], off offset:-4
	v_add_nc_u32_e32 v9, 0xe0, v9
	v_lshlrev_b64 v[12:13], 3, v[12:13]
	v_add_co_u32 v12, s0, s13, v12
	v_add_co_ci_u32_e64 v13, null, s14, v13, s0
	global_load_dwordx2 v[14:15], v[14:15], off offset:-4
	global_load_dwordx2 v[12:13], v[12:13], off
	global_load_dword v16, v[1:2], off
	v_add_co_u32 v1, s0, 0x380, v1
	v_add_co_ci_u32_e64 v2, null, 0, v2, s0
	v_add_co_u32 v3, s0, 0x700, v3
	v_add_co_ci_u32_e64 v4, null, 0, v4, s0
	v_cmp_le_i32_e64 s0, s12, v9
	s_or_b32 s1, s0, s1
	s_waitcnt vmcnt(3)
	v_cvt_f16_f32_e32 v10, v10
	v_cvt_f16_f32_e32 v11, v11
	v_pack_b32_f16 v10, v10, v11
	s_waitcnt vmcnt(2)
	v_cvt_f16_f32_e32 v14, v14
	v_cvt_f16_f32_e32 v15, v15
	s_waitcnt vmcnt(1)
	v_cvt_f16_f32_e32 v12, v12
	v_cvt_f16_f32_e32 v13, v13
	s_waitcnt vmcnt(0)
	v_pk_fma_f16 v8, v16, v10, v8
	v_pack_b32_f16 v11, v14, v15
	v_pack_b32_f16 v12, v12, v13
	v_pk_fma_f16 v7, v16, v11, v7
	v_pk_fma_f16 v6, v16, v12, v6
	s_andn2_b32 exec_lo, exec_lo, s1
	s_cbranch_execnz .LBB134_10
; %bb.11:
	s_or_b32 exec_lo, exec_lo, s1
.LBB134_12:
	s_or_b32 exec_lo, exec_lo, s11
	v_mbcnt_lo_u32_b32 v2, -1, 0
	v_cvt_f32_f16_e32 v3, v8
	v_cvt_f32_f16_sdwa v4, v8 dst_sel:DWORD dst_unused:UNUSED_PAD src0_sel:WORD_1
	v_cvt_f32_f16_e32 v12, v7
	v_cvt_f32_f16_sdwa v13, v7 dst_sel:DWORD dst_unused:UNUSED_PAD src0_sel:WORD_1
	v_xor_b32_e32 v1, 16, v2
	v_add_f32_e32 v4, v3, v4
	v_xor_b32_e32 v3, 8, v2
	v_cmp_gt_i32_e64 s0, 32, v1
	v_cndmask_b32_e64 v1, v2, v1, s0
	v_cmp_gt_i32_e64 s0, 32, v3
	v_lshlrev_b32_e32 v1, 2, v1
	v_cndmask_b32_e64 v3, v2, v3, s0
	ds_bpermute_b32 v8, v1, v4
	v_lshlrev_b32_e32 v3, 2, v3
	s_waitcnt lgkmcnt(0)
	v_add_f32_e32 v8, v4, v8
	v_xor_b32_e32 v4, 4, v2
	ds_bpermute_b32 v9, v3, v8
	v_cmp_gt_i32_e64 s0, 32, v4
	v_cndmask_b32_e64 v4, v2, v4, s0
	v_lshlrev_b32_e32 v4, 2, v4
	s_waitcnt lgkmcnt(0)
	v_add_f32_e32 v9, v8, v9
	v_xor_b32_e32 v8, 2, v2
	ds_bpermute_b32 v10, v4, v9
	v_cmp_gt_i32_e64 s0, 32, v8
	v_cndmask_b32_e64 v8, v2, v8, s0
	;; [unrolled: 7-line block ×3, first 2 shown]
	v_lshlrev_b32_e32 v9, 2, v2
	s_waitcnt lgkmcnt(0)
	v_add_f32_e32 v2, v10, v11
	v_lshrrev_b32_e32 v11, 3, v0
	ds_bpermute_b32 v10, v9, v2
	v_and_b32_e32 v11, 0x7c, v11
	v_add_nc_u32_e32 v7, 0, v11
	v_cvt_f32_f16_sdwa v11, v6 dst_sel:DWORD dst_unused:UNUSED_PAD src0_sel:WORD_1
	s_waitcnt lgkmcnt(0)
	v_add_f32_e32 v2, v2, v10
	v_cvt_f32_f16_e32 v10, v6
	v_add_f32_e32 v6, v12, v13
	ds_write_b32 v7, v2
	s_waitcnt lgkmcnt(0)
	s_barrier
	buffer_gl0_inv
	s_and_saveexec_b32 s0, vcc_lo
	s_cbranch_execz .LBB134_14
; %bb.13:
	ds_read_b32 v2, v5
	s_waitcnt lgkmcnt(0)
	ds_bpermute_b32 v12, v1, v2
	s_waitcnt lgkmcnt(0)
	v_add_f32_e32 v2, v2, v12
	ds_bpermute_b32 v12, v3, v2
	s_waitcnt lgkmcnt(0)
	v_add_f32_e32 v2, v2, v12
	;; [unrolled: 3-line block ×5, first 2 shown]
.LBB134_14:
	s_or_b32 exec_lo, exec_lo, s0
	ds_bpermute_b32 v12, v1, v6
	v_add_f32_e32 v10, v10, v11
	s_waitcnt lgkmcnt(0)
	s_barrier
	buffer_gl0_inv
	v_add_f32_e32 v6, v6, v12
	ds_bpermute_b32 v12, v3, v6
	s_waitcnt lgkmcnt(0)
	v_add_f32_e32 v6, v6, v12
	ds_bpermute_b32 v12, v4, v6
	s_waitcnt lgkmcnt(0)
	;; [unrolled: 3-line block ×4, first 2 shown]
	v_add_f32_e32 v6, v6, v12
	ds_write_b32 v7, v6
	s_waitcnt lgkmcnt(0)
	s_barrier
	buffer_gl0_inv
	s_and_saveexec_b32 s0, vcc_lo
	s_cbranch_execz .LBB134_16
; %bb.15:
	ds_read_b32 v6, v5
	s_waitcnt lgkmcnt(0)
	ds_bpermute_b32 v11, v1, v6
	s_waitcnt lgkmcnt(0)
	v_add_f32_e32 v6, v6, v11
	ds_bpermute_b32 v11, v3, v6
	s_waitcnt lgkmcnt(0)
	v_add_f32_e32 v6, v6, v11
	;; [unrolled: 3-line block ×5, first 2 shown]
.LBB134_16:
	s_or_b32 exec_lo, exec_lo, s0
	ds_bpermute_b32 v11, v1, v10
	s_waitcnt lgkmcnt(0)
	s_barrier
	buffer_gl0_inv
	v_add_f32_e32 v10, v10, v11
	ds_bpermute_b32 v11, v3, v10
	s_waitcnt lgkmcnt(0)
	v_add_f32_e32 v10, v10, v11
	ds_bpermute_b32 v11, v4, v10
	s_waitcnt lgkmcnt(0)
	;; [unrolled: 3-line block ×4, first 2 shown]
	v_add_f32_e32 v10, v10, v11
	ds_write_b32 v7, v10
	s_waitcnt lgkmcnt(0)
	s_barrier
	buffer_gl0_inv
	s_and_saveexec_b32 s0, vcc_lo
	s_cbranch_execz .LBB134_18
; %bb.17:
	ds_read_b32 v5, v5
	s_waitcnt lgkmcnt(0)
	ds_bpermute_b32 v1, v1, v5
	s_waitcnt lgkmcnt(0)
	v_add_f32_e32 v1, v5, v1
	ds_bpermute_b32 v3, v3, v1
	s_waitcnt lgkmcnt(0)
	v_add_f32_e32 v1, v1, v3
	;; [unrolled: 3-line block ×5, first 2 shown]
.LBB134_18:
	s_or_b32 exec_lo, exec_lo, s0
	s_barrier
	buffer_gl0_inv
	s_mov_b32 s0, exec_lo
	v_cmpx_gt_u32_e32 3, v0
	s_cbranch_execz .LBB134_20
; %bb.19:
	s_load_dwordx2 s[0:1], s[4:5], 0x38
	v_mad_u64_u32 v[3:4], null, s18, v0, s[6:7]
	v_cmp_eq_u32_e32 vcc_lo, 1, v0
	s_mul_hi_i32 s3, s22, s10
	s_mul_i32 s2, s22, s10
	s_mul_i32 s4, s26, s7
	s_lshl_b64 s[2:3], s[2:3], 2
	v_cndmask_b32_e32 v5, v2, v6, vcc_lo
	v_ashrrev_i32_e32 v4, 31, v3
	s_ashr_i32 s5, s4, 31
	v_cmp_eq_u32_e32 vcc_lo, 2, v0
	v_lshlrev_b64 v[1:2], 2, v[3:4]
	v_cndmask_b32_e32 v3, v5, v10, vcc_lo
	s_waitcnt lgkmcnt(0)
	s_add_u32 s2, s0, s2
	s_addc_u32 s3, s1, s3
	s_lshl_b64 s[0:1], s[4:5], 2
	s_add_u32 s0, s2, s0
	s_addc_u32 s1, s3, s1
	v_add_co_u32 v0, vcc_lo, s0, v1
	v_add_co_ci_u32_e64 v1, null, s1, v2, vcc_lo
	global_store_dword v[0:1], v3, off
.LBB134_20:
	s_endpgm
	.section	.rodata,"a",@progbits
	.p2align	6, 0x0
	.amdhsa_kernel _ZL13mul_mat_vec_fI6__halfS0_Li3ELi224ELb0ELb0EEvPKT_PKfPKi31ggml_cuda_mm_fusion_args_devicePfi15HIP_vector_typeIjLj3EEiiiSB_iiiSB_iiii
		.amdhsa_group_segment_fixed_size 0
		.amdhsa_private_segment_fixed_size 0
		.amdhsa_kernarg_size 144
		.amdhsa_user_sgpr_count 6
		.amdhsa_user_sgpr_private_segment_buffer 1
		.amdhsa_user_sgpr_dispatch_ptr 0
		.amdhsa_user_sgpr_queue_ptr 0
		.amdhsa_user_sgpr_kernarg_segment_ptr 1
		.amdhsa_user_sgpr_dispatch_id 0
		.amdhsa_user_sgpr_flat_scratch_init 0
		.amdhsa_user_sgpr_private_segment_size 0
		.amdhsa_wavefront_size32 1
		.amdhsa_uses_dynamic_stack 0
		.amdhsa_system_sgpr_private_segment_wavefront_offset 0
		.amdhsa_system_sgpr_workgroup_id_x 1
		.amdhsa_system_sgpr_workgroup_id_y 1
		.amdhsa_system_sgpr_workgroup_id_z 1
		.amdhsa_system_sgpr_workgroup_info 0
		.amdhsa_system_vgpr_workitem_id 0
		.amdhsa_next_free_vgpr 17
		.amdhsa_next_free_sgpr 36
		.amdhsa_reserve_vcc 1
		.amdhsa_reserve_flat_scratch 0
		.amdhsa_float_round_mode_32 0
		.amdhsa_float_round_mode_16_64 0
		.amdhsa_float_denorm_mode_32 3
		.amdhsa_float_denorm_mode_16_64 3
		.amdhsa_dx10_clamp 1
		.amdhsa_ieee_mode 1
		.amdhsa_fp16_overflow 0
		.amdhsa_workgroup_processor_mode 1
		.amdhsa_memory_ordered 1
		.amdhsa_forward_progress 1
		.amdhsa_shared_vgpr_count 0
		.amdhsa_exception_fp_ieee_invalid_op 0
		.amdhsa_exception_fp_denorm_src 0
		.amdhsa_exception_fp_ieee_div_zero 0
		.amdhsa_exception_fp_ieee_overflow 0
		.amdhsa_exception_fp_ieee_underflow 0
		.amdhsa_exception_fp_ieee_inexact 0
		.amdhsa_exception_int_div_zero 0
	.end_amdhsa_kernel
	.section	.text._ZL13mul_mat_vec_fI6__halfS0_Li3ELi224ELb0ELb0EEvPKT_PKfPKi31ggml_cuda_mm_fusion_args_devicePfi15HIP_vector_typeIjLj3EEiiiSB_iiiSB_iiii,"axG",@progbits,_ZL13mul_mat_vec_fI6__halfS0_Li3ELi224ELb0ELb0EEvPKT_PKfPKi31ggml_cuda_mm_fusion_args_devicePfi15HIP_vector_typeIjLj3EEiiiSB_iiiSB_iiii,comdat
.Lfunc_end134:
	.size	_ZL13mul_mat_vec_fI6__halfS0_Li3ELi224ELb0ELb0EEvPKT_PKfPKi31ggml_cuda_mm_fusion_args_devicePfi15HIP_vector_typeIjLj3EEiiiSB_iiiSB_iiii, .Lfunc_end134-_ZL13mul_mat_vec_fI6__halfS0_Li3ELi224ELb0ELb0EEvPKT_PKfPKi31ggml_cuda_mm_fusion_args_devicePfi15HIP_vector_typeIjLj3EEiiiSB_iiiSB_iiii
                                        ; -- End function
	.set _ZL13mul_mat_vec_fI6__halfS0_Li3ELi224ELb0ELb0EEvPKT_PKfPKi31ggml_cuda_mm_fusion_args_devicePfi15HIP_vector_typeIjLj3EEiiiSB_iiiSB_iiii.num_vgpr, 17
	.set _ZL13mul_mat_vec_fI6__halfS0_Li3ELi224ELb0ELb0EEvPKT_PKfPKi31ggml_cuda_mm_fusion_args_devicePfi15HIP_vector_typeIjLj3EEiiiSB_iiiSB_iiii.num_agpr, 0
	.set _ZL13mul_mat_vec_fI6__halfS0_Li3ELi224ELb0ELb0EEvPKT_PKfPKi31ggml_cuda_mm_fusion_args_devicePfi15HIP_vector_typeIjLj3EEiiiSB_iiiSB_iiii.numbered_sgpr, 36
	.set _ZL13mul_mat_vec_fI6__halfS0_Li3ELi224ELb0ELb0EEvPKT_PKfPKi31ggml_cuda_mm_fusion_args_devicePfi15HIP_vector_typeIjLj3EEiiiSB_iiiSB_iiii.num_named_barrier, 0
	.set _ZL13mul_mat_vec_fI6__halfS0_Li3ELi224ELb0ELb0EEvPKT_PKfPKi31ggml_cuda_mm_fusion_args_devicePfi15HIP_vector_typeIjLj3EEiiiSB_iiiSB_iiii.private_seg_size, 0
	.set _ZL13mul_mat_vec_fI6__halfS0_Li3ELi224ELb0ELb0EEvPKT_PKfPKi31ggml_cuda_mm_fusion_args_devicePfi15HIP_vector_typeIjLj3EEiiiSB_iiiSB_iiii.uses_vcc, 1
	.set _ZL13mul_mat_vec_fI6__halfS0_Li3ELi224ELb0ELb0EEvPKT_PKfPKi31ggml_cuda_mm_fusion_args_devicePfi15HIP_vector_typeIjLj3EEiiiSB_iiiSB_iiii.uses_flat_scratch, 0
	.set _ZL13mul_mat_vec_fI6__halfS0_Li3ELi224ELb0ELb0EEvPKT_PKfPKi31ggml_cuda_mm_fusion_args_devicePfi15HIP_vector_typeIjLj3EEiiiSB_iiiSB_iiii.has_dyn_sized_stack, 0
	.set _ZL13mul_mat_vec_fI6__halfS0_Li3ELi224ELb0ELb0EEvPKT_PKfPKi31ggml_cuda_mm_fusion_args_devicePfi15HIP_vector_typeIjLj3EEiiiSB_iiiSB_iiii.has_recursion, 0
	.set _ZL13mul_mat_vec_fI6__halfS0_Li3ELi224ELb0ELb0EEvPKT_PKfPKi31ggml_cuda_mm_fusion_args_devicePfi15HIP_vector_typeIjLj3EEiiiSB_iiiSB_iiii.has_indirect_call, 0
	.section	.AMDGPU.csdata,"",@progbits
; Kernel info:
; codeLenInByte = 1708
; TotalNumSgprs: 38
; NumVgprs: 17
; ScratchSize: 0
; MemoryBound: 0
; FloatMode: 240
; IeeeMode: 1
; LDSByteSize: 0 bytes/workgroup (compile time only)
; SGPRBlocks: 0
; VGPRBlocks: 2
; NumSGPRsForWavesPerEU: 38
; NumVGPRsForWavesPerEU: 17
; Occupancy: 16
; WaveLimiterHint : 0
; COMPUTE_PGM_RSRC2:SCRATCH_EN: 0
; COMPUTE_PGM_RSRC2:USER_SGPR: 6
; COMPUTE_PGM_RSRC2:TRAP_HANDLER: 0
; COMPUTE_PGM_RSRC2:TGID_X_EN: 1
; COMPUTE_PGM_RSRC2:TGID_Y_EN: 1
; COMPUTE_PGM_RSRC2:TGID_Z_EN: 1
; COMPUTE_PGM_RSRC2:TIDIG_COMP_CNT: 0
	.section	.text._ZL13mul_mat_vec_fI6__halfS0_Li3ELi256ELb0ELb0EEvPKT_PKfPKi31ggml_cuda_mm_fusion_args_devicePfi15HIP_vector_typeIjLj3EEiiiSB_iiiSB_iiii,"axG",@progbits,_ZL13mul_mat_vec_fI6__halfS0_Li3ELi256ELb0ELb0EEvPKT_PKfPKi31ggml_cuda_mm_fusion_args_devicePfi15HIP_vector_typeIjLj3EEiiiSB_iiiSB_iiii,comdat
	.globl	_ZL13mul_mat_vec_fI6__halfS0_Li3ELi256ELb0ELb0EEvPKT_PKfPKi31ggml_cuda_mm_fusion_args_devicePfi15HIP_vector_typeIjLj3EEiiiSB_iiiSB_iiii ; -- Begin function _ZL13mul_mat_vec_fI6__halfS0_Li3ELi256ELb0ELb0EEvPKT_PKfPKi31ggml_cuda_mm_fusion_args_devicePfi15HIP_vector_typeIjLj3EEiiiSB_iiiSB_iiii
	.p2align	8
	.type	_ZL13mul_mat_vec_fI6__halfS0_Li3ELi256ELb0ELb0EEvPKT_PKfPKi31ggml_cuda_mm_fusion_args_devicePfi15HIP_vector_typeIjLj3EEiiiSB_iiiSB_iiii,@function
_ZL13mul_mat_vec_fI6__halfS0_Li3ELi256ELb0ELb0EEvPKT_PKfPKi31ggml_cuda_mm_fusion_args_devicePfi15HIP_vector_typeIjLj3EEiiiSB_iiiSB_iiii: ; @_ZL13mul_mat_vec_fI6__halfS0_Li3ELi256ELb0ELb0EEvPKT_PKfPKi31ggml_cuda_mm_fusion_args_devicePfi15HIP_vector_typeIjLj3EEiiiSB_iiiSB_iiii
; %bb.0:
	s_clause 0x2
	s_load_dwordx2 s[0:1], s[4:5], 0x10
	s_load_dwordx8 s[12:19], s[4:5], 0x40
	s_load_dwordx4 s[20:23], s[4:5], 0x80
	s_waitcnt lgkmcnt(0)
	s_cmp_eq_u64 s[0:1], 0
	s_cselect_b32 s10, -1, 0
	s_cmp_lg_u64 s[0:1], 0
	s_cselect_b32 s9, -1, 0
	s_and_b32 vcc_lo, exec_lo, s10
	s_cbranch_vccnz .LBB135_2
; %bb.1:
	s_mul_i32 s2, s23, s8
	s_mov_b32 s3, 0
	s_add_i32 s2, s2, s7
	s_lshl_b64 s[24:25], s[2:3], 2
	s_add_u32 s0, s0, s24
	s_addc_u32 s1, s1, s25
	s_load_dword s19, s[0:1], 0x0
	s_cbranch_execz .LBB135_3
	s_branch .LBB135_4
.LBB135_2:
                                        ; implicit-def: $sgpr19
.LBB135_3:
	s_load_dwordx2 s[0:1], s[4:5], 0x5c
	s_waitcnt lgkmcnt(0)
	s_mul_hi_u32 s0, s0, s7
	s_add_i32 s0, s7, s0
	s_lshr_b32 s19, s0, s1
.LBB135_4:
	s_load_dwordx4 s[24:27], s[4:5], 0x68
	s_andn2_b32 vcc_lo, exec_lo, s9
	s_mov_b32 s23, s7
	s_cbranch_vccnz .LBB135_6
; %bb.5:
	s_mul_hi_u32 s0, s13, s7
	s_add_i32 s0, s7, s0
	s_lshr_b32 s0, s0, s14
	s_mul_i32 s0, s0, s15
	s_sub_i32 s23, s7, s0
.LBB135_6:
	s_load_dword s9, s[4:5], 0x78
	v_cmp_gt_u32_e32 vcc_lo, 32, v0
	v_lshl_add_u32 v5, v0, 2, 0
	s_and_saveexec_b32 s0, vcc_lo
; %bb.7:
	v_mov_b32_e32 v1, 0
	ds_write_b32 v5, v1
; %bb.8:
	s_or_b32 exec_lo, exec_lo, s0
	v_mov_b32_e32 v8, 0
	v_mov_b32_e32 v7, 0
	;; [unrolled: 1-line block ×3, first 2 shown]
	s_and_b32 s0, exec_lo, s10
	s_cselect_b32 s10, s8, 0
	s_mov_b32 s11, exec_lo
	s_waitcnt lgkmcnt(0)
	s_barrier
	buffer_gl0_inv
	v_cmpx_gt_i32_e64 s12, v0
	s_cbranch_execz .LBB135_12
; %bb.9:
	s_load_dwordx4 s[0:3], s[4:5], 0x0
	s_mul_hi_u32 s13, s27, s10
	s_mul_hi_i32 s15, s21, s10
	s_mul_i32 s14, s21, s10
	s_mul_i32 s24, s19, s24
	;; [unrolled: 1-line block ×4, first 2 shown]
	s_add_i32 s13, s10, s13
	s_lshl_b64 s[34:35], s[14:15], 2
	s_ashr_i32 s25, s24, 31
	s_ashr_i32 s29, s28, 31
	s_ashr_i32 s31, s30, 31
	s_lshr_b32 s9, s13, s9
	s_mov_b32 s8, s17
	s_mul_hi_i32 s21, s9, s20
	s_mul_i32 s20, s9, s20
	v_lshlrev_b32_e32 v2, 3, v0
	v_lshlrev_b32_e32 v1, 2, v0
	v_mov_b32_e32 v6, 0
	v_mov_b32_e32 v7, 0
	s_waitcnt lgkmcnt(0)
	s_add_u32 s13, s2, s34
	s_addc_u32 s14, s3, s35
	s_lshl_b64 s[30:31], s[30:31], 2
	v_mov_b32_e32 v8, 0
	s_add_u32 s13, s13, s30
	s_addc_u32 s14, s14, s31
	s_ashr_i32 s9, s17, 31
	s_add_i32 s15, s17, s17
	s_lshl_b64 s[16:17], s[20:21], 1
	s_lshl_b64 s[20:21], s[24:25], 1
	;; [unrolled: 1-line block ×3, first 2 shown]
	s_add_u32 s0, s0, s20
	s_addc_u32 s1, s1, s21
	s_add_u32 s0, s0, s24
	s_addc_u32 s1, s1, s25
	;; [unrolled: 2-line block ×3, first 2 shown]
	s_lshl_b64 s[8:9], s[8:9], 3
	s_add_u32 s2, s2, s30
	s_addc_u32 s3, s3, s31
	s_add_u32 s2, s2, s34
	s_addc_u32 s3, s3, s35
	v_add_co_u32 v3, s2, s2, v2
	v_add_co_ci_u32_e64 v4, null, s3, 0, s2
	v_add_co_u32 v1, s0, s0, v1
	v_add_co_ci_u32_e64 v2, null, s1, 0, s0
	;; [unrolled: 2-line block ×3, first 2 shown]
	v_mov_b32_e32 v9, v0
	s_mov_b32 s1, 0
.LBB135_10:                             ; =>This Inner Loop Header: Depth=1
	v_add_nc_u32_e32 v12, s15, v9
	v_add_co_u32 v14, s0, v3, s8
	v_add_co_ci_u32_e64 v15, null, s9, v4, s0
	v_ashrrev_i32_e32 v13, 31, v12
	global_load_dwordx2 v[10:11], v[3:4], off offset:-4
	v_add_nc_u32_e32 v9, 0x100, v9
	v_lshlrev_b64 v[12:13], 3, v[12:13]
	v_add_co_u32 v12, s0, s13, v12
	v_add_co_ci_u32_e64 v13, null, s14, v13, s0
	global_load_dwordx2 v[14:15], v[14:15], off offset:-4
	global_load_dwordx2 v[12:13], v[12:13], off
	global_load_dword v16, v[1:2], off
	v_add_co_u32 v1, s0, 0x400, v1
	v_add_co_ci_u32_e64 v2, null, 0, v2, s0
	v_add_co_u32 v3, s0, 0x800, v3
	v_add_co_ci_u32_e64 v4, null, 0, v4, s0
	v_cmp_le_i32_e64 s0, s12, v9
	s_or_b32 s1, s0, s1
	s_waitcnt vmcnt(3)
	v_cvt_f16_f32_e32 v10, v10
	v_cvt_f16_f32_e32 v11, v11
	v_pack_b32_f16 v10, v10, v11
	s_waitcnt vmcnt(2)
	v_cvt_f16_f32_e32 v14, v14
	v_cvt_f16_f32_e32 v15, v15
	s_waitcnt vmcnt(1)
	v_cvt_f16_f32_e32 v12, v12
	v_cvt_f16_f32_e32 v13, v13
	s_waitcnt vmcnt(0)
	v_pk_fma_f16 v8, v16, v10, v8
	v_pack_b32_f16 v11, v14, v15
	v_pack_b32_f16 v12, v12, v13
	v_pk_fma_f16 v7, v16, v11, v7
	v_pk_fma_f16 v6, v16, v12, v6
	s_andn2_b32 exec_lo, exec_lo, s1
	s_cbranch_execnz .LBB135_10
; %bb.11:
	s_or_b32 exec_lo, exec_lo, s1
.LBB135_12:
	s_or_b32 exec_lo, exec_lo, s11
	v_mbcnt_lo_u32_b32 v2, -1, 0
	v_cvt_f32_f16_e32 v3, v8
	v_cvt_f32_f16_sdwa v4, v8 dst_sel:DWORD dst_unused:UNUSED_PAD src0_sel:WORD_1
	v_cvt_f32_f16_e32 v12, v7
	v_cvt_f32_f16_sdwa v13, v7 dst_sel:DWORD dst_unused:UNUSED_PAD src0_sel:WORD_1
	v_xor_b32_e32 v1, 16, v2
	v_add_f32_e32 v4, v3, v4
	v_xor_b32_e32 v3, 8, v2
	v_cmp_gt_i32_e64 s0, 32, v1
	v_cndmask_b32_e64 v1, v2, v1, s0
	v_cmp_gt_i32_e64 s0, 32, v3
	v_lshlrev_b32_e32 v1, 2, v1
	v_cndmask_b32_e64 v3, v2, v3, s0
	ds_bpermute_b32 v8, v1, v4
	v_lshlrev_b32_e32 v3, 2, v3
	s_waitcnt lgkmcnt(0)
	v_add_f32_e32 v8, v4, v8
	v_xor_b32_e32 v4, 4, v2
	ds_bpermute_b32 v9, v3, v8
	v_cmp_gt_i32_e64 s0, 32, v4
	v_cndmask_b32_e64 v4, v2, v4, s0
	v_lshlrev_b32_e32 v4, 2, v4
	s_waitcnt lgkmcnt(0)
	v_add_f32_e32 v9, v8, v9
	v_xor_b32_e32 v8, 2, v2
	ds_bpermute_b32 v10, v4, v9
	v_cmp_gt_i32_e64 s0, 32, v8
	v_cndmask_b32_e64 v8, v2, v8, s0
	v_lshlrev_b32_e32 v8, 2, v8
	s_waitcnt lgkmcnt(0)
	v_add_f32_e32 v10, v9, v10
	v_xor_b32_e32 v9, 1, v2
	ds_bpermute_b32 v11, v8, v10
	v_cmp_gt_i32_e64 s0, 32, v9
	v_cndmask_b32_e64 v2, v2, v9, s0
	v_lshlrev_b32_e32 v9, 2, v2
	s_waitcnt lgkmcnt(0)
	v_add_f32_e32 v2, v10, v11
	v_lshrrev_b32_e32 v11, 3, v0
	ds_bpermute_b32 v10, v9, v2
	v_and_b32_e32 v11, 0x7c, v11
	v_add_nc_u32_e32 v7, 0, v11
	v_cvt_f32_f16_sdwa v11, v6 dst_sel:DWORD dst_unused:UNUSED_PAD src0_sel:WORD_1
	s_waitcnt lgkmcnt(0)
	v_add_f32_e32 v2, v2, v10
	v_cvt_f32_f16_e32 v10, v6
	v_add_f32_e32 v6, v12, v13
	ds_write_b32 v7, v2
	s_waitcnt lgkmcnt(0)
	s_barrier
	buffer_gl0_inv
	s_and_saveexec_b32 s0, vcc_lo
	s_cbranch_execz .LBB135_14
; %bb.13:
	ds_read_b32 v2, v5
	s_waitcnt lgkmcnt(0)
	ds_bpermute_b32 v12, v1, v2
	s_waitcnt lgkmcnt(0)
	v_add_f32_e32 v2, v2, v12
	ds_bpermute_b32 v12, v3, v2
	s_waitcnt lgkmcnt(0)
	v_add_f32_e32 v2, v2, v12
	;; [unrolled: 3-line block ×5, first 2 shown]
.LBB135_14:
	s_or_b32 exec_lo, exec_lo, s0
	ds_bpermute_b32 v12, v1, v6
	v_add_f32_e32 v10, v10, v11
	s_waitcnt lgkmcnt(0)
	s_barrier
	buffer_gl0_inv
	v_add_f32_e32 v6, v6, v12
	ds_bpermute_b32 v12, v3, v6
	s_waitcnt lgkmcnt(0)
	v_add_f32_e32 v6, v6, v12
	ds_bpermute_b32 v12, v4, v6
	s_waitcnt lgkmcnt(0)
	;; [unrolled: 3-line block ×4, first 2 shown]
	v_add_f32_e32 v6, v6, v12
	ds_write_b32 v7, v6
	s_waitcnt lgkmcnt(0)
	s_barrier
	buffer_gl0_inv
	s_and_saveexec_b32 s0, vcc_lo
	s_cbranch_execz .LBB135_16
; %bb.15:
	ds_read_b32 v6, v5
	s_waitcnt lgkmcnt(0)
	ds_bpermute_b32 v11, v1, v6
	s_waitcnt lgkmcnt(0)
	v_add_f32_e32 v6, v6, v11
	ds_bpermute_b32 v11, v3, v6
	s_waitcnt lgkmcnt(0)
	v_add_f32_e32 v6, v6, v11
	;; [unrolled: 3-line block ×5, first 2 shown]
.LBB135_16:
	s_or_b32 exec_lo, exec_lo, s0
	ds_bpermute_b32 v11, v1, v10
	s_waitcnt lgkmcnt(0)
	s_barrier
	buffer_gl0_inv
	v_add_f32_e32 v10, v10, v11
	ds_bpermute_b32 v11, v3, v10
	s_waitcnt lgkmcnt(0)
	v_add_f32_e32 v10, v10, v11
	ds_bpermute_b32 v11, v4, v10
	s_waitcnt lgkmcnt(0)
	;; [unrolled: 3-line block ×4, first 2 shown]
	v_add_f32_e32 v10, v10, v11
	ds_write_b32 v7, v10
	s_waitcnt lgkmcnt(0)
	s_barrier
	buffer_gl0_inv
	s_and_saveexec_b32 s0, vcc_lo
	s_cbranch_execz .LBB135_18
; %bb.17:
	ds_read_b32 v5, v5
	s_waitcnt lgkmcnt(0)
	ds_bpermute_b32 v1, v1, v5
	s_waitcnt lgkmcnt(0)
	v_add_f32_e32 v1, v5, v1
	ds_bpermute_b32 v3, v3, v1
	s_waitcnt lgkmcnt(0)
	v_add_f32_e32 v1, v1, v3
	;; [unrolled: 3-line block ×5, first 2 shown]
.LBB135_18:
	s_or_b32 exec_lo, exec_lo, s0
	s_barrier
	buffer_gl0_inv
	s_mov_b32 s0, exec_lo
	v_cmpx_gt_u32_e32 3, v0
	s_cbranch_execz .LBB135_20
; %bb.19:
	s_load_dwordx2 s[0:1], s[4:5], 0x38
	v_mad_u64_u32 v[3:4], null, s18, v0, s[6:7]
	v_cmp_eq_u32_e32 vcc_lo, 1, v0
	s_mul_hi_i32 s3, s22, s10
	s_mul_i32 s2, s22, s10
	s_mul_i32 s4, s26, s7
	s_lshl_b64 s[2:3], s[2:3], 2
	v_cndmask_b32_e32 v5, v2, v6, vcc_lo
	v_ashrrev_i32_e32 v4, 31, v3
	s_ashr_i32 s5, s4, 31
	v_cmp_eq_u32_e32 vcc_lo, 2, v0
	v_lshlrev_b64 v[1:2], 2, v[3:4]
	v_cndmask_b32_e32 v3, v5, v10, vcc_lo
	s_waitcnt lgkmcnt(0)
	s_add_u32 s2, s0, s2
	s_addc_u32 s3, s1, s3
	s_lshl_b64 s[0:1], s[4:5], 2
	s_add_u32 s0, s2, s0
	s_addc_u32 s1, s3, s1
	v_add_co_u32 v0, vcc_lo, s0, v1
	v_add_co_ci_u32_e64 v1, null, s1, v2, vcc_lo
	global_store_dword v[0:1], v3, off
.LBB135_20:
	s_endpgm
	.section	.rodata,"a",@progbits
	.p2align	6, 0x0
	.amdhsa_kernel _ZL13mul_mat_vec_fI6__halfS0_Li3ELi256ELb0ELb0EEvPKT_PKfPKi31ggml_cuda_mm_fusion_args_devicePfi15HIP_vector_typeIjLj3EEiiiSB_iiiSB_iiii
		.amdhsa_group_segment_fixed_size 0
		.amdhsa_private_segment_fixed_size 0
		.amdhsa_kernarg_size 144
		.amdhsa_user_sgpr_count 6
		.amdhsa_user_sgpr_private_segment_buffer 1
		.amdhsa_user_sgpr_dispatch_ptr 0
		.amdhsa_user_sgpr_queue_ptr 0
		.amdhsa_user_sgpr_kernarg_segment_ptr 1
		.amdhsa_user_sgpr_dispatch_id 0
		.amdhsa_user_sgpr_flat_scratch_init 0
		.amdhsa_user_sgpr_private_segment_size 0
		.amdhsa_wavefront_size32 1
		.amdhsa_uses_dynamic_stack 0
		.amdhsa_system_sgpr_private_segment_wavefront_offset 0
		.amdhsa_system_sgpr_workgroup_id_x 1
		.amdhsa_system_sgpr_workgroup_id_y 1
		.amdhsa_system_sgpr_workgroup_id_z 1
		.amdhsa_system_sgpr_workgroup_info 0
		.amdhsa_system_vgpr_workitem_id 0
		.amdhsa_next_free_vgpr 17
		.amdhsa_next_free_sgpr 36
		.amdhsa_reserve_vcc 1
		.amdhsa_reserve_flat_scratch 0
		.amdhsa_float_round_mode_32 0
		.amdhsa_float_round_mode_16_64 0
		.amdhsa_float_denorm_mode_32 3
		.amdhsa_float_denorm_mode_16_64 3
		.amdhsa_dx10_clamp 1
		.amdhsa_ieee_mode 1
		.amdhsa_fp16_overflow 0
		.amdhsa_workgroup_processor_mode 1
		.amdhsa_memory_ordered 1
		.amdhsa_forward_progress 1
		.amdhsa_shared_vgpr_count 0
		.amdhsa_exception_fp_ieee_invalid_op 0
		.amdhsa_exception_fp_denorm_src 0
		.amdhsa_exception_fp_ieee_div_zero 0
		.amdhsa_exception_fp_ieee_overflow 0
		.amdhsa_exception_fp_ieee_underflow 0
		.amdhsa_exception_fp_ieee_inexact 0
		.amdhsa_exception_int_div_zero 0
	.end_amdhsa_kernel
	.section	.text._ZL13mul_mat_vec_fI6__halfS0_Li3ELi256ELb0ELb0EEvPKT_PKfPKi31ggml_cuda_mm_fusion_args_devicePfi15HIP_vector_typeIjLj3EEiiiSB_iiiSB_iiii,"axG",@progbits,_ZL13mul_mat_vec_fI6__halfS0_Li3ELi256ELb0ELb0EEvPKT_PKfPKi31ggml_cuda_mm_fusion_args_devicePfi15HIP_vector_typeIjLj3EEiiiSB_iiiSB_iiii,comdat
.Lfunc_end135:
	.size	_ZL13mul_mat_vec_fI6__halfS0_Li3ELi256ELb0ELb0EEvPKT_PKfPKi31ggml_cuda_mm_fusion_args_devicePfi15HIP_vector_typeIjLj3EEiiiSB_iiiSB_iiii, .Lfunc_end135-_ZL13mul_mat_vec_fI6__halfS0_Li3ELi256ELb0ELb0EEvPKT_PKfPKi31ggml_cuda_mm_fusion_args_devicePfi15HIP_vector_typeIjLj3EEiiiSB_iiiSB_iiii
                                        ; -- End function
	.set _ZL13mul_mat_vec_fI6__halfS0_Li3ELi256ELb0ELb0EEvPKT_PKfPKi31ggml_cuda_mm_fusion_args_devicePfi15HIP_vector_typeIjLj3EEiiiSB_iiiSB_iiii.num_vgpr, 17
	.set _ZL13mul_mat_vec_fI6__halfS0_Li3ELi256ELb0ELb0EEvPKT_PKfPKi31ggml_cuda_mm_fusion_args_devicePfi15HIP_vector_typeIjLj3EEiiiSB_iiiSB_iiii.num_agpr, 0
	.set _ZL13mul_mat_vec_fI6__halfS0_Li3ELi256ELb0ELb0EEvPKT_PKfPKi31ggml_cuda_mm_fusion_args_devicePfi15HIP_vector_typeIjLj3EEiiiSB_iiiSB_iiii.numbered_sgpr, 36
	.set _ZL13mul_mat_vec_fI6__halfS0_Li3ELi256ELb0ELb0EEvPKT_PKfPKi31ggml_cuda_mm_fusion_args_devicePfi15HIP_vector_typeIjLj3EEiiiSB_iiiSB_iiii.num_named_barrier, 0
	.set _ZL13mul_mat_vec_fI6__halfS0_Li3ELi256ELb0ELb0EEvPKT_PKfPKi31ggml_cuda_mm_fusion_args_devicePfi15HIP_vector_typeIjLj3EEiiiSB_iiiSB_iiii.private_seg_size, 0
	.set _ZL13mul_mat_vec_fI6__halfS0_Li3ELi256ELb0ELb0EEvPKT_PKfPKi31ggml_cuda_mm_fusion_args_devicePfi15HIP_vector_typeIjLj3EEiiiSB_iiiSB_iiii.uses_vcc, 1
	.set _ZL13mul_mat_vec_fI6__halfS0_Li3ELi256ELb0ELb0EEvPKT_PKfPKi31ggml_cuda_mm_fusion_args_devicePfi15HIP_vector_typeIjLj3EEiiiSB_iiiSB_iiii.uses_flat_scratch, 0
	.set _ZL13mul_mat_vec_fI6__halfS0_Li3ELi256ELb0ELb0EEvPKT_PKfPKi31ggml_cuda_mm_fusion_args_devicePfi15HIP_vector_typeIjLj3EEiiiSB_iiiSB_iiii.has_dyn_sized_stack, 0
	.set _ZL13mul_mat_vec_fI6__halfS0_Li3ELi256ELb0ELb0EEvPKT_PKfPKi31ggml_cuda_mm_fusion_args_devicePfi15HIP_vector_typeIjLj3EEiiiSB_iiiSB_iiii.has_recursion, 0
	.set _ZL13mul_mat_vec_fI6__halfS0_Li3ELi256ELb0ELb0EEvPKT_PKfPKi31ggml_cuda_mm_fusion_args_devicePfi15HIP_vector_typeIjLj3EEiiiSB_iiiSB_iiii.has_indirect_call, 0
	.section	.AMDGPU.csdata,"",@progbits
; Kernel info:
; codeLenInByte = 1708
; TotalNumSgprs: 38
; NumVgprs: 17
; ScratchSize: 0
; MemoryBound: 0
; FloatMode: 240
; IeeeMode: 1
; LDSByteSize: 0 bytes/workgroup (compile time only)
; SGPRBlocks: 0
; VGPRBlocks: 2
; NumSGPRsForWavesPerEU: 38
; NumVGPRsForWavesPerEU: 17
; Occupancy: 16
; WaveLimiterHint : 0
; COMPUTE_PGM_RSRC2:SCRATCH_EN: 0
; COMPUTE_PGM_RSRC2:USER_SGPR: 6
; COMPUTE_PGM_RSRC2:TRAP_HANDLER: 0
; COMPUTE_PGM_RSRC2:TGID_X_EN: 1
; COMPUTE_PGM_RSRC2:TGID_Y_EN: 1
; COMPUTE_PGM_RSRC2:TGID_Z_EN: 1
; COMPUTE_PGM_RSRC2:TIDIG_COMP_CNT: 0
	.section	.text._ZL13mul_mat_vec_fI6__halfS0_Li4ELi32ELb0ELb0EEvPKT_PKfPKi31ggml_cuda_mm_fusion_args_devicePfi15HIP_vector_typeIjLj3EEiiiSB_iiiSB_iiii,"axG",@progbits,_ZL13mul_mat_vec_fI6__halfS0_Li4ELi32ELb0ELb0EEvPKT_PKfPKi31ggml_cuda_mm_fusion_args_devicePfi15HIP_vector_typeIjLj3EEiiiSB_iiiSB_iiii,comdat
	.globl	_ZL13mul_mat_vec_fI6__halfS0_Li4ELi32ELb0ELb0EEvPKT_PKfPKi31ggml_cuda_mm_fusion_args_devicePfi15HIP_vector_typeIjLj3EEiiiSB_iiiSB_iiii ; -- Begin function _ZL13mul_mat_vec_fI6__halfS0_Li4ELi32ELb0ELb0EEvPKT_PKfPKi31ggml_cuda_mm_fusion_args_devicePfi15HIP_vector_typeIjLj3EEiiiSB_iiiSB_iiii
	.p2align	8
	.type	_ZL13mul_mat_vec_fI6__halfS0_Li4ELi32ELb0ELb0EEvPKT_PKfPKi31ggml_cuda_mm_fusion_args_devicePfi15HIP_vector_typeIjLj3EEiiiSB_iiiSB_iiii,@function
_ZL13mul_mat_vec_fI6__halfS0_Li4ELi32ELb0ELb0EEvPKT_PKfPKi31ggml_cuda_mm_fusion_args_devicePfi15HIP_vector_typeIjLj3EEiiiSB_iiiSB_iiii: ; @_ZL13mul_mat_vec_fI6__halfS0_Li4ELi32ELb0ELb0EEvPKT_PKfPKi31ggml_cuda_mm_fusion_args_devicePfi15HIP_vector_typeIjLj3EEiiiSB_iiiSB_iiii
; %bb.0:
	s_clause 0x2
	s_load_dwordx2 s[20:21], s[4:5], 0x10
	s_load_dwordx8 s[12:19], s[4:5], 0x40
	s_load_dwordx4 s[0:3], s[4:5], 0x80
	s_waitcnt lgkmcnt(0)
	s_cmp_eq_u64 s[20:21], 0
	s_cselect_b32 s9, -1, 0
	s_cmp_lg_u64 s[20:21], 0
	s_cselect_b32 s25, -1, 0
	s_and_b32 vcc_lo, exec_lo, s9
	s_cbranch_vccnz .LBB136_2
; %bb.1:
	s_mul_i32 s3, s3, s8
	s_mov_b32 s11, 0
	s_add_i32 s10, s3, s7
	s_lshl_b64 s[22:23], s[10:11], 2
	s_add_u32 s20, s20, s22
	s_addc_u32 s21, s21, s23
	s_load_dword s24, s[20:21], 0x0
	s_load_dwordx4 s[20:23], s[4:5], 0x68
	s_cbranch_execz .LBB136_3
	s_branch .LBB136_4
.LBB136_2:
                                        ; implicit-def: $sgpr24
	s_load_dwordx4 s[20:23], s[4:5], 0x68
.LBB136_3:
	s_load_dwordx2 s[10:11], s[4:5], 0x5c
	s_waitcnt lgkmcnt(0)
	s_mul_hi_u32 s3, s10, s7
	s_add_i32 s3, s7, s3
	s_lshr_b32 s24, s3, s11
.LBB136_4:
	s_load_dword s19, s[4:5], 0x78
	s_andn2_b32 vcc_lo, exec_lo, s25
	s_mov_b32 s25, s7
	s_cbranch_vccnz .LBB136_6
; %bb.5:
	s_mul_hi_u32 s3, s13, s7
	s_add_i32 s3, s7, s3
	s_lshr_b32 s3, s3, s14
	s_mul_i32 s3, s3, s15
	s_sub_i32 s25, s7, s3
.LBB136_6:
	v_mov_b32_e32 v8, 0
	v_mov_b32_e32 v7, 0
	;; [unrolled: 1-line block ×4, first 2 shown]
	s_and_b32 s3, exec_lo, s9
	s_cselect_b32 s3, s8, 0
	s_mov_b32 s13, exec_lo
	v_cmpx_gt_i32_e64 s12, v0
	s_cbranch_execz .LBB136_10
; %bb.7:
	s_load_dwordx4 s[8:11], s[4:5], 0x0
	s_waitcnt lgkmcnt(0)
	s_mul_hi_u32 s23, s23, s3
	s_mul_hi_i32 s15, s1, s3
	s_mul_i32 s14, s1, s3
	s_mul_i32 s20, s24, s20
	s_add_i32 s1, s3, s23
	s_lshl_b64 s[30:31], s[14:15], 2
	s_mul_i32 s24, s16, s6
	s_mul_i32 s26, s25, s21
	s_ashr_i32 s21, s20, 31
	s_lshr_b32 s16, s1, s19
	s_mov_b32 s28, s17
	s_mul_hi_i32 s1, s16, s0
	s_mul_i32 s0, s16, s0
	v_lshlrev_b32_e32 v2, 3, v0
	v_lshlrev_b32_e32 v1, 2, v0
	v_mov_b32_e32 v5, 0
	v_mov_b32_e32 v6, 0
	;; [unrolled: 1-line block ×4, first 2 shown]
	s_add_u32 s14, s10, s30
	s_addc_u32 s15, s11, s31
	s_ashr_i32 s27, s26, 31
	s_ashr_i32 s25, s24, 31
	s_lshl_b64 s[26:27], s[26:27], 2
	v_mov_b32_e32 v9, v0
	s_add_u32 s14, s14, s26
	s_addc_u32 s15, s15, s27
	s_lshl_b64 s[20:21], s[20:21], 1
	s_ashr_i32 s29, s17, 31
	s_add_i32 s16, s17, s17
	s_lshl_b64 s[0:1], s[0:1], 1
	s_lshl_b64 s[24:25], s[24:25], 1
	s_add_u32 s8, s8, s20
	s_addc_u32 s9, s9, s21
	s_add_u32 s8, s8, s24
	s_addc_u32 s9, s9, s25
	;; [unrolled: 2-line block ×3, first 2 shown]
	s_lshl_b64 s[0:1], s[28:29], 3
	s_add_u32 s10, s10, s26
	s_addc_u32 s11, s11, s27
	s_add_u32 s10, s10, s30
	s_addc_u32 s11, s11, s31
	v_add_co_u32 v3, s10, s10, v2
	v_add_co_ci_u32_e64 v4, null, s11, 0, s10
	v_add_co_u32 v1, s8, s8, v1
	v_add_co_u32 v3, vcc_lo, v3, 4
	v_add_co_ci_u32_e64 v2, null, s9, 0, s8
	v_add_co_ci_u32_e64 v4, null, 0, v4, vcc_lo
	s_mul_i32 s9, s17, 3
	s_mov_b32 s8, 0
.LBB136_8:                              ; =>This Inner Loop Header: Depth=1
	v_add_nc_u32_e32 v12, s16, v9
	v_add_nc_u32_e32 v16, s9, v9
	v_add_co_u32 v14, vcc_lo, v3, s0
	v_add_co_ci_u32_e64 v15, null, s1, v4, vcc_lo
	v_ashrrev_i32_e32 v13, 31, v12
	v_ashrrev_i32_e32 v17, 31, v16
	s_clause 0x1
	global_load_dwordx2 v[10:11], v[3:4], off offset:-4
	global_load_dwordx2 v[14:15], v[14:15], off offset:-4
	v_add_nc_u32_e32 v9, 32, v9
	v_lshlrev_b64 v[12:13], 3, v[12:13]
	v_lshlrev_b64 v[16:17], 3, v[16:17]
	v_add_co_u32 v12, vcc_lo, s14, v12
	v_add_co_ci_u32_e64 v13, null, s15, v13, vcc_lo
	v_add_co_u32 v16, vcc_lo, s14, v16
	v_add_co_ci_u32_e64 v17, null, s15, v17, vcc_lo
	s_clause 0x1
	global_load_dwordx2 v[12:13], v[12:13], off
	global_load_dwordx2 v[16:17], v[16:17], off
	global_load_dword v18, v[1:2], off
	v_add_co_u32 v1, vcc_lo, 0x80, v1
	v_add_co_ci_u32_e64 v2, null, 0, v2, vcc_lo
	v_add_co_u32 v3, vcc_lo, 0x100, v3
	v_add_co_ci_u32_e64 v4, null, 0, v4, vcc_lo
	v_cmp_le_i32_e32 vcc_lo, s12, v9
	s_or_b32 s8, vcc_lo, s8
	s_waitcnt vmcnt(4)
	v_cvt_f16_f32_e32 v10, v10
	v_cvt_f16_f32_e32 v11, v11
	s_waitcnt vmcnt(3)
	v_cvt_f16_f32_e32 v14, v14
	v_cvt_f16_f32_e32 v15, v15
	v_pack_b32_f16 v10, v10, v11
	v_pack_b32_f16 v11, v14, v15
	s_waitcnt vmcnt(2)
	v_cvt_f16_f32_e32 v12, v12
	v_cvt_f16_f32_e32 v13, v13
	s_waitcnt vmcnt(1)
	v_cvt_f16_f32_e32 v16, v16
	v_cvt_f16_f32_e32 v17, v17
	s_waitcnt vmcnt(0)
	v_pk_fma_f16 v8, v18, v10, v8
	v_pk_fma_f16 v7, v18, v11, v7
	v_pack_b32_f16 v12, v12, v13
	v_pack_b32_f16 v13, v16, v17
	v_pk_fma_f16 v6, v18, v12, v6
	v_pk_fma_f16 v5, v18, v13, v5
	s_andn2_b32 exec_lo, exec_lo, s8
	s_cbranch_execnz .LBB136_8
; %bb.9:
	s_or_b32 exec_lo, exec_lo, s8
.LBB136_10:
	s_or_b32 exec_lo, exec_lo, s13
	v_mbcnt_lo_u32_b32 v1, -1, 0
	v_cvt_f32_f16_e32 v2, v8
	v_cvt_f32_f16_sdwa v4, v8 dst_sel:DWORD dst_unused:UNUSED_PAD src0_sel:WORD_1
	v_cvt_f32_f16_e32 v8, v7
	v_cvt_f32_f16_sdwa v7, v7 dst_sel:DWORD dst_unused:UNUSED_PAD src0_sel:WORD_1
	v_xor_b32_e32 v3, 16, v1
	v_cvt_f32_f16_e32 v9, v6
	v_cvt_f32_f16_sdwa v6, v6 dst_sel:DWORD dst_unused:UNUSED_PAD src0_sel:WORD_1
	v_cvt_f32_f16_e32 v10, v5
	v_cvt_f32_f16_sdwa v5, v5 dst_sel:DWORD dst_unused:UNUSED_PAD src0_sel:WORD_1
	v_cmp_gt_i32_e32 vcc_lo, 32, v3
	v_add_f32_e32 v2, v2, v4
	v_add_f32_e32 v4, v8, v7
	;; [unrolled: 1-line block ×4, first 2 shown]
	v_cndmask_b32_e32 v3, v1, v3, vcc_lo
	v_xor_b32_e32 v10, 8, v1
	s_mov_b32 s0, exec_lo
	v_lshlrev_b32_e32 v3, 2, v3
	v_cmp_gt_i32_e32 vcc_lo, 32, v10
	ds_bpermute_b32 v7, v3, v2
	ds_bpermute_b32 v8, v3, v4
	;; [unrolled: 1-line block ×4, first 2 shown]
	v_cndmask_b32_e32 v10, v1, v10, vcc_lo
	v_lshlrev_b32_e32 v10, 2, v10
	s_waitcnt lgkmcnt(0)
	v_add_f32_e32 v2, v2, v7
	v_add_f32_e32 v4, v4, v8
	;; [unrolled: 1-line block ×4, first 2 shown]
	ds_bpermute_b32 v5, v10, v2
	ds_bpermute_b32 v7, v10, v4
	ds_bpermute_b32 v8, v10, v6
	ds_bpermute_b32 v9, v10, v3
	v_xor_b32_e32 v10, 4, v1
	v_cmp_gt_i32_e32 vcc_lo, 32, v10
	v_cndmask_b32_e32 v10, v1, v10, vcc_lo
	v_lshlrev_b32_e32 v10, 2, v10
	s_waitcnt lgkmcnt(3)
	v_add_f32_e32 v2, v2, v5
	s_waitcnt lgkmcnt(2)
	v_add_f32_e32 v4, v4, v7
	s_waitcnt lgkmcnt(1)
	v_add_f32_e32 v5, v6, v8
	s_waitcnt lgkmcnt(0)
	v_add_f32_e32 v3, v3, v9
	ds_bpermute_b32 v6, v10, v2
	ds_bpermute_b32 v7, v10, v4
	ds_bpermute_b32 v8, v10, v5
	ds_bpermute_b32 v9, v10, v3
	v_xor_b32_e32 v10, 2, v1
	v_cmp_gt_i32_e32 vcc_lo, 32, v10
	v_cndmask_b32_e32 v10, v1, v10, vcc_lo
	v_lshlrev_b32_e32 v10, 2, v10
	s_waitcnt lgkmcnt(3)
	v_add_f32_e32 v2, v2, v6
	s_waitcnt lgkmcnt(2)
	v_add_f32_e32 v4, v4, v7
	s_waitcnt lgkmcnt(1)
	v_add_f32_e32 v7, v5, v8
	s_waitcnt lgkmcnt(0)
	v_add_f32_e32 v3, v3, v9
	;; [unrolled: 16-line block ×3, first 2 shown]
	ds_bpermute_b32 v7, v10, v5
	ds_bpermute_b32 v8, v10, v6
	;; [unrolled: 1-line block ×4, first 2 shown]
	v_cmpx_gt_u32_e32 4, v0
	s_cbranch_execz .LBB136_12
; %bb.11:
	s_load_dwordx2 s[0:1], s[4:5], 0x38
	s_waitcnt lgkmcnt(0)
	v_add_f32_e32 v7, v5, v7
	v_add_f32_e32 v8, v6, v8
	v_mad_u64_u32 v[5:6], null, s18, v0, s[6:7]
	v_cmp_eq_u32_e32 vcc_lo, 1, v0
	s_mul_hi_i32 s5, s2, s3
	s_mul_i32 s4, s2, s3
	v_add_f32_e32 v2, v2, v4
	s_lshl_b64 s[4:5], s[4:5], 2
	v_cndmask_b32_e32 v4, v7, v8, vcc_lo
	v_ashrrev_i32_e32 v6, 31, v5
	v_cmp_eq_u32_e32 vcc_lo, 2, v0
	s_mul_i32 s2, s22, s7
	v_add_f32_e32 v3, v1, v3
	v_cndmask_b32_e32 v4, v4, v2, vcc_lo
	v_lshlrev_b64 v[1:2], 2, v[5:6]
	v_cmp_eq_u32_e32 vcc_lo, 3, v0
	s_add_u32 s4, s0, s4
	s_addc_u32 s5, s1, s5
	s_ashr_i32 s3, s2, 31
	s_lshl_b64 s[0:1], s[2:3], 2
	v_cndmask_b32_e32 v3, v4, v3, vcc_lo
	s_add_u32 s0, s4, s0
	s_addc_u32 s1, s5, s1
	v_add_co_u32 v0, vcc_lo, s0, v1
	v_add_co_ci_u32_e64 v1, null, s1, v2, vcc_lo
	global_store_dword v[0:1], v3, off
.LBB136_12:
	s_endpgm
	.section	.rodata,"a",@progbits
	.p2align	6, 0x0
	.amdhsa_kernel _ZL13mul_mat_vec_fI6__halfS0_Li4ELi32ELb0ELb0EEvPKT_PKfPKi31ggml_cuda_mm_fusion_args_devicePfi15HIP_vector_typeIjLj3EEiiiSB_iiiSB_iiii
		.amdhsa_group_segment_fixed_size 0
		.amdhsa_private_segment_fixed_size 0
		.amdhsa_kernarg_size 144
		.amdhsa_user_sgpr_count 6
		.amdhsa_user_sgpr_private_segment_buffer 1
		.amdhsa_user_sgpr_dispatch_ptr 0
		.amdhsa_user_sgpr_queue_ptr 0
		.amdhsa_user_sgpr_kernarg_segment_ptr 1
		.amdhsa_user_sgpr_dispatch_id 0
		.amdhsa_user_sgpr_flat_scratch_init 0
		.amdhsa_user_sgpr_private_segment_size 0
		.amdhsa_wavefront_size32 1
		.amdhsa_uses_dynamic_stack 0
		.amdhsa_system_sgpr_private_segment_wavefront_offset 0
		.amdhsa_system_sgpr_workgroup_id_x 1
		.amdhsa_system_sgpr_workgroup_id_y 1
		.amdhsa_system_sgpr_workgroup_id_z 1
		.amdhsa_system_sgpr_workgroup_info 0
		.amdhsa_system_vgpr_workitem_id 0
		.amdhsa_next_free_vgpr 19
		.amdhsa_next_free_sgpr 32
		.amdhsa_reserve_vcc 1
		.amdhsa_reserve_flat_scratch 0
		.amdhsa_float_round_mode_32 0
		.amdhsa_float_round_mode_16_64 0
		.amdhsa_float_denorm_mode_32 3
		.amdhsa_float_denorm_mode_16_64 3
		.amdhsa_dx10_clamp 1
		.amdhsa_ieee_mode 1
		.amdhsa_fp16_overflow 0
		.amdhsa_workgroup_processor_mode 1
		.amdhsa_memory_ordered 1
		.amdhsa_forward_progress 1
		.amdhsa_shared_vgpr_count 0
		.amdhsa_exception_fp_ieee_invalid_op 0
		.amdhsa_exception_fp_denorm_src 0
		.amdhsa_exception_fp_ieee_div_zero 0
		.amdhsa_exception_fp_ieee_overflow 0
		.amdhsa_exception_fp_ieee_underflow 0
		.amdhsa_exception_fp_ieee_inexact 0
		.amdhsa_exception_int_div_zero 0
	.end_amdhsa_kernel
	.section	.text._ZL13mul_mat_vec_fI6__halfS0_Li4ELi32ELb0ELb0EEvPKT_PKfPKi31ggml_cuda_mm_fusion_args_devicePfi15HIP_vector_typeIjLj3EEiiiSB_iiiSB_iiii,"axG",@progbits,_ZL13mul_mat_vec_fI6__halfS0_Li4ELi32ELb0ELb0EEvPKT_PKfPKi31ggml_cuda_mm_fusion_args_devicePfi15HIP_vector_typeIjLj3EEiiiSB_iiiSB_iiii,comdat
.Lfunc_end136:
	.size	_ZL13mul_mat_vec_fI6__halfS0_Li4ELi32ELb0ELb0EEvPKT_PKfPKi31ggml_cuda_mm_fusion_args_devicePfi15HIP_vector_typeIjLj3EEiiiSB_iiiSB_iiii, .Lfunc_end136-_ZL13mul_mat_vec_fI6__halfS0_Li4ELi32ELb0ELb0EEvPKT_PKfPKi31ggml_cuda_mm_fusion_args_devicePfi15HIP_vector_typeIjLj3EEiiiSB_iiiSB_iiii
                                        ; -- End function
	.set _ZL13mul_mat_vec_fI6__halfS0_Li4ELi32ELb0ELb0EEvPKT_PKfPKi31ggml_cuda_mm_fusion_args_devicePfi15HIP_vector_typeIjLj3EEiiiSB_iiiSB_iiii.num_vgpr, 19
	.set _ZL13mul_mat_vec_fI6__halfS0_Li4ELi32ELb0ELb0EEvPKT_PKfPKi31ggml_cuda_mm_fusion_args_devicePfi15HIP_vector_typeIjLj3EEiiiSB_iiiSB_iiii.num_agpr, 0
	.set _ZL13mul_mat_vec_fI6__halfS0_Li4ELi32ELb0ELb0EEvPKT_PKfPKi31ggml_cuda_mm_fusion_args_devicePfi15HIP_vector_typeIjLj3EEiiiSB_iiiSB_iiii.numbered_sgpr, 32
	.set _ZL13mul_mat_vec_fI6__halfS0_Li4ELi32ELb0ELb0EEvPKT_PKfPKi31ggml_cuda_mm_fusion_args_devicePfi15HIP_vector_typeIjLj3EEiiiSB_iiiSB_iiii.num_named_barrier, 0
	.set _ZL13mul_mat_vec_fI6__halfS0_Li4ELi32ELb0ELb0EEvPKT_PKfPKi31ggml_cuda_mm_fusion_args_devicePfi15HIP_vector_typeIjLj3EEiiiSB_iiiSB_iiii.private_seg_size, 0
	.set _ZL13mul_mat_vec_fI6__halfS0_Li4ELi32ELb0ELb0EEvPKT_PKfPKi31ggml_cuda_mm_fusion_args_devicePfi15HIP_vector_typeIjLj3EEiiiSB_iiiSB_iiii.uses_vcc, 1
	.set _ZL13mul_mat_vec_fI6__halfS0_Li4ELi32ELb0ELb0EEvPKT_PKfPKi31ggml_cuda_mm_fusion_args_devicePfi15HIP_vector_typeIjLj3EEiiiSB_iiiSB_iiii.uses_flat_scratch, 0
	.set _ZL13mul_mat_vec_fI6__halfS0_Li4ELi32ELb0ELb0EEvPKT_PKfPKi31ggml_cuda_mm_fusion_args_devicePfi15HIP_vector_typeIjLj3EEiiiSB_iiiSB_iiii.has_dyn_sized_stack, 0
	.set _ZL13mul_mat_vec_fI6__halfS0_Li4ELi32ELb0ELb0EEvPKT_PKfPKi31ggml_cuda_mm_fusion_args_devicePfi15HIP_vector_typeIjLj3EEiiiSB_iiiSB_iiii.has_recursion, 0
	.set _ZL13mul_mat_vec_fI6__halfS0_Li4ELi32ELb0ELb0EEvPKT_PKfPKi31ggml_cuda_mm_fusion_args_devicePfi15HIP_vector_typeIjLj3EEiiiSB_iiiSB_iiii.has_indirect_call, 0
	.section	.AMDGPU.csdata,"",@progbits
; Kernel info:
; codeLenInByte = 1348
; TotalNumSgprs: 34
; NumVgprs: 19
; ScratchSize: 0
; MemoryBound: 0
; FloatMode: 240
; IeeeMode: 1
; LDSByteSize: 0 bytes/workgroup (compile time only)
; SGPRBlocks: 0
; VGPRBlocks: 2
; NumSGPRsForWavesPerEU: 34
; NumVGPRsForWavesPerEU: 19
; Occupancy: 16
; WaveLimiterHint : 0
; COMPUTE_PGM_RSRC2:SCRATCH_EN: 0
; COMPUTE_PGM_RSRC2:USER_SGPR: 6
; COMPUTE_PGM_RSRC2:TRAP_HANDLER: 0
; COMPUTE_PGM_RSRC2:TGID_X_EN: 1
; COMPUTE_PGM_RSRC2:TGID_Y_EN: 1
; COMPUTE_PGM_RSRC2:TGID_Z_EN: 1
; COMPUTE_PGM_RSRC2:TIDIG_COMP_CNT: 0
	.section	.text._ZL13mul_mat_vec_fI6__halfS0_Li4ELi64ELb0ELb0EEvPKT_PKfPKi31ggml_cuda_mm_fusion_args_devicePfi15HIP_vector_typeIjLj3EEiiiSB_iiiSB_iiii,"axG",@progbits,_ZL13mul_mat_vec_fI6__halfS0_Li4ELi64ELb0ELb0EEvPKT_PKfPKi31ggml_cuda_mm_fusion_args_devicePfi15HIP_vector_typeIjLj3EEiiiSB_iiiSB_iiii,comdat
	.globl	_ZL13mul_mat_vec_fI6__halfS0_Li4ELi64ELb0ELb0EEvPKT_PKfPKi31ggml_cuda_mm_fusion_args_devicePfi15HIP_vector_typeIjLj3EEiiiSB_iiiSB_iiii ; -- Begin function _ZL13mul_mat_vec_fI6__halfS0_Li4ELi64ELb0ELb0EEvPKT_PKfPKi31ggml_cuda_mm_fusion_args_devicePfi15HIP_vector_typeIjLj3EEiiiSB_iiiSB_iiii
	.p2align	8
	.type	_ZL13mul_mat_vec_fI6__halfS0_Li4ELi64ELb0ELb0EEvPKT_PKfPKi31ggml_cuda_mm_fusion_args_devicePfi15HIP_vector_typeIjLj3EEiiiSB_iiiSB_iiii,@function
_ZL13mul_mat_vec_fI6__halfS0_Li4ELi64ELb0ELb0EEvPKT_PKfPKi31ggml_cuda_mm_fusion_args_devicePfi15HIP_vector_typeIjLj3EEiiiSB_iiiSB_iiii: ; @_ZL13mul_mat_vec_fI6__halfS0_Li4ELi64ELb0ELb0EEvPKT_PKfPKi31ggml_cuda_mm_fusion_args_devicePfi15HIP_vector_typeIjLj3EEiiiSB_iiiSB_iiii
; %bb.0:
	s_clause 0x2
	s_load_dwordx2 s[0:1], s[4:5], 0x10
	s_load_dwordx8 s[12:19], s[4:5], 0x40
	s_load_dwordx4 s[20:23], s[4:5], 0x80
	s_waitcnt lgkmcnt(0)
	s_cmp_eq_u64 s[0:1], 0
	s_cselect_b32 s10, -1, 0
	s_cmp_lg_u64 s[0:1], 0
	s_cselect_b32 s9, -1, 0
	s_and_b32 vcc_lo, exec_lo, s10
	s_cbranch_vccnz .LBB137_2
; %bb.1:
	s_mul_i32 s2, s23, s8
	s_mov_b32 s3, 0
	s_add_i32 s2, s2, s7
	s_lshl_b64 s[24:25], s[2:3], 2
	s_add_u32 s0, s0, s24
	s_addc_u32 s1, s1, s25
	s_load_dword s19, s[0:1], 0x0
	s_cbranch_execz .LBB137_3
	s_branch .LBB137_4
.LBB137_2:
                                        ; implicit-def: $sgpr19
.LBB137_3:
	s_load_dwordx2 s[0:1], s[4:5], 0x5c
	s_waitcnt lgkmcnt(0)
	s_mul_hi_u32 s0, s0, s7
	s_add_i32 s0, s7, s0
	s_lshr_b32 s19, s0, s1
.LBB137_4:
	s_load_dwordx4 s[24:27], s[4:5], 0x68
	s_andn2_b32 vcc_lo, exec_lo, s9
	s_mov_b32 s23, s7
	s_cbranch_vccnz .LBB137_6
; %bb.5:
	s_mul_hi_u32 s0, s13, s7
	s_add_i32 s0, s7, s0
	s_lshr_b32 s0, s0, s14
	s_mul_i32 s0, s0, s15
	s_sub_i32 s23, s7, s0
.LBB137_6:
	s_load_dword s9, s[4:5], 0x78
	v_cmp_gt_u32_e32 vcc_lo, 32, v0
	v_lshl_add_u32 v5, v0, 2, 0
	s_and_saveexec_b32 s0, vcc_lo
; %bb.7:
	v_mov_b32_e32 v1, 0
	ds_write_b32 v5, v1
; %bb.8:
	s_or_b32 exec_lo, exec_lo, s0
	v_mov_b32_e32 v9, 0
	v_mov_b32_e32 v8, 0
	;; [unrolled: 1-line block ×4, first 2 shown]
	s_and_b32 s0, exec_lo, s10
	s_cselect_b32 s10, s8, 0
	s_mov_b32 s11, exec_lo
	s_waitcnt lgkmcnt(0)
	s_barrier
	buffer_gl0_inv
	v_cmpx_gt_i32_e64 s12, v0
	s_cbranch_execz .LBB137_12
; %bb.9:
	s_load_dwordx4 s[0:3], s[4:5], 0x0
	s_mul_hi_u32 s13, s27, s10
	s_mul_hi_i32 s15, s21, s10
	s_mul_i32 s14, s21, s10
	s_mul_i32 s24, s19, s24
	;; [unrolled: 1-line block ×4, first 2 shown]
	s_add_i32 s13, s10, s13
	s_lshl_b64 s[34:35], s[14:15], 2
	s_ashr_i32 s25, s24, 31
	s_ashr_i32 s29, s28, 31
	;; [unrolled: 1-line block ×3, first 2 shown]
	s_lshr_b32 s9, s13, s9
	s_mov_b32 s8, s17
	s_mul_hi_i32 s21, s9, s20
	s_mul_i32 s20, s9, s20
	v_lshlrev_b32_e32 v2, 3, v0
	v_lshlrev_b32_e32 v1, 2, v0
	v_mov_b32_e32 v6, 0
	v_mov_b32_e32 v7, 0
	s_waitcnt lgkmcnt(0)
	s_add_u32 s13, s2, s34
	s_addc_u32 s14, s3, s35
	s_lshl_b64 s[30:31], s[30:31], 2
	v_mov_b32_e32 v8, 0
	s_add_u32 s13, s13, s30
	s_addc_u32 s14, s14, s31
	s_lshl_b64 s[24:25], s[24:25], 1
	s_ashr_i32 s9, s17, 31
	s_add_i32 s15, s17, s17
	s_lshl_b64 s[20:21], s[20:21], 1
	s_lshl_b64 s[28:29], s[28:29], 1
	s_add_u32 s0, s0, s24
	s_addc_u32 s1, s1, s25
	s_add_u32 s0, s0, s28
	s_addc_u32 s1, s1, s29
	;; [unrolled: 2-line block ×3, first 2 shown]
	s_lshl_b64 s[8:9], s[8:9], 3
	s_add_u32 s2, s2, s30
	s_addc_u32 s3, s3, s31
	s_add_u32 s2, s2, s34
	s_addc_u32 s3, s3, s35
	v_add_co_u32 v3, s2, s2, v2
	v_add_co_ci_u32_e64 v4, null, s3, 0, s2
	v_add_co_u32 v1, s0, s0, v1
	v_add_co_ci_u32_e64 v2, null, s1, 0, s0
	;; [unrolled: 2-line block ×3, first 2 shown]
	v_mov_b32_e32 v9, 0
	v_mov_b32_e32 v10, v0
	s_mul_i32 s2, s17, 3
	s_mov_b32 s1, 0
.LBB137_10:                             ; =>This Inner Loop Header: Depth=1
	v_add_nc_u32_e32 v13, s15, v10
	v_add_nc_u32_e32 v17, s2, v10
	v_add_co_u32 v15, s0, v3, s8
	v_add_co_ci_u32_e64 v16, null, s9, v4, s0
	v_ashrrev_i32_e32 v14, 31, v13
	v_ashrrev_i32_e32 v18, 31, v17
	s_clause 0x1
	global_load_dwordx2 v[11:12], v[3:4], off offset:-4
	global_load_dwordx2 v[15:16], v[15:16], off offset:-4
	v_add_nc_u32_e32 v10, 64, v10
	v_lshlrev_b64 v[13:14], 3, v[13:14]
	v_lshlrev_b64 v[17:18], 3, v[17:18]
	v_add_co_u32 v13, s0, s13, v13
	v_add_co_ci_u32_e64 v14, null, s14, v14, s0
	v_add_co_u32 v17, s0, s13, v17
	v_add_co_ci_u32_e64 v18, null, s14, v18, s0
	s_clause 0x1
	global_load_dwordx2 v[13:14], v[13:14], off
	global_load_dwordx2 v[17:18], v[17:18], off
	global_load_dword v19, v[1:2], off
	v_add_co_u32 v1, s0, 0x100, v1
	v_add_co_ci_u32_e64 v2, null, 0, v2, s0
	v_add_co_u32 v3, s0, 0x200, v3
	v_add_co_ci_u32_e64 v4, null, 0, v4, s0
	v_cmp_le_i32_e64 s0, s12, v10
	s_or_b32 s1, s0, s1
	s_waitcnt vmcnt(4)
	v_cvt_f16_f32_e32 v11, v11
	v_cvt_f16_f32_e32 v12, v12
	s_waitcnt vmcnt(3)
	v_cvt_f16_f32_e32 v15, v15
	v_cvt_f16_f32_e32 v16, v16
	v_pack_b32_f16 v11, v11, v12
	v_pack_b32_f16 v12, v15, v16
	s_waitcnt vmcnt(2)
	v_cvt_f16_f32_e32 v13, v13
	v_cvt_f16_f32_e32 v14, v14
	s_waitcnt vmcnt(1)
	v_cvt_f16_f32_e32 v17, v17
	v_cvt_f16_f32_e32 v18, v18
	s_waitcnt vmcnt(0)
	v_pk_fma_f16 v9, v19, v11, v9
	v_pk_fma_f16 v8, v19, v12, v8
	v_pack_b32_f16 v13, v13, v14
	v_pack_b32_f16 v14, v17, v18
	v_pk_fma_f16 v7, v19, v13, v7
	v_pk_fma_f16 v6, v19, v14, v6
	s_andn2_b32 exec_lo, exec_lo, s1
	s_cbranch_execnz .LBB137_10
; %bb.11:
	s_or_b32 exec_lo, exec_lo, s1
.LBB137_12:
	s_or_b32 exec_lo, exec_lo, s11
	v_mbcnt_lo_u32_b32 v2, -1, 0
	v_cvt_f32_f16_e32 v3, v9
	v_cvt_f32_f16_sdwa v4, v9 dst_sel:DWORD dst_unused:UNUSED_PAD src0_sel:WORD_1
	v_cvt_f32_f16_e32 v13, v8
	v_cvt_f32_f16_sdwa v14, v8 dst_sel:DWORD dst_unused:UNUSED_PAD src0_sel:WORD_1
	v_xor_b32_e32 v1, 16, v2
	v_add_f32_e32 v4, v3, v4
	v_xor_b32_e32 v3, 8, v2
	v_cmp_gt_i32_e64 s0, 32, v1
	v_cndmask_b32_e64 v1, v2, v1, s0
	v_cmp_gt_i32_e64 s0, 32, v3
	v_lshlrev_b32_e32 v1, 2, v1
	v_cndmask_b32_e64 v3, v2, v3, s0
	ds_bpermute_b32 v9, v1, v4
	v_lshlrev_b32_e32 v3, 2, v3
	s_waitcnt lgkmcnt(0)
	v_add_f32_e32 v9, v4, v9
	v_xor_b32_e32 v4, 4, v2
	ds_bpermute_b32 v10, v3, v9
	v_cmp_gt_i32_e64 s0, 32, v4
	v_cndmask_b32_e64 v4, v2, v4, s0
	v_lshlrev_b32_e32 v4, 2, v4
	s_waitcnt lgkmcnt(0)
	v_add_f32_e32 v10, v9, v10
	v_xor_b32_e32 v9, 2, v2
	ds_bpermute_b32 v11, v4, v10
	v_cmp_gt_i32_e64 s0, 32, v9
	v_cndmask_b32_e64 v9, v2, v9, s0
	v_lshlrev_b32_e32 v9, 2, v9
	s_waitcnt lgkmcnt(0)
	v_add_f32_e32 v11, v10, v11
	v_xor_b32_e32 v10, 1, v2
	ds_bpermute_b32 v12, v9, v11
	v_cmp_gt_i32_e64 s0, 32, v10
	v_cndmask_b32_e64 v2, v2, v10, s0
	v_lshlrev_b32_e32 v10, 2, v2
	s_waitcnt lgkmcnt(0)
	v_add_f32_e32 v2, v11, v12
	v_lshrrev_b32_e32 v12, 3, v0
	ds_bpermute_b32 v11, v10, v2
	v_and_b32_e32 v12, 0x7c, v12
	v_add_nc_u32_e32 v8, 0, v12
	v_add_f32_e32 v12, v13, v14
	s_waitcnt lgkmcnt(0)
	v_add_f32_e32 v2, v2, v11
	v_cvt_f32_f16_e32 v11, v7
	v_cvt_f32_f16_sdwa v7, v7 dst_sel:DWORD dst_unused:UNUSED_PAD src0_sel:WORD_1
	ds_write_b32 v8, v2
	s_waitcnt lgkmcnt(0)
	s_barrier
	buffer_gl0_inv
	s_and_saveexec_b32 s0, vcc_lo
	s_cbranch_execz .LBB137_14
; %bb.13:
	ds_read_b32 v2, v5
	s_waitcnt lgkmcnt(0)
	ds_bpermute_b32 v13, v1, v2
	s_waitcnt lgkmcnt(0)
	v_add_f32_e32 v2, v2, v13
	ds_bpermute_b32 v13, v3, v2
	s_waitcnt lgkmcnt(0)
	v_add_f32_e32 v2, v2, v13
	ds_bpermute_b32 v13, v4, v2
	s_waitcnt lgkmcnt(0)
	v_add_f32_e32 v2, v2, v13
	ds_bpermute_b32 v13, v9, v2
	s_waitcnt lgkmcnt(0)
	v_add_f32_e32 v2, v2, v13
	ds_bpermute_b32 v13, v10, v2
	s_waitcnt lgkmcnt(0)
	v_add_f32_e32 v2, v2, v13
.LBB137_14:
	s_or_b32 exec_lo, exec_lo, s0
	ds_bpermute_b32 v13, v1, v12
	v_add_f32_e32 v7, v11, v7
	s_waitcnt lgkmcnt(0)
	s_barrier
	buffer_gl0_inv
	v_add_f32_e32 v12, v12, v13
	ds_bpermute_b32 v13, v3, v12
	s_waitcnt lgkmcnt(0)
	v_add_f32_e32 v12, v12, v13
	ds_bpermute_b32 v13, v4, v12
	s_waitcnt lgkmcnt(0)
	;; [unrolled: 3-line block ×3, first 2 shown]
	v_add_f32_e32 v14, v12, v13
	v_cvt_f32_f16_e32 v12, v6
	v_cvt_f32_f16_sdwa v13, v6 dst_sel:DWORD dst_unused:UNUSED_PAD src0_sel:WORD_1
	ds_bpermute_b32 v15, v10, v14
	s_waitcnt lgkmcnt(0)
	v_add_f32_e32 v6, v14, v15
	ds_write_b32 v8, v6
	s_waitcnt lgkmcnt(0)
	s_barrier
	buffer_gl0_inv
	s_and_saveexec_b32 s0, vcc_lo
	s_cbranch_execz .LBB137_16
; %bb.15:
	ds_read_b32 v6, v5
	s_waitcnt lgkmcnt(0)
	ds_bpermute_b32 v11, v1, v6
	s_waitcnt lgkmcnt(0)
	v_add_f32_e32 v6, v6, v11
	ds_bpermute_b32 v11, v3, v6
	s_waitcnt lgkmcnt(0)
	v_add_f32_e32 v6, v6, v11
	ds_bpermute_b32 v11, v4, v6
	s_waitcnt lgkmcnt(0)
	v_add_f32_e32 v6, v6, v11
	ds_bpermute_b32 v11, v9, v6
	s_waitcnt lgkmcnt(0)
	v_add_f32_e32 v6, v6, v11
	ds_bpermute_b32 v11, v10, v6
	s_waitcnt lgkmcnt(0)
	v_add_f32_e32 v6, v6, v11
.LBB137_16:
	s_or_b32 exec_lo, exec_lo, s0
	ds_bpermute_b32 v11, v1, v7
	s_waitcnt lgkmcnt(0)
	s_barrier
	buffer_gl0_inv
	v_add_f32_e32 v7, v7, v11
	ds_bpermute_b32 v11, v3, v7
	s_waitcnt lgkmcnt(0)
	v_add_f32_e32 v7, v7, v11
	ds_bpermute_b32 v11, v4, v7
	s_waitcnt lgkmcnt(0)
	v_add_f32_e32 v7, v7, v11
	ds_bpermute_b32 v11, v9, v7
	s_waitcnt lgkmcnt(0)
	v_add_f32_e32 v7, v7, v11
	ds_bpermute_b32 v11, v10, v7
	s_waitcnt lgkmcnt(0)
	v_add_f32_e32 v7, v7, v11
	v_add_f32_e32 v11, v12, v13
	ds_write_b32 v8, v7
	s_waitcnt lgkmcnt(0)
	s_barrier
	buffer_gl0_inv
	s_and_saveexec_b32 s0, vcc_lo
	s_cbranch_execz .LBB137_18
; %bb.17:
	ds_read_b32 v7, v5
	s_waitcnt lgkmcnt(0)
	ds_bpermute_b32 v12, v1, v7
	s_waitcnt lgkmcnt(0)
	v_add_f32_e32 v7, v7, v12
	ds_bpermute_b32 v12, v3, v7
	s_waitcnt lgkmcnt(0)
	v_add_f32_e32 v7, v7, v12
	ds_bpermute_b32 v12, v4, v7
	s_waitcnt lgkmcnt(0)
	v_add_f32_e32 v7, v7, v12
	ds_bpermute_b32 v12, v9, v7
	s_waitcnt lgkmcnt(0)
	v_add_f32_e32 v7, v7, v12
	ds_bpermute_b32 v12, v10, v7
	s_waitcnt lgkmcnt(0)
	v_add_f32_e32 v7, v7, v12
.LBB137_18:
	s_or_b32 exec_lo, exec_lo, s0
	ds_bpermute_b32 v12, v1, v11
	s_waitcnt lgkmcnt(0)
	s_barrier
	buffer_gl0_inv
	v_add_f32_e32 v11, v11, v12
	ds_bpermute_b32 v12, v3, v11
	s_waitcnt lgkmcnt(0)
	v_add_f32_e32 v11, v11, v12
	ds_bpermute_b32 v12, v4, v11
	s_waitcnt lgkmcnt(0)
	;; [unrolled: 3-line block ×4, first 2 shown]
	v_add_f32_e32 v11, v11, v12
	ds_write_b32 v8, v11
	s_waitcnt lgkmcnt(0)
	s_barrier
	buffer_gl0_inv
	s_and_saveexec_b32 s0, vcc_lo
	s_cbranch_execz .LBB137_20
; %bb.19:
	ds_read_b32 v5, v5
	s_waitcnt lgkmcnt(0)
	ds_bpermute_b32 v1, v1, v5
	s_waitcnt lgkmcnt(0)
	v_add_f32_e32 v1, v5, v1
	ds_bpermute_b32 v3, v3, v1
	s_waitcnt lgkmcnt(0)
	v_add_f32_e32 v1, v1, v3
	;; [unrolled: 3-line block ×5, first 2 shown]
.LBB137_20:
	s_or_b32 exec_lo, exec_lo, s0
	s_barrier
	buffer_gl0_inv
	s_mov_b32 s0, exec_lo
	v_cmpx_gt_u32_e32 4, v0
	s_cbranch_execz .LBB137_22
; %bb.21:
	s_load_dwordx2 s[0:1], s[4:5], 0x38
	v_mad_u64_u32 v[3:4], null, s18, v0, s[6:7]
	v_cmp_eq_u32_e32 vcc_lo, 1, v0
	s_mul_hi_i32 s3, s22, s10
	s_mul_i32 s2, s22, s10
	s_mul_i32 s4, s26, s7
	s_lshl_b64 s[2:3], s[2:3], 2
	v_cndmask_b32_e32 v1, v2, v6, vcc_lo
	v_ashrrev_i32_e32 v4, 31, v3
	v_cmp_eq_u32_e32 vcc_lo, 2, v0
	s_ashr_i32 s5, s4, 31
	v_cndmask_b32_e32 v5, v1, v7, vcc_lo
	v_lshlrev_b64 v[1:2], 2, v[3:4]
	v_cmp_eq_u32_e32 vcc_lo, 3, v0
	s_waitcnt lgkmcnt(0)
	s_add_u32 s2, s0, s2
	s_addc_u32 s3, s1, s3
	s_lshl_b64 s[0:1], s[4:5], 2
	v_cndmask_b32_e32 v3, v5, v11, vcc_lo
	s_add_u32 s0, s2, s0
	s_addc_u32 s1, s3, s1
	v_add_co_u32 v0, vcc_lo, s0, v1
	v_add_co_ci_u32_e64 v1, null, s1, v2, vcc_lo
	global_store_dword v[0:1], v3, off
.LBB137_22:
	s_endpgm
	.section	.rodata,"a",@progbits
	.p2align	6, 0x0
	.amdhsa_kernel _ZL13mul_mat_vec_fI6__halfS0_Li4ELi64ELb0ELb0EEvPKT_PKfPKi31ggml_cuda_mm_fusion_args_devicePfi15HIP_vector_typeIjLj3EEiiiSB_iiiSB_iiii
		.amdhsa_group_segment_fixed_size 0
		.amdhsa_private_segment_fixed_size 0
		.amdhsa_kernarg_size 144
		.amdhsa_user_sgpr_count 6
		.amdhsa_user_sgpr_private_segment_buffer 1
		.amdhsa_user_sgpr_dispatch_ptr 0
		.amdhsa_user_sgpr_queue_ptr 0
		.amdhsa_user_sgpr_kernarg_segment_ptr 1
		.amdhsa_user_sgpr_dispatch_id 0
		.amdhsa_user_sgpr_flat_scratch_init 0
		.amdhsa_user_sgpr_private_segment_size 0
		.amdhsa_wavefront_size32 1
		.amdhsa_uses_dynamic_stack 0
		.amdhsa_system_sgpr_private_segment_wavefront_offset 0
		.amdhsa_system_sgpr_workgroup_id_x 1
		.amdhsa_system_sgpr_workgroup_id_y 1
		.amdhsa_system_sgpr_workgroup_id_z 1
		.amdhsa_system_sgpr_workgroup_info 0
		.amdhsa_system_vgpr_workitem_id 0
		.amdhsa_next_free_vgpr 20
		.amdhsa_next_free_sgpr 36
		.amdhsa_reserve_vcc 1
		.amdhsa_reserve_flat_scratch 0
		.amdhsa_float_round_mode_32 0
		.amdhsa_float_round_mode_16_64 0
		.amdhsa_float_denorm_mode_32 3
		.amdhsa_float_denorm_mode_16_64 3
		.amdhsa_dx10_clamp 1
		.amdhsa_ieee_mode 1
		.amdhsa_fp16_overflow 0
		.amdhsa_workgroup_processor_mode 1
		.amdhsa_memory_ordered 1
		.amdhsa_forward_progress 1
		.amdhsa_shared_vgpr_count 0
		.amdhsa_exception_fp_ieee_invalid_op 0
		.amdhsa_exception_fp_denorm_src 0
		.amdhsa_exception_fp_ieee_div_zero 0
		.amdhsa_exception_fp_ieee_overflow 0
		.amdhsa_exception_fp_ieee_underflow 0
		.amdhsa_exception_fp_ieee_inexact 0
		.amdhsa_exception_int_div_zero 0
	.end_amdhsa_kernel
	.section	.text._ZL13mul_mat_vec_fI6__halfS0_Li4ELi64ELb0ELb0EEvPKT_PKfPKi31ggml_cuda_mm_fusion_args_devicePfi15HIP_vector_typeIjLj3EEiiiSB_iiiSB_iiii,"axG",@progbits,_ZL13mul_mat_vec_fI6__halfS0_Li4ELi64ELb0ELb0EEvPKT_PKfPKi31ggml_cuda_mm_fusion_args_devicePfi15HIP_vector_typeIjLj3EEiiiSB_iiiSB_iiii,comdat
.Lfunc_end137:
	.size	_ZL13mul_mat_vec_fI6__halfS0_Li4ELi64ELb0ELb0EEvPKT_PKfPKi31ggml_cuda_mm_fusion_args_devicePfi15HIP_vector_typeIjLj3EEiiiSB_iiiSB_iiii, .Lfunc_end137-_ZL13mul_mat_vec_fI6__halfS0_Li4ELi64ELb0ELb0EEvPKT_PKfPKi31ggml_cuda_mm_fusion_args_devicePfi15HIP_vector_typeIjLj3EEiiiSB_iiiSB_iiii
                                        ; -- End function
	.set _ZL13mul_mat_vec_fI6__halfS0_Li4ELi64ELb0ELb0EEvPKT_PKfPKi31ggml_cuda_mm_fusion_args_devicePfi15HIP_vector_typeIjLj3EEiiiSB_iiiSB_iiii.num_vgpr, 20
	.set _ZL13mul_mat_vec_fI6__halfS0_Li4ELi64ELb0ELb0EEvPKT_PKfPKi31ggml_cuda_mm_fusion_args_devicePfi15HIP_vector_typeIjLj3EEiiiSB_iiiSB_iiii.num_agpr, 0
	.set _ZL13mul_mat_vec_fI6__halfS0_Li4ELi64ELb0ELb0EEvPKT_PKfPKi31ggml_cuda_mm_fusion_args_devicePfi15HIP_vector_typeIjLj3EEiiiSB_iiiSB_iiii.numbered_sgpr, 36
	.set _ZL13mul_mat_vec_fI6__halfS0_Li4ELi64ELb0ELb0EEvPKT_PKfPKi31ggml_cuda_mm_fusion_args_devicePfi15HIP_vector_typeIjLj3EEiiiSB_iiiSB_iiii.num_named_barrier, 0
	.set _ZL13mul_mat_vec_fI6__halfS0_Li4ELi64ELb0ELb0EEvPKT_PKfPKi31ggml_cuda_mm_fusion_args_devicePfi15HIP_vector_typeIjLj3EEiiiSB_iiiSB_iiii.private_seg_size, 0
	.set _ZL13mul_mat_vec_fI6__halfS0_Li4ELi64ELb0ELb0EEvPKT_PKfPKi31ggml_cuda_mm_fusion_args_devicePfi15HIP_vector_typeIjLj3EEiiiSB_iiiSB_iiii.uses_vcc, 1
	.set _ZL13mul_mat_vec_fI6__halfS0_Li4ELi64ELb0ELb0EEvPKT_PKfPKi31ggml_cuda_mm_fusion_args_devicePfi15HIP_vector_typeIjLj3EEiiiSB_iiiSB_iiii.uses_flat_scratch, 0
	.set _ZL13mul_mat_vec_fI6__halfS0_Li4ELi64ELb0ELb0EEvPKT_PKfPKi31ggml_cuda_mm_fusion_args_devicePfi15HIP_vector_typeIjLj3EEiiiSB_iiiSB_iiii.has_dyn_sized_stack, 0
	.set _ZL13mul_mat_vec_fI6__halfS0_Li4ELi64ELb0ELb0EEvPKT_PKfPKi31ggml_cuda_mm_fusion_args_devicePfi15HIP_vector_typeIjLj3EEiiiSB_iiiSB_iiii.has_recursion, 0
	.set _ZL13mul_mat_vec_fI6__halfS0_Li4ELi64ELb0ELb0EEvPKT_PKfPKi31ggml_cuda_mm_fusion_args_devicePfi15HIP_vector_typeIjLj3EEiiiSB_iiiSB_iiii.has_indirect_call, 0
	.section	.AMDGPU.csdata,"",@progbits
; Kernel info:
; codeLenInByte = 2036
; TotalNumSgprs: 38
; NumVgprs: 20
; ScratchSize: 0
; MemoryBound: 0
; FloatMode: 240
; IeeeMode: 1
; LDSByteSize: 0 bytes/workgroup (compile time only)
; SGPRBlocks: 0
; VGPRBlocks: 2
; NumSGPRsForWavesPerEU: 38
; NumVGPRsForWavesPerEU: 20
; Occupancy: 16
; WaveLimiterHint : 0
; COMPUTE_PGM_RSRC2:SCRATCH_EN: 0
; COMPUTE_PGM_RSRC2:USER_SGPR: 6
; COMPUTE_PGM_RSRC2:TRAP_HANDLER: 0
; COMPUTE_PGM_RSRC2:TGID_X_EN: 1
; COMPUTE_PGM_RSRC2:TGID_Y_EN: 1
; COMPUTE_PGM_RSRC2:TGID_Z_EN: 1
; COMPUTE_PGM_RSRC2:TIDIG_COMP_CNT: 0
	.section	.text._ZL13mul_mat_vec_fI6__halfS0_Li4ELi96ELb0ELb0EEvPKT_PKfPKi31ggml_cuda_mm_fusion_args_devicePfi15HIP_vector_typeIjLj3EEiiiSB_iiiSB_iiii,"axG",@progbits,_ZL13mul_mat_vec_fI6__halfS0_Li4ELi96ELb0ELb0EEvPKT_PKfPKi31ggml_cuda_mm_fusion_args_devicePfi15HIP_vector_typeIjLj3EEiiiSB_iiiSB_iiii,comdat
	.globl	_ZL13mul_mat_vec_fI6__halfS0_Li4ELi96ELb0ELb0EEvPKT_PKfPKi31ggml_cuda_mm_fusion_args_devicePfi15HIP_vector_typeIjLj3EEiiiSB_iiiSB_iiii ; -- Begin function _ZL13mul_mat_vec_fI6__halfS0_Li4ELi96ELb0ELb0EEvPKT_PKfPKi31ggml_cuda_mm_fusion_args_devicePfi15HIP_vector_typeIjLj3EEiiiSB_iiiSB_iiii
	.p2align	8
	.type	_ZL13mul_mat_vec_fI6__halfS0_Li4ELi96ELb0ELb0EEvPKT_PKfPKi31ggml_cuda_mm_fusion_args_devicePfi15HIP_vector_typeIjLj3EEiiiSB_iiiSB_iiii,@function
_ZL13mul_mat_vec_fI6__halfS0_Li4ELi96ELb0ELb0EEvPKT_PKfPKi31ggml_cuda_mm_fusion_args_devicePfi15HIP_vector_typeIjLj3EEiiiSB_iiiSB_iiii: ; @_ZL13mul_mat_vec_fI6__halfS0_Li4ELi96ELb0ELb0EEvPKT_PKfPKi31ggml_cuda_mm_fusion_args_devicePfi15HIP_vector_typeIjLj3EEiiiSB_iiiSB_iiii
; %bb.0:
	s_clause 0x2
	s_load_dwordx2 s[0:1], s[4:5], 0x10
	s_load_dwordx8 s[12:19], s[4:5], 0x40
	s_load_dwordx4 s[20:23], s[4:5], 0x80
	s_waitcnt lgkmcnt(0)
	s_cmp_eq_u64 s[0:1], 0
	s_cselect_b32 s10, -1, 0
	s_cmp_lg_u64 s[0:1], 0
	s_cselect_b32 s9, -1, 0
	s_and_b32 vcc_lo, exec_lo, s10
	s_cbranch_vccnz .LBB138_2
; %bb.1:
	s_mul_i32 s2, s23, s8
	s_mov_b32 s3, 0
	s_add_i32 s2, s2, s7
	s_lshl_b64 s[24:25], s[2:3], 2
	s_add_u32 s0, s0, s24
	s_addc_u32 s1, s1, s25
	s_load_dword s19, s[0:1], 0x0
	s_cbranch_execz .LBB138_3
	s_branch .LBB138_4
.LBB138_2:
                                        ; implicit-def: $sgpr19
.LBB138_3:
	s_load_dwordx2 s[0:1], s[4:5], 0x5c
	s_waitcnt lgkmcnt(0)
	s_mul_hi_u32 s0, s0, s7
	s_add_i32 s0, s7, s0
	s_lshr_b32 s19, s0, s1
.LBB138_4:
	s_load_dwordx4 s[24:27], s[4:5], 0x68
	s_andn2_b32 vcc_lo, exec_lo, s9
	s_mov_b32 s23, s7
	s_cbranch_vccnz .LBB138_6
; %bb.5:
	s_mul_hi_u32 s0, s13, s7
	s_add_i32 s0, s7, s0
	s_lshr_b32 s0, s0, s14
	s_mul_i32 s0, s0, s15
	s_sub_i32 s23, s7, s0
.LBB138_6:
	s_load_dword s9, s[4:5], 0x78
	v_cmp_gt_u32_e32 vcc_lo, 32, v0
	v_lshl_add_u32 v5, v0, 2, 0
	s_and_saveexec_b32 s0, vcc_lo
; %bb.7:
	v_mov_b32_e32 v1, 0
	ds_write_b32 v5, v1
; %bb.8:
	s_or_b32 exec_lo, exec_lo, s0
	v_mov_b32_e32 v9, 0
	v_mov_b32_e32 v8, 0
	;; [unrolled: 1-line block ×4, first 2 shown]
	s_and_b32 s0, exec_lo, s10
	s_cselect_b32 s10, s8, 0
	s_mov_b32 s11, exec_lo
	s_waitcnt lgkmcnt(0)
	s_barrier
	buffer_gl0_inv
	v_cmpx_gt_i32_e64 s12, v0
	s_cbranch_execz .LBB138_12
; %bb.9:
	s_load_dwordx4 s[0:3], s[4:5], 0x0
	s_mul_hi_u32 s13, s27, s10
	s_mul_hi_i32 s15, s21, s10
	s_mul_i32 s14, s21, s10
	s_mul_i32 s24, s19, s24
	;; [unrolled: 1-line block ×4, first 2 shown]
	s_add_i32 s13, s10, s13
	s_lshl_b64 s[34:35], s[14:15], 2
	s_ashr_i32 s25, s24, 31
	s_ashr_i32 s29, s28, 31
	;; [unrolled: 1-line block ×3, first 2 shown]
	s_lshr_b32 s9, s13, s9
	s_mov_b32 s8, s17
	s_mul_hi_i32 s21, s9, s20
	s_mul_i32 s20, s9, s20
	v_lshlrev_b32_e32 v2, 3, v0
	v_lshlrev_b32_e32 v1, 2, v0
	v_mov_b32_e32 v6, 0
	v_mov_b32_e32 v7, 0
	s_waitcnt lgkmcnt(0)
	s_add_u32 s13, s2, s34
	s_addc_u32 s14, s3, s35
	s_lshl_b64 s[30:31], s[30:31], 2
	v_mov_b32_e32 v8, 0
	s_add_u32 s13, s13, s30
	s_addc_u32 s14, s14, s31
	s_lshl_b64 s[24:25], s[24:25], 1
	s_ashr_i32 s9, s17, 31
	s_add_i32 s15, s17, s17
	s_lshl_b64 s[20:21], s[20:21], 1
	s_lshl_b64 s[28:29], s[28:29], 1
	s_add_u32 s0, s0, s24
	s_addc_u32 s1, s1, s25
	s_add_u32 s0, s0, s28
	s_addc_u32 s1, s1, s29
	;; [unrolled: 2-line block ×3, first 2 shown]
	s_lshl_b64 s[8:9], s[8:9], 3
	s_add_u32 s2, s2, s30
	s_addc_u32 s3, s3, s31
	s_add_u32 s2, s2, s34
	s_addc_u32 s3, s3, s35
	v_add_co_u32 v3, s2, s2, v2
	v_add_co_ci_u32_e64 v4, null, s3, 0, s2
	v_add_co_u32 v1, s0, s0, v1
	v_add_co_ci_u32_e64 v2, null, s1, 0, s0
	;; [unrolled: 2-line block ×3, first 2 shown]
	v_mov_b32_e32 v9, 0
	v_mov_b32_e32 v10, v0
	s_mul_i32 s2, s17, 3
	s_mov_b32 s1, 0
.LBB138_10:                             ; =>This Inner Loop Header: Depth=1
	v_add_nc_u32_e32 v13, s15, v10
	v_add_nc_u32_e32 v17, s2, v10
	v_add_co_u32 v15, s0, v3, s8
	v_add_co_ci_u32_e64 v16, null, s9, v4, s0
	v_ashrrev_i32_e32 v14, 31, v13
	v_ashrrev_i32_e32 v18, 31, v17
	s_clause 0x1
	global_load_dwordx2 v[11:12], v[3:4], off offset:-4
	global_load_dwordx2 v[15:16], v[15:16], off offset:-4
	v_add_nc_u32_e32 v10, 0x60, v10
	v_lshlrev_b64 v[13:14], 3, v[13:14]
	v_lshlrev_b64 v[17:18], 3, v[17:18]
	v_add_co_u32 v13, s0, s13, v13
	v_add_co_ci_u32_e64 v14, null, s14, v14, s0
	v_add_co_u32 v17, s0, s13, v17
	v_add_co_ci_u32_e64 v18, null, s14, v18, s0
	s_clause 0x1
	global_load_dwordx2 v[13:14], v[13:14], off
	global_load_dwordx2 v[17:18], v[17:18], off
	global_load_dword v19, v[1:2], off
	v_add_co_u32 v1, s0, 0x180, v1
	v_add_co_ci_u32_e64 v2, null, 0, v2, s0
	v_add_co_u32 v3, s0, 0x300, v3
	v_add_co_ci_u32_e64 v4, null, 0, v4, s0
	v_cmp_le_i32_e64 s0, s12, v10
	s_or_b32 s1, s0, s1
	s_waitcnt vmcnt(4)
	v_cvt_f16_f32_e32 v11, v11
	v_cvt_f16_f32_e32 v12, v12
	s_waitcnt vmcnt(3)
	v_cvt_f16_f32_e32 v15, v15
	v_cvt_f16_f32_e32 v16, v16
	v_pack_b32_f16 v11, v11, v12
	v_pack_b32_f16 v12, v15, v16
	s_waitcnt vmcnt(2)
	v_cvt_f16_f32_e32 v13, v13
	v_cvt_f16_f32_e32 v14, v14
	s_waitcnt vmcnt(1)
	v_cvt_f16_f32_e32 v17, v17
	v_cvt_f16_f32_e32 v18, v18
	s_waitcnt vmcnt(0)
	v_pk_fma_f16 v9, v19, v11, v9
	v_pk_fma_f16 v8, v19, v12, v8
	v_pack_b32_f16 v13, v13, v14
	v_pack_b32_f16 v14, v17, v18
	v_pk_fma_f16 v7, v19, v13, v7
	v_pk_fma_f16 v6, v19, v14, v6
	s_andn2_b32 exec_lo, exec_lo, s1
	s_cbranch_execnz .LBB138_10
; %bb.11:
	s_or_b32 exec_lo, exec_lo, s1
.LBB138_12:
	s_or_b32 exec_lo, exec_lo, s11
	v_mbcnt_lo_u32_b32 v2, -1, 0
	v_cvt_f32_f16_e32 v3, v9
	v_cvt_f32_f16_sdwa v4, v9 dst_sel:DWORD dst_unused:UNUSED_PAD src0_sel:WORD_1
	v_cvt_f32_f16_e32 v13, v8
	v_cvt_f32_f16_sdwa v14, v8 dst_sel:DWORD dst_unused:UNUSED_PAD src0_sel:WORD_1
	v_xor_b32_e32 v1, 16, v2
	v_add_f32_e32 v4, v3, v4
	v_xor_b32_e32 v3, 8, v2
	v_cmp_gt_i32_e64 s0, 32, v1
	v_cndmask_b32_e64 v1, v2, v1, s0
	v_cmp_gt_i32_e64 s0, 32, v3
	v_lshlrev_b32_e32 v1, 2, v1
	v_cndmask_b32_e64 v3, v2, v3, s0
	ds_bpermute_b32 v9, v1, v4
	v_lshlrev_b32_e32 v3, 2, v3
	s_waitcnt lgkmcnt(0)
	v_add_f32_e32 v9, v4, v9
	v_xor_b32_e32 v4, 4, v2
	ds_bpermute_b32 v10, v3, v9
	v_cmp_gt_i32_e64 s0, 32, v4
	v_cndmask_b32_e64 v4, v2, v4, s0
	v_lshlrev_b32_e32 v4, 2, v4
	s_waitcnt lgkmcnt(0)
	v_add_f32_e32 v10, v9, v10
	v_xor_b32_e32 v9, 2, v2
	ds_bpermute_b32 v11, v4, v10
	v_cmp_gt_i32_e64 s0, 32, v9
	v_cndmask_b32_e64 v9, v2, v9, s0
	;; [unrolled: 7-line block ×3, first 2 shown]
	v_lshlrev_b32_e32 v10, 2, v2
	s_waitcnt lgkmcnt(0)
	v_add_f32_e32 v2, v11, v12
	v_lshrrev_b32_e32 v12, 3, v0
	ds_bpermute_b32 v11, v10, v2
	v_and_b32_e32 v12, 0x7c, v12
	v_add_nc_u32_e32 v8, 0, v12
	v_add_f32_e32 v12, v13, v14
	s_waitcnt lgkmcnt(0)
	v_add_f32_e32 v2, v2, v11
	v_cvt_f32_f16_e32 v11, v7
	v_cvt_f32_f16_sdwa v7, v7 dst_sel:DWORD dst_unused:UNUSED_PAD src0_sel:WORD_1
	ds_write_b32 v8, v2
	s_waitcnt lgkmcnt(0)
	s_barrier
	buffer_gl0_inv
	s_and_saveexec_b32 s0, vcc_lo
	s_cbranch_execz .LBB138_14
; %bb.13:
	ds_read_b32 v2, v5
	s_waitcnt lgkmcnt(0)
	ds_bpermute_b32 v13, v1, v2
	s_waitcnt lgkmcnt(0)
	v_add_f32_e32 v2, v2, v13
	ds_bpermute_b32 v13, v3, v2
	s_waitcnt lgkmcnt(0)
	v_add_f32_e32 v2, v2, v13
	;; [unrolled: 3-line block ×5, first 2 shown]
.LBB138_14:
	s_or_b32 exec_lo, exec_lo, s0
	ds_bpermute_b32 v13, v1, v12
	v_add_f32_e32 v7, v11, v7
	s_waitcnt lgkmcnt(0)
	s_barrier
	buffer_gl0_inv
	v_add_f32_e32 v12, v12, v13
	ds_bpermute_b32 v13, v3, v12
	s_waitcnt lgkmcnt(0)
	v_add_f32_e32 v12, v12, v13
	ds_bpermute_b32 v13, v4, v12
	s_waitcnt lgkmcnt(0)
	;; [unrolled: 3-line block ×3, first 2 shown]
	v_add_f32_e32 v14, v12, v13
	v_cvt_f32_f16_e32 v12, v6
	v_cvt_f32_f16_sdwa v13, v6 dst_sel:DWORD dst_unused:UNUSED_PAD src0_sel:WORD_1
	ds_bpermute_b32 v15, v10, v14
	s_waitcnt lgkmcnt(0)
	v_add_f32_e32 v6, v14, v15
	ds_write_b32 v8, v6
	s_waitcnt lgkmcnt(0)
	s_barrier
	buffer_gl0_inv
	s_and_saveexec_b32 s0, vcc_lo
	s_cbranch_execz .LBB138_16
; %bb.15:
	ds_read_b32 v6, v5
	s_waitcnt lgkmcnt(0)
	ds_bpermute_b32 v11, v1, v6
	s_waitcnt lgkmcnt(0)
	v_add_f32_e32 v6, v6, v11
	ds_bpermute_b32 v11, v3, v6
	s_waitcnt lgkmcnt(0)
	v_add_f32_e32 v6, v6, v11
	ds_bpermute_b32 v11, v4, v6
	s_waitcnt lgkmcnt(0)
	v_add_f32_e32 v6, v6, v11
	ds_bpermute_b32 v11, v9, v6
	s_waitcnt lgkmcnt(0)
	v_add_f32_e32 v6, v6, v11
	ds_bpermute_b32 v11, v10, v6
	s_waitcnt lgkmcnt(0)
	v_add_f32_e32 v6, v6, v11
.LBB138_16:
	s_or_b32 exec_lo, exec_lo, s0
	ds_bpermute_b32 v11, v1, v7
	s_waitcnt lgkmcnt(0)
	s_barrier
	buffer_gl0_inv
	v_add_f32_e32 v7, v7, v11
	ds_bpermute_b32 v11, v3, v7
	s_waitcnt lgkmcnt(0)
	v_add_f32_e32 v7, v7, v11
	ds_bpermute_b32 v11, v4, v7
	s_waitcnt lgkmcnt(0)
	;; [unrolled: 3-line block ×4, first 2 shown]
	v_add_f32_e32 v7, v7, v11
	v_add_f32_e32 v11, v12, v13
	ds_write_b32 v8, v7
	s_waitcnt lgkmcnt(0)
	s_barrier
	buffer_gl0_inv
	s_and_saveexec_b32 s0, vcc_lo
	s_cbranch_execz .LBB138_18
; %bb.17:
	ds_read_b32 v7, v5
	s_waitcnt lgkmcnt(0)
	ds_bpermute_b32 v12, v1, v7
	s_waitcnt lgkmcnt(0)
	v_add_f32_e32 v7, v7, v12
	ds_bpermute_b32 v12, v3, v7
	s_waitcnt lgkmcnt(0)
	v_add_f32_e32 v7, v7, v12
	;; [unrolled: 3-line block ×5, first 2 shown]
.LBB138_18:
	s_or_b32 exec_lo, exec_lo, s0
	ds_bpermute_b32 v12, v1, v11
	s_waitcnt lgkmcnt(0)
	s_barrier
	buffer_gl0_inv
	v_add_f32_e32 v11, v11, v12
	ds_bpermute_b32 v12, v3, v11
	s_waitcnt lgkmcnt(0)
	v_add_f32_e32 v11, v11, v12
	ds_bpermute_b32 v12, v4, v11
	s_waitcnt lgkmcnt(0)
	;; [unrolled: 3-line block ×4, first 2 shown]
	v_add_f32_e32 v11, v11, v12
	ds_write_b32 v8, v11
	s_waitcnt lgkmcnt(0)
	s_barrier
	buffer_gl0_inv
	s_and_saveexec_b32 s0, vcc_lo
	s_cbranch_execz .LBB138_20
; %bb.19:
	ds_read_b32 v5, v5
	s_waitcnt lgkmcnt(0)
	ds_bpermute_b32 v1, v1, v5
	s_waitcnt lgkmcnt(0)
	v_add_f32_e32 v1, v5, v1
	ds_bpermute_b32 v3, v3, v1
	s_waitcnt lgkmcnt(0)
	v_add_f32_e32 v1, v1, v3
	;; [unrolled: 3-line block ×5, first 2 shown]
.LBB138_20:
	s_or_b32 exec_lo, exec_lo, s0
	s_barrier
	buffer_gl0_inv
	s_mov_b32 s0, exec_lo
	v_cmpx_gt_u32_e32 4, v0
	s_cbranch_execz .LBB138_22
; %bb.21:
	s_load_dwordx2 s[0:1], s[4:5], 0x38
	v_mad_u64_u32 v[3:4], null, s18, v0, s[6:7]
	v_cmp_eq_u32_e32 vcc_lo, 1, v0
	s_mul_hi_i32 s3, s22, s10
	s_mul_i32 s2, s22, s10
	s_mul_i32 s4, s26, s7
	s_lshl_b64 s[2:3], s[2:3], 2
	v_cndmask_b32_e32 v1, v2, v6, vcc_lo
	v_ashrrev_i32_e32 v4, 31, v3
	v_cmp_eq_u32_e32 vcc_lo, 2, v0
	s_ashr_i32 s5, s4, 31
	v_cndmask_b32_e32 v5, v1, v7, vcc_lo
	v_lshlrev_b64 v[1:2], 2, v[3:4]
	v_cmp_eq_u32_e32 vcc_lo, 3, v0
	s_waitcnt lgkmcnt(0)
	s_add_u32 s2, s0, s2
	s_addc_u32 s3, s1, s3
	s_lshl_b64 s[0:1], s[4:5], 2
	v_cndmask_b32_e32 v3, v5, v11, vcc_lo
	s_add_u32 s0, s2, s0
	s_addc_u32 s1, s3, s1
	v_add_co_u32 v0, vcc_lo, s0, v1
	v_add_co_ci_u32_e64 v1, null, s1, v2, vcc_lo
	global_store_dword v[0:1], v3, off
.LBB138_22:
	s_endpgm
	.section	.rodata,"a",@progbits
	.p2align	6, 0x0
	.amdhsa_kernel _ZL13mul_mat_vec_fI6__halfS0_Li4ELi96ELb0ELb0EEvPKT_PKfPKi31ggml_cuda_mm_fusion_args_devicePfi15HIP_vector_typeIjLj3EEiiiSB_iiiSB_iiii
		.amdhsa_group_segment_fixed_size 0
		.amdhsa_private_segment_fixed_size 0
		.amdhsa_kernarg_size 144
		.amdhsa_user_sgpr_count 6
		.amdhsa_user_sgpr_private_segment_buffer 1
		.amdhsa_user_sgpr_dispatch_ptr 0
		.amdhsa_user_sgpr_queue_ptr 0
		.amdhsa_user_sgpr_kernarg_segment_ptr 1
		.amdhsa_user_sgpr_dispatch_id 0
		.amdhsa_user_sgpr_flat_scratch_init 0
		.amdhsa_user_sgpr_private_segment_size 0
		.amdhsa_wavefront_size32 1
		.amdhsa_uses_dynamic_stack 0
		.amdhsa_system_sgpr_private_segment_wavefront_offset 0
		.amdhsa_system_sgpr_workgroup_id_x 1
		.amdhsa_system_sgpr_workgroup_id_y 1
		.amdhsa_system_sgpr_workgroup_id_z 1
		.amdhsa_system_sgpr_workgroup_info 0
		.amdhsa_system_vgpr_workitem_id 0
		.amdhsa_next_free_vgpr 20
		.amdhsa_next_free_sgpr 36
		.amdhsa_reserve_vcc 1
		.amdhsa_reserve_flat_scratch 0
		.amdhsa_float_round_mode_32 0
		.amdhsa_float_round_mode_16_64 0
		.amdhsa_float_denorm_mode_32 3
		.amdhsa_float_denorm_mode_16_64 3
		.amdhsa_dx10_clamp 1
		.amdhsa_ieee_mode 1
		.amdhsa_fp16_overflow 0
		.amdhsa_workgroup_processor_mode 1
		.amdhsa_memory_ordered 1
		.amdhsa_forward_progress 1
		.amdhsa_shared_vgpr_count 0
		.amdhsa_exception_fp_ieee_invalid_op 0
		.amdhsa_exception_fp_denorm_src 0
		.amdhsa_exception_fp_ieee_div_zero 0
		.amdhsa_exception_fp_ieee_overflow 0
		.amdhsa_exception_fp_ieee_underflow 0
		.amdhsa_exception_fp_ieee_inexact 0
		.amdhsa_exception_int_div_zero 0
	.end_amdhsa_kernel
	.section	.text._ZL13mul_mat_vec_fI6__halfS0_Li4ELi96ELb0ELb0EEvPKT_PKfPKi31ggml_cuda_mm_fusion_args_devicePfi15HIP_vector_typeIjLj3EEiiiSB_iiiSB_iiii,"axG",@progbits,_ZL13mul_mat_vec_fI6__halfS0_Li4ELi96ELb0ELb0EEvPKT_PKfPKi31ggml_cuda_mm_fusion_args_devicePfi15HIP_vector_typeIjLj3EEiiiSB_iiiSB_iiii,comdat
.Lfunc_end138:
	.size	_ZL13mul_mat_vec_fI6__halfS0_Li4ELi96ELb0ELb0EEvPKT_PKfPKi31ggml_cuda_mm_fusion_args_devicePfi15HIP_vector_typeIjLj3EEiiiSB_iiiSB_iiii, .Lfunc_end138-_ZL13mul_mat_vec_fI6__halfS0_Li4ELi96ELb0ELb0EEvPKT_PKfPKi31ggml_cuda_mm_fusion_args_devicePfi15HIP_vector_typeIjLj3EEiiiSB_iiiSB_iiii
                                        ; -- End function
	.set _ZL13mul_mat_vec_fI6__halfS0_Li4ELi96ELb0ELb0EEvPKT_PKfPKi31ggml_cuda_mm_fusion_args_devicePfi15HIP_vector_typeIjLj3EEiiiSB_iiiSB_iiii.num_vgpr, 20
	.set _ZL13mul_mat_vec_fI6__halfS0_Li4ELi96ELb0ELb0EEvPKT_PKfPKi31ggml_cuda_mm_fusion_args_devicePfi15HIP_vector_typeIjLj3EEiiiSB_iiiSB_iiii.num_agpr, 0
	.set _ZL13mul_mat_vec_fI6__halfS0_Li4ELi96ELb0ELb0EEvPKT_PKfPKi31ggml_cuda_mm_fusion_args_devicePfi15HIP_vector_typeIjLj3EEiiiSB_iiiSB_iiii.numbered_sgpr, 36
	.set _ZL13mul_mat_vec_fI6__halfS0_Li4ELi96ELb0ELb0EEvPKT_PKfPKi31ggml_cuda_mm_fusion_args_devicePfi15HIP_vector_typeIjLj3EEiiiSB_iiiSB_iiii.num_named_barrier, 0
	.set _ZL13mul_mat_vec_fI6__halfS0_Li4ELi96ELb0ELb0EEvPKT_PKfPKi31ggml_cuda_mm_fusion_args_devicePfi15HIP_vector_typeIjLj3EEiiiSB_iiiSB_iiii.private_seg_size, 0
	.set _ZL13mul_mat_vec_fI6__halfS0_Li4ELi96ELb0ELb0EEvPKT_PKfPKi31ggml_cuda_mm_fusion_args_devicePfi15HIP_vector_typeIjLj3EEiiiSB_iiiSB_iiii.uses_vcc, 1
	.set _ZL13mul_mat_vec_fI6__halfS0_Li4ELi96ELb0ELb0EEvPKT_PKfPKi31ggml_cuda_mm_fusion_args_devicePfi15HIP_vector_typeIjLj3EEiiiSB_iiiSB_iiii.uses_flat_scratch, 0
	.set _ZL13mul_mat_vec_fI6__halfS0_Li4ELi96ELb0ELb0EEvPKT_PKfPKi31ggml_cuda_mm_fusion_args_devicePfi15HIP_vector_typeIjLj3EEiiiSB_iiiSB_iiii.has_dyn_sized_stack, 0
	.set _ZL13mul_mat_vec_fI6__halfS0_Li4ELi96ELb0ELb0EEvPKT_PKfPKi31ggml_cuda_mm_fusion_args_devicePfi15HIP_vector_typeIjLj3EEiiiSB_iiiSB_iiii.has_recursion, 0
	.set _ZL13mul_mat_vec_fI6__halfS0_Li4ELi96ELb0ELb0EEvPKT_PKfPKi31ggml_cuda_mm_fusion_args_devicePfi15HIP_vector_typeIjLj3EEiiiSB_iiiSB_iiii.has_indirect_call, 0
	.section	.AMDGPU.csdata,"",@progbits
; Kernel info:
; codeLenInByte = 2040
; TotalNumSgprs: 38
; NumVgprs: 20
; ScratchSize: 0
; MemoryBound: 0
; FloatMode: 240
; IeeeMode: 1
; LDSByteSize: 0 bytes/workgroup (compile time only)
; SGPRBlocks: 0
; VGPRBlocks: 2
; NumSGPRsForWavesPerEU: 38
; NumVGPRsForWavesPerEU: 20
; Occupancy: 16
; WaveLimiterHint : 0
; COMPUTE_PGM_RSRC2:SCRATCH_EN: 0
; COMPUTE_PGM_RSRC2:USER_SGPR: 6
; COMPUTE_PGM_RSRC2:TRAP_HANDLER: 0
; COMPUTE_PGM_RSRC2:TGID_X_EN: 1
; COMPUTE_PGM_RSRC2:TGID_Y_EN: 1
; COMPUTE_PGM_RSRC2:TGID_Z_EN: 1
; COMPUTE_PGM_RSRC2:TIDIG_COMP_CNT: 0
	.section	.text._ZL13mul_mat_vec_fI6__halfS0_Li4ELi128ELb0ELb0EEvPKT_PKfPKi31ggml_cuda_mm_fusion_args_devicePfi15HIP_vector_typeIjLj3EEiiiSB_iiiSB_iiii,"axG",@progbits,_ZL13mul_mat_vec_fI6__halfS0_Li4ELi128ELb0ELb0EEvPKT_PKfPKi31ggml_cuda_mm_fusion_args_devicePfi15HIP_vector_typeIjLj3EEiiiSB_iiiSB_iiii,comdat
	.globl	_ZL13mul_mat_vec_fI6__halfS0_Li4ELi128ELb0ELb0EEvPKT_PKfPKi31ggml_cuda_mm_fusion_args_devicePfi15HIP_vector_typeIjLj3EEiiiSB_iiiSB_iiii ; -- Begin function _ZL13mul_mat_vec_fI6__halfS0_Li4ELi128ELb0ELb0EEvPKT_PKfPKi31ggml_cuda_mm_fusion_args_devicePfi15HIP_vector_typeIjLj3EEiiiSB_iiiSB_iiii
	.p2align	8
	.type	_ZL13mul_mat_vec_fI6__halfS0_Li4ELi128ELb0ELb0EEvPKT_PKfPKi31ggml_cuda_mm_fusion_args_devicePfi15HIP_vector_typeIjLj3EEiiiSB_iiiSB_iiii,@function
_ZL13mul_mat_vec_fI6__halfS0_Li4ELi128ELb0ELb0EEvPKT_PKfPKi31ggml_cuda_mm_fusion_args_devicePfi15HIP_vector_typeIjLj3EEiiiSB_iiiSB_iiii: ; @_ZL13mul_mat_vec_fI6__halfS0_Li4ELi128ELb0ELb0EEvPKT_PKfPKi31ggml_cuda_mm_fusion_args_devicePfi15HIP_vector_typeIjLj3EEiiiSB_iiiSB_iiii
; %bb.0:
	s_clause 0x2
	s_load_dwordx2 s[0:1], s[4:5], 0x10
	s_load_dwordx8 s[12:19], s[4:5], 0x40
	s_load_dwordx4 s[20:23], s[4:5], 0x80
	s_waitcnt lgkmcnt(0)
	s_cmp_eq_u64 s[0:1], 0
	s_cselect_b32 s10, -1, 0
	s_cmp_lg_u64 s[0:1], 0
	s_cselect_b32 s9, -1, 0
	s_and_b32 vcc_lo, exec_lo, s10
	s_cbranch_vccnz .LBB139_2
; %bb.1:
	s_mul_i32 s2, s23, s8
	s_mov_b32 s3, 0
	s_add_i32 s2, s2, s7
	s_lshl_b64 s[24:25], s[2:3], 2
	s_add_u32 s0, s0, s24
	s_addc_u32 s1, s1, s25
	s_load_dword s19, s[0:1], 0x0
	s_cbranch_execz .LBB139_3
	s_branch .LBB139_4
.LBB139_2:
                                        ; implicit-def: $sgpr19
.LBB139_3:
	s_load_dwordx2 s[0:1], s[4:5], 0x5c
	s_waitcnt lgkmcnt(0)
	s_mul_hi_u32 s0, s0, s7
	s_add_i32 s0, s7, s0
	s_lshr_b32 s19, s0, s1
.LBB139_4:
	s_load_dwordx4 s[24:27], s[4:5], 0x68
	s_andn2_b32 vcc_lo, exec_lo, s9
	s_mov_b32 s23, s7
	s_cbranch_vccnz .LBB139_6
; %bb.5:
	s_mul_hi_u32 s0, s13, s7
	s_add_i32 s0, s7, s0
	s_lshr_b32 s0, s0, s14
	s_mul_i32 s0, s0, s15
	s_sub_i32 s23, s7, s0
.LBB139_6:
	s_load_dword s9, s[4:5], 0x78
	v_cmp_gt_u32_e32 vcc_lo, 32, v0
	v_lshl_add_u32 v5, v0, 2, 0
	s_and_saveexec_b32 s0, vcc_lo
; %bb.7:
	v_mov_b32_e32 v1, 0
	ds_write_b32 v5, v1
; %bb.8:
	s_or_b32 exec_lo, exec_lo, s0
	v_mov_b32_e32 v9, 0
	v_mov_b32_e32 v8, 0
	;; [unrolled: 1-line block ×4, first 2 shown]
	s_and_b32 s0, exec_lo, s10
	s_cselect_b32 s10, s8, 0
	s_mov_b32 s11, exec_lo
	s_waitcnt lgkmcnt(0)
	s_barrier
	buffer_gl0_inv
	v_cmpx_gt_i32_e64 s12, v0
	s_cbranch_execz .LBB139_12
; %bb.9:
	s_load_dwordx4 s[0:3], s[4:5], 0x0
	s_mul_hi_u32 s13, s27, s10
	s_mul_hi_i32 s15, s21, s10
	s_mul_i32 s14, s21, s10
	s_mul_i32 s24, s19, s24
	;; [unrolled: 1-line block ×4, first 2 shown]
	s_add_i32 s13, s10, s13
	s_lshl_b64 s[34:35], s[14:15], 2
	s_ashr_i32 s25, s24, 31
	s_ashr_i32 s29, s28, 31
	;; [unrolled: 1-line block ×3, first 2 shown]
	s_lshr_b32 s9, s13, s9
	s_mov_b32 s8, s17
	s_mul_hi_i32 s21, s9, s20
	s_mul_i32 s20, s9, s20
	v_lshlrev_b32_e32 v2, 3, v0
	v_lshlrev_b32_e32 v1, 2, v0
	v_mov_b32_e32 v6, 0
	v_mov_b32_e32 v7, 0
	s_waitcnt lgkmcnt(0)
	s_add_u32 s13, s2, s34
	s_addc_u32 s14, s3, s35
	s_lshl_b64 s[30:31], s[30:31], 2
	v_mov_b32_e32 v8, 0
	s_add_u32 s13, s13, s30
	s_addc_u32 s14, s14, s31
	s_lshl_b64 s[24:25], s[24:25], 1
	s_ashr_i32 s9, s17, 31
	s_add_i32 s15, s17, s17
	s_lshl_b64 s[20:21], s[20:21], 1
	s_lshl_b64 s[28:29], s[28:29], 1
	s_add_u32 s0, s0, s24
	s_addc_u32 s1, s1, s25
	s_add_u32 s0, s0, s28
	s_addc_u32 s1, s1, s29
	;; [unrolled: 2-line block ×3, first 2 shown]
	s_lshl_b64 s[8:9], s[8:9], 3
	s_add_u32 s2, s2, s30
	s_addc_u32 s3, s3, s31
	s_add_u32 s2, s2, s34
	s_addc_u32 s3, s3, s35
	v_add_co_u32 v3, s2, s2, v2
	v_add_co_ci_u32_e64 v4, null, s3, 0, s2
	v_add_co_u32 v1, s0, s0, v1
	v_add_co_ci_u32_e64 v2, null, s1, 0, s0
	;; [unrolled: 2-line block ×3, first 2 shown]
	v_mov_b32_e32 v9, 0
	v_mov_b32_e32 v10, v0
	s_mul_i32 s2, s17, 3
	s_mov_b32 s1, 0
.LBB139_10:                             ; =>This Inner Loop Header: Depth=1
	v_add_nc_u32_e32 v13, s15, v10
	v_add_nc_u32_e32 v17, s2, v10
	v_add_co_u32 v15, s0, v3, s8
	v_add_co_ci_u32_e64 v16, null, s9, v4, s0
	v_ashrrev_i32_e32 v14, 31, v13
	v_ashrrev_i32_e32 v18, 31, v17
	s_clause 0x1
	global_load_dwordx2 v[11:12], v[3:4], off offset:-4
	global_load_dwordx2 v[15:16], v[15:16], off offset:-4
	v_add_nc_u32_e32 v10, 0x80, v10
	v_lshlrev_b64 v[13:14], 3, v[13:14]
	v_lshlrev_b64 v[17:18], 3, v[17:18]
	v_add_co_u32 v13, s0, s13, v13
	v_add_co_ci_u32_e64 v14, null, s14, v14, s0
	v_add_co_u32 v17, s0, s13, v17
	v_add_co_ci_u32_e64 v18, null, s14, v18, s0
	s_clause 0x1
	global_load_dwordx2 v[13:14], v[13:14], off
	global_load_dwordx2 v[17:18], v[17:18], off
	global_load_dword v19, v[1:2], off
	v_add_co_u32 v1, s0, 0x200, v1
	v_add_co_ci_u32_e64 v2, null, 0, v2, s0
	v_add_co_u32 v3, s0, 0x400, v3
	v_add_co_ci_u32_e64 v4, null, 0, v4, s0
	v_cmp_le_i32_e64 s0, s12, v10
	s_or_b32 s1, s0, s1
	s_waitcnt vmcnt(4)
	v_cvt_f16_f32_e32 v11, v11
	v_cvt_f16_f32_e32 v12, v12
	s_waitcnt vmcnt(3)
	v_cvt_f16_f32_e32 v15, v15
	v_cvt_f16_f32_e32 v16, v16
	v_pack_b32_f16 v11, v11, v12
	v_pack_b32_f16 v12, v15, v16
	s_waitcnt vmcnt(2)
	v_cvt_f16_f32_e32 v13, v13
	v_cvt_f16_f32_e32 v14, v14
	s_waitcnt vmcnt(1)
	v_cvt_f16_f32_e32 v17, v17
	v_cvt_f16_f32_e32 v18, v18
	s_waitcnt vmcnt(0)
	v_pk_fma_f16 v9, v19, v11, v9
	v_pk_fma_f16 v8, v19, v12, v8
	v_pack_b32_f16 v13, v13, v14
	v_pack_b32_f16 v14, v17, v18
	v_pk_fma_f16 v7, v19, v13, v7
	v_pk_fma_f16 v6, v19, v14, v6
	s_andn2_b32 exec_lo, exec_lo, s1
	s_cbranch_execnz .LBB139_10
; %bb.11:
	s_or_b32 exec_lo, exec_lo, s1
.LBB139_12:
	s_or_b32 exec_lo, exec_lo, s11
	v_mbcnt_lo_u32_b32 v2, -1, 0
	v_cvt_f32_f16_e32 v3, v9
	v_cvt_f32_f16_sdwa v4, v9 dst_sel:DWORD dst_unused:UNUSED_PAD src0_sel:WORD_1
	v_cvt_f32_f16_e32 v13, v8
	v_cvt_f32_f16_sdwa v14, v8 dst_sel:DWORD dst_unused:UNUSED_PAD src0_sel:WORD_1
	v_xor_b32_e32 v1, 16, v2
	v_add_f32_e32 v4, v3, v4
	v_xor_b32_e32 v3, 8, v2
	v_cmp_gt_i32_e64 s0, 32, v1
	v_cndmask_b32_e64 v1, v2, v1, s0
	v_cmp_gt_i32_e64 s0, 32, v3
	v_lshlrev_b32_e32 v1, 2, v1
	v_cndmask_b32_e64 v3, v2, v3, s0
	ds_bpermute_b32 v9, v1, v4
	v_lshlrev_b32_e32 v3, 2, v3
	s_waitcnt lgkmcnt(0)
	v_add_f32_e32 v9, v4, v9
	v_xor_b32_e32 v4, 4, v2
	ds_bpermute_b32 v10, v3, v9
	v_cmp_gt_i32_e64 s0, 32, v4
	v_cndmask_b32_e64 v4, v2, v4, s0
	v_lshlrev_b32_e32 v4, 2, v4
	s_waitcnt lgkmcnt(0)
	v_add_f32_e32 v10, v9, v10
	v_xor_b32_e32 v9, 2, v2
	ds_bpermute_b32 v11, v4, v10
	v_cmp_gt_i32_e64 s0, 32, v9
	v_cndmask_b32_e64 v9, v2, v9, s0
	v_lshlrev_b32_e32 v9, 2, v9
	s_waitcnt lgkmcnt(0)
	v_add_f32_e32 v11, v10, v11
	v_xor_b32_e32 v10, 1, v2
	ds_bpermute_b32 v12, v9, v11
	v_cmp_gt_i32_e64 s0, 32, v10
	v_cndmask_b32_e64 v2, v2, v10, s0
	v_lshlrev_b32_e32 v10, 2, v2
	s_waitcnt lgkmcnt(0)
	v_add_f32_e32 v2, v11, v12
	v_lshrrev_b32_e32 v12, 3, v0
	ds_bpermute_b32 v11, v10, v2
	v_and_b32_e32 v12, 0x7c, v12
	v_add_nc_u32_e32 v8, 0, v12
	v_add_f32_e32 v12, v13, v14
	s_waitcnt lgkmcnt(0)
	v_add_f32_e32 v2, v2, v11
	v_cvt_f32_f16_e32 v11, v7
	v_cvt_f32_f16_sdwa v7, v7 dst_sel:DWORD dst_unused:UNUSED_PAD src0_sel:WORD_1
	ds_write_b32 v8, v2
	s_waitcnt lgkmcnt(0)
	s_barrier
	buffer_gl0_inv
	s_and_saveexec_b32 s0, vcc_lo
	s_cbranch_execz .LBB139_14
; %bb.13:
	ds_read_b32 v2, v5
	s_waitcnt lgkmcnt(0)
	ds_bpermute_b32 v13, v1, v2
	s_waitcnt lgkmcnt(0)
	v_add_f32_e32 v2, v2, v13
	ds_bpermute_b32 v13, v3, v2
	s_waitcnt lgkmcnt(0)
	v_add_f32_e32 v2, v2, v13
	;; [unrolled: 3-line block ×5, first 2 shown]
.LBB139_14:
	s_or_b32 exec_lo, exec_lo, s0
	ds_bpermute_b32 v13, v1, v12
	v_add_f32_e32 v7, v11, v7
	s_waitcnt lgkmcnt(0)
	s_barrier
	buffer_gl0_inv
	v_add_f32_e32 v12, v12, v13
	ds_bpermute_b32 v13, v3, v12
	s_waitcnt lgkmcnt(0)
	v_add_f32_e32 v12, v12, v13
	ds_bpermute_b32 v13, v4, v12
	s_waitcnt lgkmcnt(0)
	;; [unrolled: 3-line block ×3, first 2 shown]
	v_add_f32_e32 v14, v12, v13
	v_cvt_f32_f16_e32 v12, v6
	v_cvt_f32_f16_sdwa v13, v6 dst_sel:DWORD dst_unused:UNUSED_PAD src0_sel:WORD_1
	ds_bpermute_b32 v15, v10, v14
	s_waitcnt lgkmcnt(0)
	v_add_f32_e32 v6, v14, v15
	ds_write_b32 v8, v6
	s_waitcnt lgkmcnt(0)
	s_barrier
	buffer_gl0_inv
	s_and_saveexec_b32 s0, vcc_lo
	s_cbranch_execz .LBB139_16
; %bb.15:
	ds_read_b32 v6, v5
	s_waitcnt lgkmcnt(0)
	ds_bpermute_b32 v11, v1, v6
	s_waitcnt lgkmcnt(0)
	v_add_f32_e32 v6, v6, v11
	ds_bpermute_b32 v11, v3, v6
	s_waitcnt lgkmcnt(0)
	v_add_f32_e32 v6, v6, v11
	;; [unrolled: 3-line block ×5, first 2 shown]
.LBB139_16:
	s_or_b32 exec_lo, exec_lo, s0
	ds_bpermute_b32 v11, v1, v7
	s_waitcnt lgkmcnt(0)
	s_barrier
	buffer_gl0_inv
	v_add_f32_e32 v7, v7, v11
	ds_bpermute_b32 v11, v3, v7
	s_waitcnt lgkmcnt(0)
	v_add_f32_e32 v7, v7, v11
	ds_bpermute_b32 v11, v4, v7
	s_waitcnt lgkmcnt(0)
	;; [unrolled: 3-line block ×4, first 2 shown]
	v_add_f32_e32 v7, v7, v11
	v_add_f32_e32 v11, v12, v13
	ds_write_b32 v8, v7
	s_waitcnt lgkmcnt(0)
	s_barrier
	buffer_gl0_inv
	s_and_saveexec_b32 s0, vcc_lo
	s_cbranch_execz .LBB139_18
; %bb.17:
	ds_read_b32 v7, v5
	s_waitcnt lgkmcnt(0)
	ds_bpermute_b32 v12, v1, v7
	s_waitcnt lgkmcnt(0)
	v_add_f32_e32 v7, v7, v12
	ds_bpermute_b32 v12, v3, v7
	s_waitcnt lgkmcnt(0)
	v_add_f32_e32 v7, v7, v12
	;; [unrolled: 3-line block ×5, first 2 shown]
.LBB139_18:
	s_or_b32 exec_lo, exec_lo, s0
	ds_bpermute_b32 v12, v1, v11
	s_waitcnt lgkmcnt(0)
	s_barrier
	buffer_gl0_inv
	v_add_f32_e32 v11, v11, v12
	ds_bpermute_b32 v12, v3, v11
	s_waitcnt lgkmcnt(0)
	v_add_f32_e32 v11, v11, v12
	ds_bpermute_b32 v12, v4, v11
	s_waitcnt lgkmcnt(0)
	;; [unrolled: 3-line block ×4, first 2 shown]
	v_add_f32_e32 v11, v11, v12
	ds_write_b32 v8, v11
	s_waitcnt lgkmcnt(0)
	s_barrier
	buffer_gl0_inv
	s_and_saveexec_b32 s0, vcc_lo
	s_cbranch_execz .LBB139_20
; %bb.19:
	ds_read_b32 v5, v5
	s_waitcnt lgkmcnt(0)
	ds_bpermute_b32 v1, v1, v5
	s_waitcnt lgkmcnt(0)
	v_add_f32_e32 v1, v5, v1
	ds_bpermute_b32 v3, v3, v1
	s_waitcnt lgkmcnt(0)
	v_add_f32_e32 v1, v1, v3
	;; [unrolled: 3-line block ×5, first 2 shown]
.LBB139_20:
	s_or_b32 exec_lo, exec_lo, s0
	s_barrier
	buffer_gl0_inv
	s_mov_b32 s0, exec_lo
	v_cmpx_gt_u32_e32 4, v0
	s_cbranch_execz .LBB139_22
; %bb.21:
	s_load_dwordx2 s[0:1], s[4:5], 0x38
	v_mad_u64_u32 v[3:4], null, s18, v0, s[6:7]
	v_cmp_eq_u32_e32 vcc_lo, 1, v0
	s_mul_hi_i32 s3, s22, s10
	s_mul_i32 s2, s22, s10
	s_mul_i32 s4, s26, s7
	s_lshl_b64 s[2:3], s[2:3], 2
	v_cndmask_b32_e32 v1, v2, v6, vcc_lo
	v_ashrrev_i32_e32 v4, 31, v3
	v_cmp_eq_u32_e32 vcc_lo, 2, v0
	s_ashr_i32 s5, s4, 31
	v_cndmask_b32_e32 v5, v1, v7, vcc_lo
	v_lshlrev_b64 v[1:2], 2, v[3:4]
	v_cmp_eq_u32_e32 vcc_lo, 3, v0
	s_waitcnt lgkmcnt(0)
	s_add_u32 s2, s0, s2
	s_addc_u32 s3, s1, s3
	s_lshl_b64 s[0:1], s[4:5], 2
	v_cndmask_b32_e32 v3, v5, v11, vcc_lo
	s_add_u32 s0, s2, s0
	s_addc_u32 s1, s3, s1
	v_add_co_u32 v0, vcc_lo, s0, v1
	v_add_co_ci_u32_e64 v1, null, s1, v2, vcc_lo
	global_store_dword v[0:1], v3, off
.LBB139_22:
	s_endpgm
	.section	.rodata,"a",@progbits
	.p2align	6, 0x0
	.amdhsa_kernel _ZL13mul_mat_vec_fI6__halfS0_Li4ELi128ELb0ELb0EEvPKT_PKfPKi31ggml_cuda_mm_fusion_args_devicePfi15HIP_vector_typeIjLj3EEiiiSB_iiiSB_iiii
		.amdhsa_group_segment_fixed_size 0
		.amdhsa_private_segment_fixed_size 0
		.amdhsa_kernarg_size 144
		.amdhsa_user_sgpr_count 6
		.amdhsa_user_sgpr_private_segment_buffer 1
		.amdhsa_user_sgpr_dispatch_ptr 0
		.amdhsa_user_sgpr_queue_ptr 0
		.amdhsa_user_sgpr_kernarg_segment_ptr 1
		.amdhsa_user_sgpr_dispatch_id 0
		.amdhsa_user_sgpr_flat_scratch_init 0
		.amdhsa_user_sgpr_private_segment_size 0
		.amdhsa_wavefront_size32 1
		.amdhsa_uses_dynamic_stack 0
		.amdhsa_system_sgpr_private_segment_wavefront_offset 0
		.amdhsa_system_sgpr_workgroup_id_x 1
		.amdhsa_system_sgpr_workgroup_id_y 1
		.amdhsa_system_sgpr_workgroup_id_z 1
		.amdhsa_system_sgpr_workgroup_info 0
		.amdhsa_system_vgpr_workitem_id 0
		.amdhsa_next_free_vgpr 20
		.amdhsa_next_free_sgpr 36
		.amdhsa_reserve_vcc 1
		.amdhsa_reserve_flat_scratch 0
		.amdhsa_float_round_mode_32 0
		.amdhsa_float_round_mode_16_64 0
		.amdhsa_float_denorm_mode_32 3
		.amdhsa_float_denorm_mode_16_64 3
		.amdhsa_dx10_clamp 1
		.amdhsa_ieee_mode 1
		.amdhsa_fp16_overflow 0
		.amdhsa_workgroup_processor_mode 1
		.amdhsa_memory_ordered 1
		.amdhsa_forward_progress 1
		.amdhsa_shared_vgpr_count 0
		.amdhsa_exception_fp_ieee_invalid_op 0
		.amdhsa_exception_fp_denorm_src 0
		.amdhsa_exception_fp_ieee_div_zero 0
		.amdhsa_exception_fp_ieee_overflow 0
		.amdhsa_exception_fp_ieee_underflow 0
		.amdhsa_exception_fp_ieee_inexact 0
		.amdhsa_exception_int_div_zero 0
	.end_amdhsa_kernel
	.section	.text._ZL13mul_mat_vec_fI6__halfS0_Li4ELi128ELb0ELb0EEvPKT_PKfPKi31ggml_cuda_mm_fusion_args_devicePfi15HIP_vector_typeIjLj3EEiiiSB_iiiSB_iiii,"axG",@progbits,_ZL13mul_mat_vec_fI6__halfS0_Li4ELi128ELb0ELb0EEvPKT_PKfPKi31ggml_cuda_mm_fusion_args_devicePfi15HIP_vector_typeIjLj3EEiiiSB_iiiSB_iiii,comdat
.Lfunc_end139:
	.size	_ZL13mul_mat_vec_fI6__halfS0_Li4ELi128ELb0ELb0EEvPKT_PKfPKi31ggml_cuda_mm_fusion_args_devicePfi15HIP_vector_typeIjLj3EEiiiSB_iiiSB_iiii, .Lfunc_end139-_ZL13mul_mat_vec_fI6__halfS0_Li4ELi128ELb0ELb0EEvPKT_PKfPKi31ggml_cuda_mm_fusion_args_devicePfi15HIP_vector_typeIjLj3EEiiiSB_iiiSB_iiii
                                        ; -- End function
	.set _ZL13mul_mat_vec_fI6__halfS0_Li4ELi128ELb0ELb0EEvPKT_PKfPKi31ggml_cuda_mm_fusion_args_devicePfi15HIP_vector_typeIjLj3EEiiiSB_iiiSB_iiii.num_vgpr, 20
	.set _ZL13mul_mat_vec_fI6__halfS0_Li4ELi128ELb0ELb0EEvPKT_PKfPKi31ggml_cuda_mm_fusion_args_devicePfi15HIP_vector_typeIjLj3EEiiiSB_iiiSB_iiii.num_agpr, 0
	.set _ZL13mul_mat_vec_fI6__halfS0_Li4ELi128ELb0ELb0EEvPKT_PKfPKi31ggml_cuda_mm_fusion_args_devicePfi15HIP_vector_typeIjLj3EEiiiSB_iiiSB_iiii.numbered_sgpr, 36
	.set _ZL13mul_mat_vec_fI6__halfS0_Li4ELi128ELb0ELb0EEvPKT_PKfPKi31ggml_cuda_mm_fusion_args_devicePfi15HIP_vector_typeIjLj3EEiiiSB_iiiSB_iiii.num_named_barrier, 0
	.set _ZL13mul_mat_vec_fI6__halfS0_Li4ELi128ELb0ELb0EEvPKT_PKfPKi31ggml_cuda_mm_fusion_args_devicePfi15HIP_vector_typeIjLj3EEiiiSB_iiiSB_iiii.private_seg_size, 0
	.set _ZL13mul_mat_vec_fI6__halfS0_Li4ELi128ELb0ELb0EEvPKT_PKfPKi31ggml_cuda_mm_fusion_args_devicePfi15HIP_vector_typeIjLj3EEiiiSB_iiiSB_iiii.uses_vcc, 1
	.set _ZL13mul_mat_vec_fI6__halfS0_Li4ELi128ELb0ELb0EEvPKT_PKfPKi31ggml_cuda_mm_fusion_args_devicePfi15HIP_vector_typeIjLj3EEiiiSB_iiiSB_iiii.uses_flat_scratch, 0
	.set _ZL13mul_mat_vec_fI6__halfS0_Li4ELi128ELb0ELb0EEvPKT_PKfPKi31ggml_cuda_mm_fusion_args_devicePfi15HIP_vector_typeIjLj3EEiiiSB_iiiSB_iiii.has_dyn_sized_stack, 0
	.set _ZL13mul_mat_vec_fI6__halfS0_Li4ELi128ELb0ELb0EEvPKT_PKfPKi31ggml_cuda_mm_fusion_args_devicePfi15HIP_vector_typeIjLj3EEiiiSB_iiiSB_iiii.has_recursion, 0
	.set _ZL13mul_mat_vec_fI6__halfS0_Li4ELi128ELb0ELb0EEvPKT_PKfPKi31ggml_cuda_mm_fusion_args_devicePfi15HIP_vector_typeIjLj3EEiiiSB_iiiSB_iiii.has_indirect_call, 0
	.section	.AMDGPU.csdata,"",@progbits
; Kernel info:
; codeLenInByte = 2040
; TotalNumSgprs: 38
; NumVgprs: 20
; ScratchSize: 0
; MemoryBound: 0
; FloatMode: 240
; IeeeMode: 1
; LDSByteSize: 0 bytes/workgroup (compile time only)
; SGPRBlocks: 0
; VGPRBlocks: 2
; NumSGPRsForWavesPerEU: 38
; NumVGPRsForWavesPerEU: 20
; Occupancy: 16
; WaveLimiterHint : 0
; COMPUTE_PGM_RSRC2:SCRATCH_EN: 0
; COMPUTE_PGM_RSRC2:USER_SGPR: 6
; COMPUTE_PGM_RSRC2:TRAP_HANDLER: 0
; COMPUTE_PGM_RSRC2:TGID_X_EN: 1
; COMPUTE_PGM_RSRC2:TGID_Y_EN: 1
; COMPUTE_PGM_RSRC2:TGID_Z_EN: 1
; COMPUTE_PGM_RSRC2:TIDIG_COMP_CNT: 0
	.section	.text._ZL13mul_mat_vec_fI6__halfS0_Li4ELi160ELb0ELb0EEvPKT_PKfPKi31ggml_cuda_mm_fusion_args_devicePfi15HIP_vector_typeIjLj3EEiiiSB_iiiSB_iiii,"axG",@progbits,_ZL13mul_mat_vec_fI6__halfS0_Li4ELi160ELb0ELb0EEvPKT_PKfPKi31ggml_cuda_mm_fusion_args_devicePfi15HIP_vector_typeIjLj3EEiiiSB_iiiSB_iiii,comdat
	.globl	_ZL13mul_mat_vec_fI6__halfS0_Li4ELi160ELb0ELb0EEvPKT_PKfPKi31ggml_cuda_mm_fusion_args_devicePfi15HIP_vector_typeIjLj3EEiiiSB_iiiSB_iiii ; -- Begin function _ZL13mul_mat_vec_fI6__halfS0_Li4ELi160ELb0ELb0EEvPKT_PKfPKi31ggml_cuda_mm_fusion_args_devicePfi15HIP_vector_typeIjLj3EEiiiSB_iiiSB_iiii
	.p2align	8
	.type	_ZL13mul_mat_vec_fI6__halfS0_Li4ELi160ELb0ELb0EEvPKT_PKfPKi31ggml_cuda_mm_fusion_args_devicePfi15HIP_vector_typeIjLj3EEiiiSB_iiiSB_iiii,@function
_ZL13mul_mat_vec_fI6__halfS0_Li4ELi160ELb0ELb0EEvPKT_PKfPKi31ggml_cuda_mm_fusion_args_devicePfi15HIP_vector_typeIjLj3EEiiiSB_iiiSB_iiii: ; @_ZL13mul_mat_vec_fI6__halfS0_Li4ELi160ELb0ELb0EEvPKT_PKfPKi31ggml_cuda_mm_fusion_args_devicePfi15HIP_vector_typeIjLj3EEiiiSB_iiiSB_iiii
; %bb.0:
	s_clause 0x2
	s_load_dwordx2 s[0:1], s[4:5], 0x10
	s_load_dwordx8 s[12:19], s[4:5], 0x40
	s_load_dwordx4 s[20:23], s[4:5], 0x80
	s_waitcnt lgkmcnt(0)
	s_cmp_eq_u64 s[0:1], 0
	s_cselect_b32 s10, -1, 0
	s_cmp_lg_u64 s[0:1], 0
	s_cselect_b32 s9, -1, 0
	s_and_b32 vcc_lo, exec_lo, s10
	s_cbranch_vccnz .LBB140_2
; %bb.1:
	s_mul_i32 s2, s23, s8
	s_mov_b32 s3, 0
	s_add_i32 s2, s2, s7
	s_lshl_b64 s[24:25], s[2:3], 2
	s_add_u32 s0, s0, s24
	s_addc_u32 s1, s1, s25
	s_load_dword s19, s[0:1], 0x0
	s_cbranch_execz .LBB140_3
	s_branch .LBB140_4
.LBB140_2:
                                        ; implicit-def: $sgpr19
.LBB140_3:
	s_load_dwordx2 s[0:1], s[4:5], 0x5c
	s_waitcnt lgkmcnt(0)
	s_mul_hi_u32 s0, s0, s7
	s_add_i32 s0, s7, s0
	s_lshr_b32 s19, s0, s1
.LBB140_4:
	s_load_dwordx4 s[24:27], s[4:5], 0x68
	s_andn2_b32 vcc_lo, exec_lo, s9
	s_mov_b32 s23, s7
	s_cbranch_vccnz .LBB140_6
; %bb.5:
	s_mul_hi_u32 s0, s13, s7
	s_add_i32 s0, s7, s0
	s_lshr_b32 s0, s0, s14
	s_mul_i32 s0, s0, s15
	s_sub_i32 s23, s7, s0
.LBB140_6:
	s_load_dword s9, s[4:5], 0x78
	v_cmp_gt_u32_e32 vcc_lo, 32, v0
	v_lshl_add_u32 v5, v0, 2, 0
	s_and_saveexec_b32 s0, vcc_lo
; %bb.7:
	v_mov_b32_e32 v1, 0
	ds_write_b32 v5, v1
; %bb.8:
	s_or_b32 exec_lo, exec_lo, s0
	v_mov_b32_e32 v9, 0
	v_mov_b32_e32 v8, 0
	;; [unrolled: 1-line block ×4, first 2 shown]
	s_and_b32 s0, exec_lo, s10
	s_cselect_b32 s10, s8, 0
	s_mov_b32 s11, exec_lo
	s_waitcnt lgkmcnt(0)
	s_barrier
	buffer_gl0_inv
	v_cmpx_gt_i32_e64 s12, v0
	s_cbranch_execz .LBB140_12
; %bb.9:
	s_load_dwordx4 s[0:3], s[4:5], 0x0
	s_mul_hi_u32 s13, s27, s10
	s_mul_hi_i32 s15, s21, s10
	s_mul_i32 s14, s21, s10
	s_mul_i32 s24, s19, s24
	;; [unrolled: 1-line block ×4, first 2 shown]
	s_add_i32 s13, s10, s13
	s_lshl_b64 s[34:35], s[14:15], 2
	s_ashr_i32 s25, s24, 31
	s_ashr_i32 s29, s28, 31
	;; [unrolled: 1-line block ×3, first 2 shown]
	s_lshr_b32 s9, s13, s9
	s_mov_b32 s8, s17
	s_mul_hi_i32 s21, s9, s20
	s_mul_i32 s20, s9, s20
	v_lshlrev_b32_e32 v2, 3, v0
	v_lshlrev_b32_e32 v1, 2, v0
	v_mov_b32_e32 v6, 0
	v_mov_b32_e32 v7, 0
	s_waitcnt lgkmcnt(0)
	s_add_u32 s13, s2, s34
	s_addc_u32 s14, s3, s35
	s_lshl_b64 s[30:31], s[30:31], 2
	v_mov_b32_e32 v8, 0
	s_add_u32 s13, s13, s30
	s_addc_u32 s14, s14, s31
	s_lshl_b64 s[24:25], s[24:25], 1
	s_ashr_i32 s9, s17, 31
	s_add_i32 s15, s17, s17
	s_lshl_b64 s[20:21], s[20:21], 1
	s_lshl_b64 s[28:29], s[28:29], 1
	s_add_u32 s0, s0, s24
	s_addc_u32 s1, s1, s25
	s_add_u32 s0, s0, s28
	s_addc_u32 s1, s1, s29
	;; [unrolled: 2-line block ×3, first 2 shown]
	s_lshl_b64 s[8:9], s[8:9], 3
	s_add_u32 s2, s2, s30
	s_addc_u32 s3, s3, s31
	s_add_u32 s2, s2, s34
	s_addc_u32 s3, s3, s35
	v_add_co_u32 v3, s2, s2, v2
	v_add_co_ci_u32_e64 v4, null, s3, 0, s2
	v_add_co_u32 v1, s0, s0, v1
	v_add_co_ci_u32_e64 v2, null, s1, 0, s0
	;; [unrolled: 2-line block ×3, first 2 shown]
	v_mov_b32_e32 v9, 0
	v_mov_b32_e32 v10, v0
	s_mul_i32 s2, s17, 3
	s_mov_b32 s1, 0
.LBB140_10:                             ; =>This Inner Loop Header: Depth=1
	v_add_nc_u32_e32 v13, s15, v10
	v_add_nc_u32_e32 v17, s2, v10
	v_add_co_u32 v15, s0, v3, s8
	v_add_co_ci_u32_e64 v16, null, s9, v4, s0
	v_ashrrev_i32_e32 v14, 31, v13
	v_ashrrev_i32_e32 v18, 31, v17
	s_clause 0x1
	global_load_dwordx2 v[11:12], v[3:4], off offset:-4
	global_load_dwordx2 v[15:16], v[15:16], off offset:-4
	v_add_nc_u32_e32 v10, 0xa0, v10
	v_lshlrev_b64 v[13:14], 3, v[13:14]
	v_lshlrev_b64 v[17:18], 3, v[17:18]
	v_add_co_u32 v13, s0, s13, v13
	v_add_co_ci_u32_e64 v14, null, s14, v14, s0
	v_add_co_u32 v17, s0, s13, v17
	v_add_co_ci_u32_e64 v18, null, s14, v18, s0
	s_clause 0x1
	global_load_dwordx2 v[13:14], v[13:14], off
	global_load_dwordx2 v[17:18], v[17:18], off
	global_load_dword v19, v[1:2], off
	v_add_co_u32 v1, s0, 0x280, v1
	v_add_co_ci_u32_e64 v2, null, 0, v2, s0
	v_add_co_u32 v3, s0, 0x500, v3
	v_add_co_ci_u32_e64 v4, null, 0, v4, s0
	v_cmp_le_i32_e64 s0, s12, v10
	s_or_b32 s1, s0, s1
	s_waitcnt vmcnt(4)
	v_cvt_f16_f32_e32 v11, v11
	v_cvt_f16_f32_e32 v12, v12
	s_waitcnt vmcnt(3)
	v_cvt_f16_f32_e32 v15, v15
	v_cvt_f16_f32_e32 v16, v16
	v_pack_b32_f16 v11, v11, v12
	v_pack_b32_f16 v12, v15, v16
	s_waitcnt vmcnt(2)
	v_cvt_f16_f32_e32 v13, v13
	v_cvt_f16_f32_e32 v14, v14
	s_waitcnt vmcnt(1)
	v_cvt_f16_f32_e32 v17, v17
	v_cvt_f16_f32_e32 v18, v18
	s_waitcnt vmcnt(0)
	v_pk_fma_f16 v9, v19, v11, v9
	v_pk_fma_f16 v8, v19, v12, v8
	v_pack_b32_f16 v13, v13, v14
	v_pack_b32_f16 v14, v17, v18
	v_pk_fma_f16 v7, v19, v13, v7
	v_pk_fma_f16 v6, v19, v14, v6
	s_andn2_b32 exec_lo, exec_lo, s1
	s_cbranch_execnz .LBB140_10
; %bb.11:
	s_or_b32 exec_lo, exec_lo, s1
.LBB140_12:
	s_or_b32 exec_lo, exec_lo, s11
	v_mbcnt_lo_u32_b32 v2, -1, 0
	v_cvt_f32_f16_e32 v3, v9
	v_cvt_f32_f16_sdwa v4, v9 dst_sel:DWORD dst_unused:UNUSED_PAD src0_sel:WORD_1
	v_cvt_f32_f16_e32 v13, v8
	v_cvt_f32_f16_sdwa v14, v8 dst_sel:DWORD dst_unused:UNUSED_PAD src0_sel:WORD_1
	v_xor_b32_e32 v1, 16, v2
	v_add_f32_e32 v4, v3, v4
	v_xor_b32_e32 v3, 8, v2
	v_cmp_gt_i32_e64 s0, 32, v1
	v_cndmask_b32_e64 v1, v2, v1, s0
	v_cmp_gt_i32_e64 s0, 32, v3
	v_lshlrev_b32_e32 v1, 2, v1
	v_cndmask_b32_e64 v3, v2, v3, s0
	ds_bpermute_b32 v9, v1, v4
	v_lshlrev_b32_e32 v3, 2, v3
	s_waitcnt lgkmcnt(0)
	v_add_f32_e32 v9, v4, v9
	v_xor_b32_e32 v4, 4, v2
	ds_bpermute_b32 v10, v3, v9
	v_cmp_gt_i32_e64 s0, 32, v4
	v_cndmask_b32_e64 v4, v2, v4, s0
	v_lshlrev_b32_e32 v4, 2, v4
	s_waitcnt lgkmcnt(0)
	v_add_f32_e32 v10, v9, v10
	v_xor_b32_e32 v9, 2, v2
	ds_bpermute_b32 v11, v4, v10
	v_cmp_gt_i32_e64 s0, 32, v9
	v_cndmask_b32_e64 v9, v2, v9, s0
	;; [unrolled: 7-line block ×3, first 2 shown]
	v_lshlrev_b32_e32 v10, 2, v2
	s_waitcnt lgkmcnt(0)
	v_add_f32_e32 v2, v11, v12
	v_lshrrev_b32_e32 v12, 3, v0
	ds_bpermute_b32 v11, v10, v2
	v_and_b32_e32 v12, 0x7c, v12
	v_add_nc_u32_e32 v8, 0, v12
	v_add_f32_e32 v12, v13, v14
	s_waitcnt lgkmcnt(0)
	v_add_f32_e32 v2, v2, v11
	v_cvt_f32_f16_e32 v11, v7
	v_cvt_f32_f16_sdwa v7, v7 dst_sel:DWORD dst_unused:UNUSED_PAD src0_sel:WORD_1
	ds_write_b32 v8, v2
	s_waitcnt lgkmcnt(0)
	s_barrier
	buffer_gl0_inv
	s_and_saveexec_b32 s0, vcc_lo
	s_cbranch_execz .LBB140_14
; %bb.13:
	ds_read_b32 v2, v5
	s_waitcnt lgkmcnt(0)
	ds_bpermute_b32 v13, v1, v2
	s_waitcnt lgkmcnt(0)
	v_add_f32_e32 v2, v2, v13
	ds_bpermute_b32 v13, v3, v2
	s_waitcnt lgkmcnt(0)
	v_add_f32_e32 v2, v2, v13
	;; [unrolled: 3-line block ×5, first 2 shown]
.LBB140_14:
	s_or_b32 exec_lo, exec_lo, s0
	ds_bpermute_b32 v13, v1, v12
	v_add_f32_e32 v7, v11, v7
	s_waitcnt lgkmcnt(0)
	s_barrier
	buffer_gl0_inv
	v_add_f32_e32 v12, v12, v13
	ds_bpermute_b32 v13, v3, v12
	s_waitcnt lgkmcnt(0)
	v_add_f32_e32 v12, v12, v13
	ds_bpermute_b32 v13, v4, v12
	s_waitcnt lgkmcnt(0)
	;; [unrolled: 3-line block ×3, first 2 shown]
	v_add_f32_e32 v14, v12, v13
	v_cvt_f32_f16_e32 v12, v6
	v_cvt_f32_f16_sdwa v13, v6 dst_sel:DWORD dst_unused:UNUSED_PAD src0_sel:WORD_1
	ds_bpermute_b32 v15, v10, v14
	s_waitcnt lgkmcnt(0)
	v_add_f32_e32 v6, v14, v15
	ds_write_b32 v8, v6
	s_waitcnt lgkmcnt(0)
	s_barrier
	buffer_gl0_inv
	s_and_saveexec_b32 s0, vcc_lo
	s_cbranch_execz .LBB140_16
; %bb.15:
	ds_read_b32 v6, v5
	s_waitcnt lgkmcnt(0)
	ds_bpermute_b32 v11, v1, v6
	s_waitcnt lgkmcnt(0)
	v_add_f32_e32 v6, v6, v11
	ds_bpermute_b32 v11, v3, v6
	s_waitcnt lgkmcnt(0)
	v_add_f32_e32 v6, v6, v11
	;; [unrolled: 3-line block ×5, first 2 shown]
.LBB140_16:
	s_or_b32 exec_lo, exec_lo, s0
	ds_bpermute_b32 v11, v1, v7
	s_waitcnt lgkmcnt(0)
	s_barrier
	buffer_gl0_inv
	v_add_f32_e32 v7, v7, v11
	ds_bpermute_b32 v11, v3, v7
	s_waitcnt lgkmcnt(0)
	v_add_f32_e32 v7, v7, v11
	ds_bpermute_b32 v11, v4, v7
	s_waitcnt lgkmcnt(0)
	;; [unrolled: 3-line block ×4, first 2 shown]
	v_add_f32_e32 v7, v7, v11
	v_add_f32_e32 v11, v12, v13
	ds_write_b32 v8, v7
	s_waitcnt lgkmcnt(0)
	s_barrier
	buffer_gl0_inv
	s_and_saveexec_b32 s0, vcc_lo
	s_cbranch_execz .LBB140_18
; %bb.17:
	ds_read_b32 v7, v5
	s_waitcnt lgkmcnt(0)
	ds_bpermute_b32 v12, v1, v7
	s_waitcnt lgkmcnt(0)
	v_add_f32_e32 v7, v7, v12
	ds_bpermute_b32 v12, v3, v7
	s_waitcnt lgkmcnt(0)
	v_add_f32_e32 v7, v7, v12
	;; [unrolled: 3-line block ×5, first 2 shown]
.LBB140_18:
	s_or_b32 exec_lo, exec_lo, s0
	ds_bpermute_b32 v12, v1, v11
	s_waitcnt lgkmcnt(0)
	s_barrier
	buffer_gl0_inv
	v_add_f32_e32 v11, v11, v12
	ds_bpermute_b32 v12, v3, v11
	s_waitcnt lgkmcnt(0)
	v_add_f32_e32 v11, v11, v12
	ds_bpermute_b32 v12, v4, v11
	s_waitcnt lgkmcnt(0)
	;; [unrolled: 3-line block ×4, first 2 shown]
	v_add_f32_e32 v11, v11, v12
	ds_write_b32 v8, v11
	s_waitcnt lgkmcnt(0)
	s_barrier
	buffer_gl0_inv
	s_and_saveexec_b32 s0, vcc_lo
	s_cbranch_execz .LBB140_20
; %bb.19:
	ds_read_b32 v5, v5
	s_waitcnt lgkmcnt(0)
	ds_bpermute_b32 v1, v1, v5
	s_waitcnt lgkmcnt(0)
	v_add_f32_e32 v1, v5, v1
	ds_bpermute_b32 v3, v3, v1
	s_waitcnt lgkmcnt(0)
	v_add_f32_e32 v1, v1, v3
	;; [unrolled: 3-line block ×5, first 2 shown]
.LBB140_20:
	s_or_b32 exec_lo, exec_lo, s0
	s_barrier
	buffer_gl0_inv
	s_mov_b32 s0, exec_lo
	v_cmpx_gt_u32_e32 4, v0
	s_cbranch_execz .LBB140_22
; %bb.21:
	s_load_dwordx2 s[0:1], s[4:5], 0x38
	v_mad_u64_u32 v[3:4], null, s18, v0, s[6:7]
	v_cmp_eq_u32_e32 vcc_lo, 1, v0
	s_mul_hi_i32 s3, s22, s10
	s_mul_i32 s2, s22, s10
	s_mul_i32 s4, s26, s7
	s_lshl_b64 s[2:3], s[2:3], 2
	v_cndmask_b32_e32 v1, v2, v6, vcc_lo
	v_ashrrev_i32_e32 v4, 31, v3
	v_cmp_eq_u32_e32 vcc_lo, 2, v0
	s_ashr_i32 s5, s4, 31
	v_cndmask_b32_e32 v5, v1, v7, vcc_lo
	v_lshlrev_b64 v[1:2], 2, v[3:4]
	v_cmp_eq_u32_e32 vcc_lo, 3, v0
	s_waitcnt lgkmcnt(0)
	s_add_u32 s2, s0, s2
	s_addc_u32 s3, s1, s3
	s_lshl_b64 s[0:1], s[4:5], 2
	v_cndmask_b32_e32 v3, v5, v11, vcc_lo
	s_add_u32 s0, s2, s0
	s_addc_u32 s1, s3, s1
	v_add_co_u32 v0, vcc_lo, s0, v1
	v_add_co_ci_u32_e64 v1, null, s1, v2, vcc_lo
	global_store_dword v[0:1], v3, off
.LBB140_22:
	s_endpgm
	.section	.rodata,"a",@progbits
	.p2align	6, 0x0
	.amdhsa_kernel _ZL13mul_mat_vec_fI6__halfS0_Li4ELi160ELb0ELb0EEvPKT_PKfPKi31ggml_cuda_mm_fusion_args_devicePfi15HIP_vector_typeIjLj3EEiiiSB_iiiSB_iiii
		.amdhsa_group_segment_fixed_size 0
		.amdhsa_private_segment_fixed_size 0
		.amdhsa_kernarg_size 144
		.amdhsa_user_sgpr_count 6
		.amdhsa_user_sgpr_private_segment_buffer 1
		.amdhsa_user_sgpr_dispatch_ptr 0
		.amdhsa_user_sgpr_queue_ptr 0
		.amdhsa_user_sgpr_kernarg_segment_ptr 1
		.amdhsa_user_sgpr_dispatch_id 0
		.amdhsa_user_sgpr_flat_scratch_init 0
		.amdhsa_user_sgpr_private_segment_size 0
		.amdhsa_wavefront_size32 1
		.amdhsa_uses_dynamic_stack 0
		.amdhsa_system_sgpr_private_segment_wavefront_offset 0
		.amdhsa_system_sgpr_workgroup_id_x 1
		.amdhsa_system_sgpr_workgroup_id_y 1
		.amdhsa_system_sgpr_workgroup_id_z 1
		.amdhsa_system_sgpr_workgroup_info 0
		.amdhsa_system_vgpr_workitem_id 0
		.amdhsa_next_free_vgpr 20
		.amdhsa_next_free_sgpr 36
		.amdhsa_reserve_vcc 1
		.amdhsa_reserve_flat_scratch 0
		.amdhsa_float_round_mode_32 0
		.amdhsa_float_round_mode_16_64 0
		.amdhsa_float_denorm_mode_32 3
		.amdhsa_float_denorm_mode_16_64 3
		.amdhsa_dx10_clamp 1
		.amdhsa_ieee_mode 1
		.amdhsa_fp16_overflow 0
		.amdhsa_workgroup_processor_mode 1
		.amdhsa_memory_ordered 1
		.amdhsa_forward_progress 1
		.amdhsa_shared_vgpr_count 0
		.amdhsa_exception_fp_ieee_invalid_op 0
		.amdhsa_exception_fp_denorm_src 0
		.amdhsa_exception_fp_ieee_div_zero 0
		.amdhsa_exception_fp_ieee_overflow 0
		.amdhsa_exception_fp_ieee_underflow 0
		.amdhsa_exception_fp_ieee_inexact 0
		.amdhsa_exception_int_div_zero 0
	.end_amdhsa_kernel
	.section	.text._ZL13mul_mat_vec_fI6__halfS0_Li4ELi160ELb0ELb0EEvPKT_PKfPKi31ggml_cuda_mm_fusion_args_devicePfi15HIP_vector_typeIjLj3EEiiiSB_iiiSB_iiii,"axG",@progbits,_ZL13mul_mat_vec_fI6__halfS0_Li4ELi160ELb0ELb0EEvPKT_PKfPKi31ggml_cuda_mm_fusion_args_devicePfi15HIP_vector_typeIjLj3EEiiiSB_iiiSB_iiii,comdat
.Lfunc_end140:
	.size	_ZL13mul_mat_vec_fI6__halfS0_Li4ELi160ELb0ELb0EEvPKT_PKfPKi31ggml_cuda_mm_fusion_args_devicePfi15HIP_vector_typeIjLj3EEiiiSB_iiiSB_iiii, .Lfunc_end140-_ZL13mul_mat_vec_fI6__halfS0_Li4ELi160ELb0ELb0EEvPKT_PKfPKi31ggml_cuda_mm_fusion_args_devicePfi15HIP_vector_typeIjLj3EEiiiSB_iiiSB_iiii
                                        ; -- End function
	.set _ZL13mul_mat_vec_fI6__halfS0_Li4ELi160ELb0ELb0EEvPKT_PKfPKi31ggml_cuda_mm_fusion_args_devicePfi15HIP_vector_typeIjLj3EEiiiSB_iiiSB_iiii.num_vgpr, 20
	.set _ZL13mul_mat_vec_fI6__halfS0_Li4ELi160ELb0ELb0EEvPKT_PKfPKi31ggml_cuda_mm_fusion_args_devicePfi15HIP_vector_typeIjLj3EEiiiSB_iiiSB_iiii.num_agpr, 0
	.set _ZL13mul_mat_vec_fI6__halfS0_Li4ELi160ELb0ELb0EEvPKT_PKfPKi31ggml_cuda_mm_fusion_args_devicePfi15HIP_vector_typeIjLj3EEiiiSB_iiiSB_iiii.numbered_sgpr, 36
	.set _ZL13mul_mat_vec_fI6__halfS0_Li4ELi160ELb0ELb0EEvPKT_PKfPKi31ggml_cuda_mm_fusion_args_devicePfi15HIP_vector_typeIjLj3EEiiiSB_iiiSB_iiii.num_named_barrier, 0
	.set _ZL13mul_mat_vec_fI6__halfS0_Li4ELi160ELb0ELb0EEvPKT_PKfPKi31ggml_cuda_mm_fusion_args_devicePfi15HIP_vector_typeIjLj3EEiiiSB_iiiSB_iiii.private_seg_size, 0
	.set _ZL13mul_mat_vec_fI6__halfS0_Li4ELi160ELb0ELb0EEvPKT_PKfPKi31ggml_cuda_mm_fusion_args_devicePfi15HIP_vector_typeIjLj3EEiiiSB_iiiSB_iiii.uses_vcc, 1
	.set _ZL13mul_mat_vec_fI6__halfS0_Li4ELi160ELb0ELb0EEvPKT_PKfPKi31ggml_cuda_mm_fusion_args_devicePfi15HIP_vector_typeIjLj3EEiiiSB_iiiSB_iiii.uses_flat_scratch, 0
	.set _ZL13mul_mat_vec_fI6__halfS0_Li4ELi160ELb0ELb0EEvPKT_PKfPKi31ggml_cuda_mm_fusion_args_devicePfi15HIP_vector_typeIjLj3EEiiiSB_iiiSB_iiii.has_dyn_sized_stack, 0
	.set _ZL13mul_mat_vec_fI6__halfS0_Li4ELi160ELb0ELb0EEvPKT_PKfPKi31ggml_cuda_mm_fusion_args_devicePfi15HIP_vector_typeIjLj3EEiiiSB_iiiSB_iiii.has_recursion, 0
	.set _ZL13mul_mat_vec_fI6__halfS0_Li4ELi160ELb0ELb0EEvPKT_PKfPKi31ggml_cuda_mm_fusion_args_devicePfi15HIP_vector_typeIjLj3EEiiiSB_iiiSB_iiii.has_indirect_call, 0
	.section	.AMDGPU.csdata,"",@progbits
; Kernel info:
; codeLenInByte = 2040
; TotalNumSgprs: 38
; NumVgprs: 20
; ScratchSize: 0
; MemoryBound: 0
; FloatMode: 240
; IeeeMode: 1
; LDSByteSize: 0 bytes/workgroup (compile time only)
; SGPRBlocks: 0
; VGPRBlocks: 2
; NumSGPRsForWavesPerEU: 38
; NumVGPRsForWavesPerEU: 20
; Occupancy: 16
; WaveLimiterHint : 0
; COMPUTE_PGM_RSRC2:SCRATCH_EN: 0
; COMPUTE_PGM_RSRC2:USER_SGPR: 6
; COMPUTE_PGM_RSRC2:TRAP_HANDLER: 0
; COMPUTE_PGM_RSRC2:TGID_X_EN: 1
; COMPUTE_PGM_RSRC2:TGID_Y_EN: 1
; COMPUTE_PGM_RSRC2:TGID_Z_EN: 1
; COMPUTE_PGM_RSRC2:TIDIG_COMP_CNT: 0
	.section	.text._ZL13mul_mat_vec_fI6__halfS0_Li4ELi192ELb0ELb0EEvPKT_PKfPKi31ggml_cuda_mm_fusion_args_devicePfi15HIP_vector_typeIjLj3EEiiiSB_iiiSB_iiii,"axG",@progbits,_ZL13mul_mat_vec_fI6__halfS0_Li4ELi192ELb0ELb0EEvPKT_PKfPKi31ggml_cuda_mm_fusion_args_devicePfi15HIP_vector_typeIjLj3EEiiiSB_iiiSB_iiii,comdat
	.globl	_ZL13mul_mat_vec_fI6__halfS0_Li4ELi192ELb0ELb0EEvPKT_PKfPKi31ggml_cuda_mm_fusion_args_devicePfi15HIP_vector_typeIjLj3EEiiiSB_iiiSB_iiii ; -- Begin function _ZL13mul_mat_vec_fI6__halfS0_Li4ELi192ELb0ELb0EEvPKT_PKfPKi31ggml_cuda_mm_fusion_args_devicePfi15HIP_vector_typeIjLj3EEiiiSB_iiiSB_iiii
	.p2align	8
	.type	_ZL13mul_mat_vec_fI6__halfS0_Li4ELi192ELb0ELb0EEvPKT_PKfPKi31ggml_cuda_mm_fusion_args_devicePfi15HIP_vector_typeIjLj3EEiiiSB_iiiSB_iiii,@function
_ZL13mul_mat_vec_fI6__halfS0_Li4ELi192ELb0ELb0EEvPKT_PKfPKi31ggml_cuda_mm_fusion_args_devicePfi15HIP_vector_typeIjLj3EEiiiSB_iiiSB_iiii: ; @_ZL13mul_mat_vec_fI6__halfS0_Li4ELi192ELb0ELb0EEvPKT_PKfPKi31ggml_cuda_mm_fusion_args_devicePfi15HIP_vector_typeIjLj3EEiiiSB_iiiSB_iiii
; %bb.0:
	s_clause 0x2
	s_load_dwordx2 s[0:1], s[4:5], 0x10
	s_load_dwordx8 s[12:19], s[4:5], 0x40
	s_load_dwordx4 s[20:23], s[4:5], 0x80
	s_waitcnt lgkmcnt(0)
	s_cmp_eq_u64 s[0:1], 0
	s_cselect_b32 s10, -1, 0
	s_cmp_lg_u64 s[0:1], 0
	s_cselect_b32 s9, -1, 0
	s_and_b32 vcc_lo, exec_lo, s10
	s_cbranch_vccnz .LBB141_2
; %bb.1:
	s_mul_i32 s2, s23, s8
	s_mov_b32 s3, 0
	s_add_i32 s2, s2, s7
	s_lshl_b64 s[24:25], s[2:3], 2
	s_add_u32 s0, s0, s24
	s_addc_u32 s1, s1, s25
	s_load_dword s19, s[0:1], 0x0
	s_cbranch_execz .LBB141_3
	s_branch .LBB141_4
.LBB141_2:
                                        ; implicit-def: $sgpr19
.LBB141_3:
	s_load_dwordx2 s[0:1], s[4:5], 0x5c
	s_waitcnt lgkmcnt(0)
	s_mul_hi_u32 s0, s0, s7
	s_add_i32 s0, s7, s0
	s_lshr_b32 s19, s0, s1
.LBB141_4:
	s_load_dwordx4 s[24:27], s[4:5], 0x68
	s_andn2_b32 vcc_lo, exec_lo, s9
	s_mov_b32 s23, s7
	s_cbranch_vccnz .LBB141_6
; %bb.5:
	s_mul_hi_u32 s0, s13, s7
	s_add_i32 s0, s7, s0
	s_lshr_b32 s0, s0, s14
	s_mul_i32 s0, s0, s15
	s_sub_i32 s23, s7, s0
.LBB141_6:
	s_load_dword s9, s[4:5], 0x78
	v_cmp_gt_u32_e32 vcc_lo, 32, v0
	v_lshl_add_u32 v5, v0, 2, 0
	s_and_saveexec_b32 s0, vcc_lo
; %bb.7:
	v_mov_b32_e32 v1, 0
	ds_write_b32 v5, v1
; %bb.8:
	s_or_b32 exec_lo, exec_lo, s0
	v_mov_b32_e32 v9, 0
	v_mov_b32_e32 v8, 0
	;; [unrolled: 1-line block ×4, first 2 shown]
	s_and_b32 s0, exec_lo, s10
	s_cselect_b32 s10, s8, 0
	s_mov_b32 s11, exec_lo
	s_waitcnt lgkmcnt(0)
	s_barrier
	buffer_gl0_inv
	v_cmpx_gt_i32_e64 s12, v0
	s_cbranch_execz .LBB141_12
; %bb.9:
	s_load_dwordx4 s[0:3], s[4:5], 0x0
	s_mul_hi_u32 s13, s27, s10
	s_mul_hi_i32 s15, s21, s10
	s_mul_i32 s14, s21, s10
	s_mul_i32 s24, s19, s24
	;; [unrolled: 1-line block ×4, first 2 shown]
	s_add_i32 s13, s10, s13
	s_lshl_b64 s[34:35], s[14:15], 2
	s_ashr_i32 s25, s24, 31
	s_ashr_i32 s29, s28, 31
	s_ashr_i32 s31, s30, 31
	s_lshr_b32 s9, s13, s9
	s_mov_b32 s8, s17
	s_mul_hi_i32 s21, s9, s20
	s_mul_i32 s20, s9, s20
	v_lshlrev_b32_e32 v2, 3, v0
	v_lshlrev_b32_e32 v1, 2, v0
	v_mov_b32_e32 v6, 0
	v_mov_b32_e32 v7, 0
	s_waitcnt lgkmcnt(0)
	s_add_u32 s13, s2, s34
	s_addc_u32 s14, s3, s35
	s_lshl_b64 s[30:31], s[30:31], 2
	v_mov_b32_e32 v8, 0
	s_add_u32 s13, s13, s30
	s_addc_u32 s14, s14, s31
	s_lshl_b64 s[24:25], s[24:25], 1
	s_ashr_i32 s9, s17, 31
	s_add_i32 s15, s17, s17
	s_lshl_b64 s[20:21], s[20:21], 1
	s_lshl_b64 s[28:29], s[28:29], 1
	s_add_u32 s0, s0, s24
	s_addc_u32 s1, s1, s25
	s_add_u32 s0, s0, s28
	s_addc_u32 s1, s1, s29
	;; [unrolled: 2-line block ×3, first 2 shown]
	s_lshl_b64 s[8:9], s[8:9], 3
	s_add_u32 s2, s2, s30
	s_addc_u32 s3, s3, s31
	s_add_u32 s2, s2, s34
	s_addc_u32 s3, s3, s35
	v_add_co_u32 v3, s2, s2, v2
	v_add_co_ci_u32_e64 v4, null, s3, 0, s2
	v_add_co_u32 v1, s0, s0, v1
	v_add_co_ci_u32_e64 v2, null, s1, 0, s0
	;; [unrolled: 2-line block ×3, first 2 shown]
	v_mov_b32_e32 v9, 0
	v_mov_b32_e32 v10, v0
	s_mul_i32 s2, s17, 3
	s_mov_b32 s1, 0
.LBB141_10:                             ; =>This Inner Loop Header: Depth=1
	v_add_nc_u32_e32 v13, s15, v10
	v_add_nc_u32_e32 v17, s2, v10
	v_add_co_u32 v15, s0, v3, s8
	v_add_co_ci_u32_e64 v16, null, s9, v4, s0
	v_ashrrev_i32_e32 v14, 31, v13
	v_ashrrev_i32_e32 v18, 31, v17
	s_clause 0x1
	global_load_dwordx2 v[11:12], v[3:4], off offset:-4
	global_load_dwordx2 v[15:16], v[15:16], off offset:-4
	v_add_nc_u32_e32 v10, 0xc0, v10
	v_lshlrev_b64 v[13:14], 3, v[13:14]
	v_lshlrev_b64 v[17:18], 3, v[17:18]
	v_add_co_u32 v13, s0, s13, v13
	v_add_co_ci_u32_e64 v14, null, s14, v14, s0
	v_add_co_u32 v17, s0, s13, v17
	v_add_co_ci_u32_e64 v18, null, s14, v18, s0
	s_clause 0x1
	global_load_dwordx2 v[13:14], v[13:14], off
	global_load_dwordx2 v[17:18], v[17:18], off
	global_load_dword v19, v[1:2], off
	v_add_co_u32 v1, s0, 0x300, v1
	v_add_co_ci_u32_e64 v2, null, 0, v2, s0
	v_add_co_u32 v3, s0, 0x600, v3
	v_add_co_ci_u32_e64 v4, null, 0, v4, s0
	v_cmp_le_i32_e64 s0, s12, v10
	s_or_b32 s1, s0, s1
	s_waitcnt vmcnt(4)
	v_cvt_f16_f32_e32 v11, v11
	v_cvt_f16_f32_e32 v12, v12
	s_waitcnt vmcnt(3)
	v_cvt_f16_f32_e32 v15, v15
	v_cvt_f16_f32_e32 v16, v16
	v_pack_b32_f16 v11, v11, v12
	v_pack_b32_f16 v12, v15, v16
	s_waitcnt vmcnt(2)
	v_cvt_f16_f32_e32 v13, v13
	v_cvt_f16_f32_e32 v14, v14
	s_waitcnt vmcnt(1)
	v_cvt_f16_f32_e32 v17, v17
	v_cvt_f16_f32_e32 v18, v18
	s_waitcnt vmcnt(0)
	v_pk_fma_f16 v9, v19, v11, v9
	v_pk_fma_f16 v8, v19, v12, v8
	v_pack_b32_f16 v13, v13, v14
	v_pack_b32_f16 v14, v17, v18
	v_pk_fma_f16 v7, v19, v13, v7
	v_pk_fma_f16 v6, v19, v14, v6
	s_andn2_b32 exec_lo, exec_lo, s1
	s_cbranch_execnz .LBB141_10
; %bb.11:
	s_or_b32 exec_lo, exec_lo, s1
.LBB141_12:
	s_or_b32 exec_lo, exec_lo, s11
	v_mbcnt_lo_u32_b32 v2, -1, 0
	v_cvt_f32_f16_e32 v3, v9
	v_cvt_f32_f16_sdwa v4, v9 dst_sel:DWORD dst_unused:UNUSED_PAD src0_sel:WORD_1
	v_cvt_f32_f16_e32 v13, v8
	v_cvt_f32_f16_sdwa v14, v8 dst_sel:DWORD dst_unused:UNUSED_PAD src0_sel:WORD_1
	v_xor_b32_e32 v1, 16, v2
	v_add_f32_e32 v4, v3, v4
	v_xor_b32_e32 v3, 8, v2
	v_cmp_gt_i32_e64 s0, 32, v1
	v_cndmask_b32_e64 v1, v2, v1, s0
	v_cmp_gt_i32_e64 s0, 32, v3
	v_lshlrev_b32_e32 v1, 2, v1
	v_cndmask_b32_e64 v3, v2, v3, s0
	ds_bpermute_b32 v9, v1, v4
	v_lshlrev_b32_e32 v3, 2, v3
	s_waitcnt lgkmcnt(0)
	v_add_f32_e32 v9, v4, v9
	v_xor_b32_e32 v4, 4, v2
	ds_bpermute_b32 v10, v3, v9
	v_cmp_gt_i32_e64 s0, 32, v4
	v_cndmask_b32_e64 v4, v2, v4, s0
	v_lshlrev_b32_e32 v4, 2, v4
	s_waitcnt lgkmcnt(0)
	v_add_f32_e32 v10, v9, v10
	v_xor_b32_e32 v9, 2, v2
	ds_bpermute_b32 v11, v4, v10
	v_cmp_gt_i32_e64 s0, 32, v9
	v_cndmask_b32_e64 v9, v2, v9, s0
	;; [unrolled: 7-line block ×3, first 2 shown]
	v_lshlrev_b32_e32 v10, 2, v2
	s_waitcnt lgkmcnt(0)
	v_add_f32_e32 v2, v11, v12
	v_lshrrev_b32_e32 v12, 3, v0
	ds_bpermute_b32 v11, v10, v2
	v_and_b32_e32 v12, 0x7c, v12
	v_add_nc_u32_e32 v8, 0, v12
	v_add_f32_e32 v12, v13, v14
	s_waitcnt lgkmcnt(0)
	v_add_f32_e32 v2, v2, v11
	v_cvt_f32_f16_e32 v11, v7
	v_cvt_f32_f16_sdwa v7, v7 dst_sel:DWORD dst_unused:UNUSED_PAD src0_sel:WORD_1
	ds_write_b32 v8, v2
	s_waitcnt lgkmcnt(0)
	s_barrier
	buffer_gl0_inv
	s_and_saveexec_b32 s0, vcc_lo
	s_cbranch_execz .LBB141_14
; %bb.13:
	ds_read_b32 v2, v5
	s_waitcnt lgkmcnt(0)
	ds_bpermute_b32 v13, v1, v2
	s_waitcnt lgkmcnt(0)
	v_add_f32_e32 v2, v2, v13
	ds_bpermute_b32 v13, v3, v2
	s_waitcnt lgkmcnt(0)
	v_add_f32_e32 v2, v2, v13
	;; [unrolled: 3-line block ×5, first 2 shown]
.LBB141_14:
	s_or_b32 exec_lo, exec_lo, s0
	ds_bpermute_b32 v13, v1, v12
	v_add_f32_e32 v7, v11, v7
	s_waitcnt lgkmcnt(0)
	s_barrier
	buffer_gl0_inv
	v_add_f32_e32 v12, v12, v13
	ds_bpermute_b32 v13, v3, v12
	s_waitcnt lgkmcnt(0)
	v_add_f32_e32 v12, v12, v13
	ds_bpermute_b32 v13, v4, v12
	s_waitcnt lgkmcnt(0)
	;; [unrolled: 3-line block ×3, first 2 shown]
	v_add_f32_e32 v14, v12, v13
	v_cvt_f32_f16_e32 v12, v6
	v_cvt_f32_f16_sdwa v13, v6 dst_sel:DWORD dst_unused:UNUSED_PAD src0_sel:WORD_1
	ds_bpermute_b32 v15, v10, v14
	s_waitcnt lgkmcnt(0)
	v_add_f32_e32 v6, v14, v15
	ds_write_b32 v8, v6
	s_waitcnt lgkmcnt(0)
	s_barrier
	buffer_gl0_inv
	s_and_saveexec_b32 s0, vcc_lo
	s_cbranch_execz .LBB141_16
; %bb.15:
	ds_read_b32 v6, v5
	s_waitcnt lgkmcnt(0)
	ds_bpermute_b32 v11, v1, v6
	s_waitcnt lgkmcnt(0)
	v_add_f32_e32 v6, v6, v11
	ds_bpermute_b32 v11, v3, v6
	s_waitcnt lgkmcnt(0)
	v_add_f32_e32 v6, v6, v11
	ds_bpermute_b32 v11, v4, v6
	s_waitcnt lgkmcnt(0)
	v_add_f32_e32 v6, v6, v11
	ds_bpermute_b32 v11, v9, v6
	s_waitcnt lgkmcnt(0)
	v_add_f32_e32 v6, v6, v11
	ds_bpermute_b32 v11, v10, v6
	s_waitcnt lgkmcnt(0)
	v_add_f32_e32 v6, v6, v11
.LBB141_16:
	s_or_b32 exec_lo, exec_lo, s0
	ds_bpermute_b32 v11, v1, v7
	s_waitcnt lgkmcnt(0)
	s_barrier
	buffer_gl0_inv
	v_add_f32_e32 v7, v7, v11
	ds_bpermute_b32 v11, v3, v7
	s_waitcnt lgkmcnt(0)
	v_add_f32_e32 v7, v7, v11
	ds_bpermute_b32 v11, v4, v7
	s_waitcnt lgkmcnt(0)
	;; [unrolled: 3-line block ×4, first 2 shown]
	v_add_f32_e32 v7, v7, v11
	v_add_f32_e32 v11, v12, v13
	ds_write_b32 v8, v7
	s_waitcnt lgkmcnt(0)
	s_barrier
	buffer_gl0_inv
	s_and_saveexec_b32 s0, vcc_lo
	s_cbranch_execz .LBB141_18
; %bb.17:
	ds_read_b32 v7, v5
	s_waitcnt lgkmcnt(0)
	ds_bpermute_b32 v12, v1, v7
	s_waitcnt lgkmcnt(0)
	v_add_f32_e32 v7, v7, v12
	ds_bpermute_b32 v12, v3, v7
	s_waitcnt lgkmcnt(0)
	v_add_f32_e32 v7, v7, v12
	;; [unrolled: 3-line block ×5, first 2 shown]
.LBB141_18:
	s_or_b32 exec_lo, exec_lo, s0
	ds_bpermute_b32 v12, v1, v11
	s_waitcnt lgkmcnt(0)
	s_barrier
	buffer_gl0_inv
	v_add_f32_e32 v11, v11, v12
	ds_bpermute_b32 v12, v3, v11
	s_waitcnt lgkmcnt(0)
	v_add_f32_e32 v11, v11, v12
	ds_bpermute_b32 v12, v4, v11
	s_waitcnt lgkmcnt(0)
	;; [unrolled: 3-line block ×4, first 2 shown]
	v_add_f32_e32 v11, v11, v12
	ds_write_b32 v8, v11
	s_waitcnt lgkmcnt(0)
	s_barrier
	buffer_gl0_inv
	s_and_saveexec_b32 s0, vcc_lo
	s_cbranch_execz .LBB141_20
; %bb.19:
	ds_read_b32 v5, v5
	s_waitcnt lgkmcnt(0)
	ds_bpermute_b32 v1, v1, v5
	s_waitcnt lgkmcnt(0)
	v_add_f32_e32 v1, v5, v1
	ds_bpermute_b32 v3, v3, v1
	s_waitcnt lgkmcnt(0)
	v_add_f32_e32 v1, v1, v3
	;; [unrolled: 3-line block ×5, first 2 shown]
.LBB141_20:
	s_or_b32 exec_lo, exec_lo, s0
	s_barrier
	buffer_gl0_inv
	s_mov_b32 s0, exec_lo
	v_cmpx_gt_u32_e32 4, v0
	s_cbranch_execz .LBB141_22
; %bb.21:
	s_load_dwordx2 s[0:1], s[4:5], 0x38
	v_mad_u64_u32 v[3:4], null, s18, v0, s[6:7]
	v_cmp_eq_u32_e32 vcc_lo, 1, v0
	s_mul_hi_i32 s3, s22, s10
	s_mul_i32 s2, s22, s10
	s_mul_i32 s4, s26, s7
	s_lshl_b64 s[2:3], s[2:3], 2
	v_cndmask_b32_e32 v1, v2, v6, vcc_lo
	v_ashrrev_i32_e32 v4, 31, v3
	v_cmp_eq_u32_e32 vcc_lo, 2, v0
	s_ashr_i32 s5, s4, 31
	v_cndmask_b32_e32 v5, v1, v7, vcc_lo
	v_lshlrev_b64 v[1:2], 2, v[3:4]
	v_cmp_eq_u32_e32 vcc_lo, 3, v0
	s_waitcnt lgkmcnt(0)
	s_add_u32 s2, s0, s2
	s_addc_u32 s3, s1, s3
	s_lshl_b64 s[0:1], s[4:5], 2
	v_cndmask_b32_e32 v3, v5, v11, vcc_lo
	s_add_u32 s0, s2, s0
	s_addc_u32 s1, s3, s1
	v_add_co_u32 v0, vcc_lo, s0, v1
	v_add_co_ci_u32_e64 v1, null, s1, v2, vcc_lo
	global_store_dword v[0:1], v3, off
.LBB141_22:
	s_endpgm
	.section	.rodata,"a",@progbits
	.p2align	6, 0x0
	.amdhsa_kernel _ZL13mul_mat_vec_fI6__halfS0_Li4ELi192ELb0ELb0EEvPKT_PKfPKi31ggml_cuda_mm_fusion_args_devicePfi15HIP_vector_typeIjLj3EEiiiSB_iiiSB_iiii
		.amdhsa_group_segment_fixed_size 0
		.amdhsa_private_segment_fixed_size 0
		.amdhsa_kernarg_size 144
		.amdhsa_user_sgpr_count 6
		.amdhsa_user_sgpr_private_segment_buffer 1
		.amdhsa_user_sgpr_dispatch_ptr 0
		.amdhsa_user_sgpr_queue_ptr 0
		.amdhsa_user_sgpr_kernarg_segment_ptr 1
		.amdhsa_user_sgpr_dispatch_id 0
		.amdhsa_user_sgpr_flat_scratch_init 0
		.amdhsa_user_sgpr_private_segment_size 0
		.amdhsa_wavefront_size32 1
		.amdhsa_uses_dynamic_stack 0
		.amdhsa_system_sgpr_private_segment_wavefront_offset 0
		.amdhsa_system_sgpr_workgroup_id_x 1
		.amdhsa_system_sgpr_workgroup_id_y 1
		.amdhsa_system_sgpr_workgroup_id_z 1
		.amdhsa_system_sgpr_workgroup_info 0
		.amdhsa_system_vgpr_workitem_id 0
		.amdhsa_next_free_vgpr 20
		.amdhsa_next_free_sgpr 36
		.amdhsa_reserve_vcc 1
		.amdhsa_reserve_flat_scratch 0
		.amdhsa_float_round_mode_32 0
		.amdhsa_float_round_mode_16_64 0
		.amdhsa_float_denorm_mode_32 3
		.amdhsa_float_denorm_mode_16_64 3
		.amdhsa_dx10_clamp 1
		.amdhsa_ieee_mode 1
		.amdhsa_fp16_overflow 0
		.amdhsa_workgroup_processor_mode 1
		.amdhsa_memory_ordered 1
		.amdhsa_forward_progress 1
		.amdhsa_shared_vgpr_count 0
		.amdhsa_exception_fp_ieee_invalid_op 0
		.amdhsa_exception_fp_denorm_src 0
		.amdhsa_exception_fp_ieee_div_zero 0
		.amdhsa_exception_fp_ieee_overflow 0
		.amdhsa_exception_fp_ieee_underflow 0
		.amdhsa_exception_fp_ieee_inexact 0
		.amdhsa_exception_int_div_zero 0
	.end_amdhsa_kernel
	.section	.text._ZL13mul_mat_vec_fI6__halfS0_Li4ELi192ELb0ELb0EEvPKT_PKfPKi31ggml_cuda_mm_fusion_args_devicePfi15HIP_vector_typeIjLj3EEiiiSB_iiiSB_iiii,"axG",@progbits,_ZL13mul_mat_vec_fI6__halfS0_Li4ELi192ELb0ELb0EEvPKT_PKfPKi31ggml_cuda_mm_fusion_args_devicePfi15HIP_vector_typeIjLj3EEiiiSB_iiiSB_iiii,comdat
.Lfunc_end141:
	.size	_ZL13mul_mat_vec_fI6__halfS0_Li4ELi192ELb0ELb0EEvPKT_PKfPKi31ggml_cuda_mm_fusion_args_devicePfi15HIP_vector_typeIjLj3EEiiiSB_iiiSB_iiii, .Lfunc_end141-_ZL13mul_mat_vec_fI6__halfS0_Li4ELi192ELb0ELb0EEvPKT_PKfPKi31ggml_cuda_mm_fusion_args_devicePfi15HIP_vector_typeIjLj3EEiiiSB_iiiSB_iiii
                                        ; -- End function
	.set _ZL13mul_mat_vec_fI6__halfS0_Li4ELi192ELb0ELb0EEvPKT_PKfPKi31ggml_cuda_mm_fusion_args_devicePfi15HIP_vector_typeIjLj3EEiiiSB_iiiSB_iiii.num_vgpr, 20
	.set _ZL13mul_mat_vec_fI6__halfS0_Li4ELi192ELb0ELb0EEvPKT_PKfPKi31ggml_cuda_mm_fusion_args_devicePfi15HIP_vector_typeIjLj3EEiiiSB_iiiSB_iiii.num_agpr, 0
	.set _ZL13mul_mat_vec_fI6__halfS0_Li4ELi192ELb0ELb0EEvPKT_PKfPKi31ggml_cuda_mm_fusion_args_devicePfi15HIP_vector_typeIjLj3EEiiiSB_iiiSB_iiii.numbered_sgpr, 36
	.set _ZL13mul_mat_vec_fI6__halfS0_Li4ELi192ELb0ELb0EEvPKT_PKfPKi31ggml_cuda_mm_fusion_args_devicePfi15HIP_vector_typeIjLj3EEiiiSB_iiiSB_iiii.num_named_barrier, 0
	.set _ZL13mul_mat_vec_fI6__halfS0_Li4ELi192ELb0ELb0EEvPKT_PKfPKi31ggml_cuda_mm_fusion_args_devicePfi15HIP_vector_typeIjLj3EEiiiSB_iiiSB_iiii.private_seg_size, 0
	.set _ZL13mul_mat_vec_fI6__halfS0_Li4ELi192ELb0ELb0EEvPKT_PKfPKi31ggml_cuda_mm_fusion_args_devicePfi15HIP_vector_typeIjLj3EEiiiSB_iiiSB_iiii.uses_vcc, 1
	.set _ZL13mul_mat_vec_fI6__halfS0_Li4ELi192ELb0ELb0EEvPKT_PKfPKi31ggml_cuda_mm_fusion_args_devicePfi15HIP_vector_typeIjLj3EEiiiSB_iiiSB_iiii.uses_flat_scratch, 0
	.set _ZL13mul_mat_vec_fI6__halfS0_Li4ELi192ELb0ELb0EEvPKT_PKfPKi31ggml_cuda_mm_fusion_args_devicePfi15HIP_vector_typeIjLj3EEiiiSB_iiiSB_iiii.has_dyn_sized_stack, 0
	.set _ZL13mul_mat_vec_fI6__halfS0_Li4ELi192ELb0ELb0EEvPKT_PKfPKi31ggml_cuda_mm_fusion_args_devicePfi15HIP_vector_typeIjLj3EEiiiSB_iiiSB_iiii.has_recursion, 0
	.set _ZL13mul_mat_vec_fI6__halfS0_Li4ELi192ELb0ELb0EEvPKT_PKfPKi31ggml_cuda_mm_fusion_args_devicePfi15HIP_vector_typeIjLj3EEiiiSB_iiiSB_iiii.has_indirect_call, 0
	.section	.AMDGPU.csdata,"",@progbits
; Kernel info:
; codeLenInByte = 2040
; TotalNumSgprs: 38
; NumVgprs: 20
; ScratchSize: 0
; MemoryBound: 0
; FloatMode: 240
; IeeeMode: 1
; LDSByteSize: 0 bytes/workgroup (compile time only)
; SGPRBlocks: 0
; VGPRBlocks: 2
; NumSGPRsForWavesPerEU: 38
; NumVGPRsForWavesPerEU: 20
; Occupancy: 16
; WaveLimiterHint : 0
; COMPUTE_PGM_RSRC2:SCRATCH_EN: 0
; COMPUTE_PGM_RSRC2:USER_SGPR: 6
; COMPUTE_PGM_RSRC2:TRAP_HANDLER: 0
; COMPUTE_PGM_RSRC2:TGID_X_EN: 1
; COMPUTE_PGM_RSRC2:TGID_Y_EN: 1
; COMPUTE_PGM_RSRC2:TGID_Z_EN: 1
; COMPUTE_PGM_RSRC2:TIDIG_COMP_CNT: 0
	.section	.text._ZL13mul_mat_vec_fI6__halfS0_Li4ELi224ELb0ELb0EEvPKT_PKfPKi31ggml_cuda_mm_fusion_args_devicePfi15HIP_vector_typeIjLj3EEiiiSB_iiiSB_iiii,"axG",@progbits,_ZL13mul_mat_vec_fI6__halfS0_Li4ELi224ELb0ELb0EEvPKT_PKfPKi31ggml_cuda_mm_fusion_args_devicePfi15HIP_vector_typeIjLj3EEiiiSB_iiiSB_iiii,comdat
	.globl	_ZL13mul_mat_vec_fI6__halfS0_Li4ELi224ELb0ELb0EEvPKT_PKfPKi31ggml_cuda_mm_fusion_args_devicePfi15HIP_vector_typeIjLj3EEiiiSB_iiiSB_iiii ; -- Begin function _ZL13mul_mat_vec_fI6__halfS0_Li4ELi224ELb0ELb0EEvPKT_PKfPKi31ggml_cuda_mm_fusion_args_devicePfi15HIP_vector_typeIjLj3EEiiiSB_iiiSB_iiii
	.p2align	8
	.type	_ZL13mul_mat_vec_fI6__halfS0_Li4ELi224ELb0ELb0EEvPKT_PKfPKi31ggml_cuda_mm_fusion_args_devicePfi15HIP_vector_typeIjLj3EEiiiSB_iiiSB_iiii,@function
_ZL13mul_mat_vec_fI6__halfS0_Li4ELi224ELb0ELb0EEvPKT_PKfPKi31ggml_cuda_mm_fusion_args_devicePfi15HIP_vector_typeIjLj3EEiiiSB_iiiSB_iiii: ; @_ZL13mul_mat_vec_fI6__halfS0_Li4ELi224ELb0ELb0EEvPKT_PKfPKi31ggml_cuda_mm_fusion_args_devicePfi15HIP_vector_typeIjLj3EEiiiSB_iiiSB_iiii
; %bb.0:
	s_clause 0x2
	s_load_dwordx2 s[0:1], s[4:5], 0x10
	s_load_dwordx8 s[12:19], s[4:5], 0x40
	s_load_dwordx4 s[20:23], s[4:5], 0x80
	s_waitcnt lgkmcnt(0)
	s_cmp_eq_u64 s[0:1], 0
	s_cselect_b32 s10, -1, 0
	s_cmp_lg_u64 s[0:1], 0
	s_cselect_b32 s9, -1, 0
	s_and_b32 vcc_lo, exec_lo, s10
	s_cbranch_vccnz .LBB142_2
; %bb.1:
	s_mul_i32 s2, s23, s8
	s_mov_b32 s3, 0
	s_add_i32 s2, s2, s7
	s_lshl_b64 s[24:25], s[2:3], 2
	s_add_u32 s0, s0, s24
	s_addc_u32 s1, s1, s25
	s_load_dword s19, s[0:1], 0x0
	s_cbranch_execz .LBB142_3
	s_branch .LBB142_4
.LBB142_2:
                                        ; implicit-def: $sgpr19
.LBB142_3:
	s_load_dwordx2 s[0:1], s[4:5], 0x5c
	s_waitcnt lgkmcnt(0)
	s_mul_hi_u32 s0, s0, s7
	s_add_i32 s0, s7, s0
	s_lshr_b32 s19, s0, s1
.LBB142_4:
	s_load_dwordx4 s[24:27], s[4:5], 0x68
	s_andn2_b32 vcc_lo, exec_lo, s9
	s_mov_b32 s23, s7
	s_cbranch_vccnz .LBB142_6
; %bb.5:
	s_mul_hi_u32 s0, s13, s7
	s_add_i32 s0, s7, s0
	s_lshr_b32 s0, s0, s14
	s_mul_i32 s0, s0, s15
	s_sub_i32 s23, s7, s0
.LBB142_6:
	s_load_dword s9, s[4:5], 0x78
	v_cmp_gt_u32_e32 vcc_lo, 32, v0
	v_lshl_add_u32 v5, v0, 2, 0
	s_and_saveexec_b32 s0, vcc_lo
; %bb.7:
	v_mov_b32_e32 v1, 0
	ds_write_b32 v5, v1
; %bb.8:
	s_or_b32 exec_lo, exec_lo, s0
	v_mov_b32_e32 v9, 0
	v_mov_b32_e32 v8, 0
	v_mov_b32_e32 v7, 0
	v_mov_b32_e32 v6, 0
	s_and_b32 s0, exec_lo, s10
	s_cselect_b32 s10, s8, 0
	s_mov_b32 s11, exec_lo
	s_waitcnt lgkmcnt(0)
	s_barrier
	buffer_gl0_inv
	v_cmpx_gt_i32_e64 s12, v0
	s_cbranch_execz .LBB142_12
; %bb.9:
	s_load_dwordx4 s[0:3], s[4:5], 0x0
	s_mul_hi_u32 s13, s27, s10
	s_mul_hi_i32 s15, s21, s10
	s_mul_i32 s14, s21, s10
	s_mul_i32 s24, s19, s24
	s_mul_i32 s28, s16, s6
	s_mul_i32 s30, s23, s25
	s_add_i32 s13, s10, s13
	s_lshl_b64 s[34:35], s[14:15], 2
	s_ashr_i32 s25, s24, 31
	s_ashr_i32 s29, s28, 31
	;; [unrolled: 1-line block ×3, first 2 shown]
	s_lshr_b32 s9, s13, s9
	s_mov_b32 s8, s17
	s_mul_hi_i32 s21, s9, s20
	s_mul_i32 s20, s9, s20
	v_lshlrev_b32_e32 v2, 3, v0
	v_lshlrev_b32_e32 v1, 2, v0
	v_mov_b32_e32 v6, 0
	v_mov_b32_e32 v7, 0
	s_waitcnt lgkmcnt(0)
	s_add_u32 s13, s2, s34
	s_addc_u32 s14, s3, s35
	s_lshl_b64 s[30:31], s[30:31], 2
	v_mov_b32_e32 v8, 0
	s_add_u32 s13, s13, s30
	s_addc_u32 s14, s14, s31
	s_lshl_b64 s[24:25], s[24:25], 1
	s_ashr_i32 s9, s17, 31
	s_add_i32 s15, s17, s17
	s_lshl_b64 s[20:21], s[20:21], 1
	s_lshl_b64 s[28:29], s[28:29], 1
	s_add_u32 s0, s0, s24
	s_addc_u32 s1, s1, s25
	s_add_u32 s0, s0, s28
	s_addc_u32 s1, s1, s29
	s_add_u32 s0, s0, s20
	s_addc_u32 s1, s1, s21
	s_lshl_b64 s[8:9], s[8:9], 3
	s_add_u32 s2, s2, s30
	s_addc_u32 s3, s3, s31
	s_add_u32 s2, s2, s34
	s_addc_u32 s3, s3, s35
	v_add_co_u32 v3, s2, s2, v2
	v_add_co_ci_u32_e64 v4, null, s3, 0, s2
	v_add_co_u32 v1, s0, s0, v1
	v_add_co_ci_u32_e64 v2, null, s1, 0, s0
	v_add_co_u32 v3, s0, v3, 4
	v_add_co_ci_u32_e64 v4, null, 0, v4, s0
	v_mov_b32_e32 v9, 0
	v_mov_b32_e32 v10, v0
	s_mul_i32 s2, s17, 3
	s_mov_b32 s1, 0
.LBB142_10:                             ; =>This Inner Loop Header: Depth=1
	v_add_nc_u32_e32 v13, s15, v10
	v_add_nc_u32_e32 v17, s2, v10
	v_add_co_u32 v15, s0, v3, s8
	v_add_co_ci_u32_e64 v16, null, s9, v4, s0
	v_ashrrev_i32_e32 v14, 31, v13
	v_ashrrev_i32_e32 v18, 31, v17
	s_clause 0x1
	global_load_dwordx2 v[11:12], v[3:4], off offset:-4
	global_load_dwordx2 v[15:16], v[15:16], off offset:-4
	v_add_nc_u32_e32 v10, 0xe0, v10
	v_lshlrev_b64 v[13:14], 3, v[13:14]
	v_lshlrev_b64 v[17:18], 3, v[17:18]
	v_add_co_u32 v13, s0, s13, v13
	v_add_co_ci_u32_e64 v14, null, s14, v14, s0
	v_add_co_u32 v17, s0, s13, v17
	v_add_co_ci_u32_e64 v18, null, s14, v18, s0
	s_clause 0x1
	global_load_dwordx2 v[13:14], v[13:14], off
	global_load_dwordx2 v[17:18], v[17:18], off
	global_load_dword v19, v[1:2], off
	v_add_co_u32 v1, s0, 0x380, v1
	v_add_co_ci_u32_e64 v2, null, 0, v2, s0
	v_add_co_u32 v3, s0, 0x700, v3
	v_add_co_ci_u32_e64 v4, null, 0, v4, s0
	v_cmp_le_i32_e64 s0, s12, v10
	s_or_b32 s1, s0, s1
	s_waitcnt vmcnt(4)
	v_cvt_f16_f32_e32 v11, v11
	v_cvt_f16_f32_e32 v12, v12
	s_waitcnt vmcnt(3)
	v_cvt_f16_f32_e32 v15, v15
	v_cvt_f16_f32_e32 v16, v16
	v_pack_b32_f16 v11, v11, v12
	v_pack_b32_f16 v12, v15, v16
	s_waitcnt vmcnt(2)
	v_cvt_f16_f32_e32 v13, v13
	v_cvt_f16_f32_e32 v14, v14
	s_waitcnt vmcnt(1)
	v_cvt_f16_f32_e32 v17, v17
	v_cvt_f16_f32_e32 v18, v18
	s_waitcnt vmcnt(0)
	v_pk_fma_f16 v9, v19, v11, v9
	v_pk_fma_f16 v8, v19, v12, v8
	v_pack_b32_f16 v13, v13, v14
	v_pack_b32_f16 v14, v17, v18
	v_pk_fma_f16 v7, v19, v13, v7
	v_pk_fma_f16 v6, v19, v14, v6
	s_andn2_b32 exec_lo, exec_lo, s1
	s_cbranch_execnz .LBB142_10
; %bb.11:
	s_or_b32 exec_lo, exec_lo, s1
.LBB142_12:
	s_or_b32 exec_lo, exec_lo, s11
	v_mbcnt_lo_u32_b32 v2, -1, 0
	v_cvt_f32_f16_e32 v3, v9
	v_cvt_f32_f16_sdwa v4, v9 dst_sel:DWORD dst_unused:UNUSED_PAD src0_sel:WORD_1
	v_cvt_f32_f16_e32 v13, v8
	v_cvt_f32_f16_sdwa v14, v8 dst_sel:DWORD dst_unused:UNUSED_PAD src0_sel:WORD_1
	v_xor_b32_e32 v1, 16, v2
	v_add_f32_e32 v4, v3, v4
	v_xor_b32_e32 v3, 8, v2
	v_cmp_gt_i32_e64 s0, 32, v1
	v_cndmask_b32_e64 v1, v2, v1, s0
	v_cmp_gt_i32_e64 s0, 32, v3
	v_lshlrev_b32_e32 v1, 2, v1
	v_cndmask_b32_e64 v3, v2, v3, s0
	ds_bpermute_b32 v9, v1, v4
	v_lshlrev_b32_e32 v3, 2, v3
	s_waitcnt lgkmcnt(0)
	v_add_f32_e32 v9, v4, v9
	v_xor_b32_e32 v4, 4, v2
	ds_bpermute_b32 v10, v3, v9
	v_cmp_gt_i32_e64 s0, 32, v4
	v_cndmask_b32_e64 v4, v2, v4, s0
	v_lshlrev_b32_e32 v4, 2, v4
	s_waitcnt lgkmcnt(0)
	v_add_f32_e32 v10, v9, v10
	v_xor_b32_e32 v9, 2, v2
	ds_bpermute_b32 v11, v4, v10
	v_cmp_gt_i32_e64 s0, 32, v9
	v_cndmask_b32_e64 v9, v2, v9, s0
	;; [unrolled: 7-line block ×3, first 2 shown]
	v_lshlrev_b32_e32 v10, 2, v2
	s_waitcnt lgkmcnt(0)
	v_add_f32_e32 v2, v11, v12
	v_lshrrev_b32_e32 v12, 3, v0
	ds_bpermute_b32 v11, v10, v2
	v_and_b32_e32 v12, 0x7c, v12
	v_add_nc_u32_e32 v8, 0, v12
	v_add_f32_e32 v12, v13, v14
	s_waitcnt lgkmcnt(0)
	v_add_f32_e32 v2, v2, v11
	v_cvt_f32_f16_e32 v11, v7
	v_cvt_f32_f16_sdwa v7, v7 dst_sel:DWORD dst_unused:UNUSED_PAD src0_sel:WORD_1
	ds_write_b32 v8, v2
	s_waitcnt lgkmcnt(0)
	s_barrier
	buffer_gl0_inv
	s_and_saveexec_b32 s0, vcc_lo
	s_cbranch_execz .LBB142_14
; %bb.13:
	ds_read_b32 v2, v5
	s_waitcnt lgkmcnt(0)
	ds_bpermute_b32 v13, v1, v2
	s_waitcnt lgkmcnt(0)
	v_add_f32_e32 v2, v2, v13
	ds_bpermute_b32 v13, v3, v2
	s_waitcnt lgkmcnt(0)
	v_add_f32_e32 v2, v2, v13
	;; [unrolled: 3-line block ×5, first 2 shown]
.LBB142_14:
	s_or_b32 exec_lo, exec_lo, s0
	ds_bpermute_b32 v13, v1, v12
	v_add_f32_e32 v7, v11, v7
	s_waitcnt lgkmcnt(0)
	s_barrier
	buffer_gl0_inv
	v_add_f32_e32 v12, v12, v13
	ds_bpermute_b32 v13, v3, v12
	s_waitcnt lgkmcnt(0)
	v_add_f32_e32 v12, v12, v13
	ds_bpermute_b32 v13, v4, v12
	s_waitcnt lgkmcnt(0)
	v_add_f32_e32 v12, v12, v13
	ds_bpermute_b32 v13, v9, v12
	s_waitcnt lgkmcnt(0)
	v_add_f32_e32 v14, v12, v13
	v_cvt_f32_f16_e32 v12, v6
	v_cvt_f32_f16_sdwa v13, v6 dst_sel:DWORD dst_unused:UNUSED_PAD src0_sel:WORD_1
	ds_bpermute_b32 v15, v10, v14
	s_waitcnt lgkmcnt(0)
	v_add_f32_e32 v6, v14, v15
	ds_write_b32 v8, v6
	s_waitcnt lgkmcnt(0)
	s_barrier
	buffer_gl0_inv
	s_and_saveexec_b32 s0, vcc_lo
	s_cbranch_execz .LBB142_16
; %bb.15:
	ds_read_b32 v6, v5
	s_waitcnt lgkmcnt(0)
	ds_bpermute_b32 v11, v1, v6
	s_waitcnt lgkmcnt(0)
	v_add_f32_e32 v6, v6, v11
	ds_bpermute_b32 v11, v3, v6
	s_waitcnt lgkmcnt(0)
	v_add_f32_e32 v6, v6, v11
	ds_bpermute_b32 v11, v4, v6
	s_waitcnt lgkmcnt(0)
	v_add_f32_e32 v6, v6, v11
	ds_bpermute_b32 v11, v9, v6
	s_waitcnt lgkmcnt(0)
	v_add_f32_e32 v6, v6, v11
	ds_bpermute_b32 v11, v10, v6
	s_waitcnt lgkmcnt(0)
	v_add_f32_e32 v6, v6, v11
.LBB142_16:
	s_or_b32 exec_lo, exec_lo, s0
	ds_bpermute_b32 v11, v1, v7
	s_waitcnt lgkmcnt(0)
	s_barrier
	buffer_gl0_inv
	v_add_f32_e32 v7, v7, v11
	ds_bpermute_b32 v11, v3, v7
	s_waitcnt lgkmcnt(0)
	v_add_f32_e32 v7, v7, v11
	ds_bpermute_b32 v11, v4, v7
	s_waitcnt lgkmcnt(0)
	;; [unrolled: 3-line block ×4, first 2 shown]
	v_add_f32_e32 v7, v7, v11
	v_add_f32_e32 v11, v12, v13
	ds_write_b32 v8, v7
	s_waitcnt lgkmcnt(0)
	s_barrier
	buffer_gl0_inv
	s_and_saveexec_b32 s0, vcc_lo
	s_cbranch_execz .LBB142_18
; %bb.17:
	ds_read_b32 v7, v5
	s_waitcnt lgkmcnt(0)
	ds_bpermute_b32 v12, v1, v7
	s_waitcnt lgkmcnt(0)
	v_add_f32_e32 v7, v7, v12
	ds_bpermute_b32 v12, v3, v7
	s_waitcnt lgkmcnt(0)
	v_add_f32_e32 v7, v7, v12
	;; [unrolled: 3-line block ×5, first 2 shown]
.LBB142_18:
	s_or_b32 exec_lo, exec_lo, s0
	ds_bpermute_b32 v12, v1, v11
	s_waitcnt lgkmcnt(0)
	s_barrier
	buffer_gl0_inv
	v_add_f32_e32 v11, v11, v12
	ds_bpermute_b32 v12, v3, v11
	s_waitcnt lgkmcnt(0)
	v_add_f32_e32 v11, v11, v12
	ds_bpermute_b32 v12, v4, v11
	s_waitcnt lgkmcnt(0)
	;; [unrolled: 3-line block ×4, first 2 shown]
	v_add_f32_e32 v11, v11, v12
	ds_write_b32 v8, v11
	s_waitcnt lgkmcnt(0)
	s_barrier
	buffer_gl0_inv
	s_and_saveexec_b32 s0, vcc_lo
	s_cbranch_execz .LBB142_20
; %bb.19:
	ds_read_b32 v5, v5
	s_waitcnt lgkmcnt(0)
	ds_bpermute_b32 v1, v1, v5
	s_waitcnt lgkmcnt(0)
	v_add_f32_e32 v1, v5, v1
	ds_bpermute_b32 v3, v3, v1
	s_waitcnt lgkmcnt(0)
	v_add_f32_e32 v1, v1, v3
	;; [unrolled: 3-line block ×5, first 2 shown]
.LBB142_20:
	s_or_b32 exec_lo, exec_lo, s0
	s_barrier
	buffer_gl0_inv
	s_mov_b32 s0, exec_lo
	v_cmpx_gt_u32_e32 4, v0
	s_cbranch_execz .LBB142_22
; %bb.21:
	s_load_dwordx2 s[0:1], s[4:5], 0x38
	v_mad_u64_u32 v[3:4], null, s18, v0, s[6:7]
	v_cmp_eq_u32_e32 vcc_lo, 1, v0
	s_mul_hi_i32 s3, s22, s10
	s_mul_i32 s2, s22, s10
	s_mul_i32 s4, s26, s7
	s_lshl_b64 s[2:3], s[2:3], 2
	v_cndmask_b32_e32 v1, v2, v6, vcc_lo
	v_ashrrev_i32_e32 v4, 31, v3
	v_cmp_eq_u32_e32 vcc_lo, 2, v0
	s_ashr_i32 s5, s4, 31
	v_cndmask_b32_e32 v5, v1, v7, vcc_lo
	v_lshlrev_b64 v[1:2], 2, v[3:4]
	v_cmp_eq_u32_e32 vcc_lo, 3, v0
	s_waitcnt lgkmcnt(0)
	s_add_u32 s2, s0, s2
	s_addc_u32 s3, s1, s3
	s_lshl_b64 s[0:1], s[4:5], 2
	v_cndmask_b32_e32 v3, v5, v11, vcc_lo
	s_add_u32 s0, s2, s0
	s_addc_u32 s1, s3, s1
	v_add_co_u32 v0, vcc_lo, s0, v1
	v_add_co_ci_u32_e64 v1, null, s1, v2, vcc_lo
	global_store_dword v[0:1], v3, off
.LBB142_22:
	s_endpgm
	.section	.rodata,"a",@progbits
	.p2align	6, 0x0
	.amdhsa_kernel _ZL13mul_mat_vec_fI6__halfS0_Li4ELi224ELb0ELb0EEvPKT_PKfPKi31ggml_cuda_mm_fusion_args_devicePfi15HIP_vector_typeIjLj3EEiiiSB_iiiSB_iiii
		.amdhsa_group_segment_fixed_size 0
		.amdhsa_private_segment_fixed_size 0
		.amdhsa_kernarg_size 144
		.amdhsa_user_sgpr_count 6
		.amdhsa_user_sgpr_private_segment_buffer 1
		.amdhsa_user_sgpr_dispatch_ptr 0
		.amdhsa_user_sgpr_queue_ptr 0
		.amdhsa_user_sgpr_kernarg_segment_ptr 1
		.amdhsa_user_sgpr_dispatch_id 0
		.amdhsa_user_sgpr_flat_scratch_init 0
		.amdhsa_user_sgpr_private_segment_size 0
		.amdhsa_wavefront_size32 1
		.amdhsa_uses_dynamic_stack 0
		.amdhsa_system_sgpr_private_segment_wavefront_offset 0
		.amdhsa_system_sgpr_workgroup_id_x 1
		.amdhsa_system_sgpr_workgroup_id_y 1
		.amdhsa_system_sgpr_workgroup_id_z 1
		.amdhsa_system_sgpr_workgroup_info 0
		.amdhsa_system_vgpr_workitem_id 0
		.amdhsa_next_free_vgpr 20
		.amdhsa_next_free_sgpr 36
		.amdhsa_reserve_vcc 1
		.amdhsa_reserve_flat_scratch 0
		.amdhsa_float_round_mode_32 0
		.amdhsa_float_round_mode_16_64 0
		.amdhsa_float_denorm_mode_32 3
		.amdhsa_float_denorm_mode_16_64 3
		.amdhsa_dx10_clamp 1
		.amdhsa_ieee_mode 1
		.amdhsa_fp16_overflow 0
		.amdhsa_workgroup_processor_mode 1
		.amdhsa_memory_ordered 1
		.amdhsa_forward_progress 1
		.amdhsa_shared_vgpr_count 0
		.amdhsa_exception_fp_ieee_invalid_op 0
		.amdhsa_exception_fp_denorm_src 0
		.amdhsa_exception_fp_ieee_div_zero 0
		.amdhsa_exception_fp_ieee_overflow 0
		.amdhsa_exception_fp_ieee_underflow 0
		.amdhsa_exception_fp_ieee_inexact 0
		.amdhsa_exception_int_div_zero 0
	.end_amdhsa_kernel
	.section	.text._ZL13mul_mat_vec_fI6__halfS0_Li4ELi224ELb0ELb0EEvPKT_PKfPKi31ggml_cuda_mm_fusion_args_devicePfi15HIP_vector_typeIjLj3EEiiiSB_iiiSB_iiii,"axG",@progbits,_ZL13mul_mat_vec_fI6__halfS0_Li4ELi224ELb0ELb0EEvPKT_PKfPKi31ggml_cuda_mm_fusion_args_devicePfi15HIP_vector_typeIjLj3EEiiiSB_iiiSB_iiii,comdat
.Lfunc_end142:
	.size	_ZL13mul_mat_vec_fI6__halfS0_Li4ELi224ELb0ELb0EEvPKT_PKfPKi31ggml_cuda_mm_fusion_args_devicePfi15HIP_vector_typeIjLj3EEiiiSB_iiiSB_iiii, .Lfunc_end142-_ZL13mul_mat_vec_fI6__halfS0_Li4ELi224ELb0ELb0EEvPKT_PKfPKi31ggml_cuda_mm_fusion_args_devicePfi15HIP_vector_typeIjLj3EEiiiSB_iiiSB_iiii
                                        ; -- End function
	.set _ZL13mul_mat_vec_fI6__halfS0_Li4ELi224ELb0ELb0EEvPKT_PKfPKi31ggml_cuda_mm_fusion_args_devicePfi15HIP_vector_typeIjLj3EEiiiSB_iiiSB_iiii.num_vgpr, 20
	.set _ZL13mul_mat_vec_fI6__halfS0_Li4ELi224ELb0ELb0EEvPKT_PKfPKi31ggml_cuda_mm_fusion_args_devicePfi15HIP_vector_typeIjLj3EEiiiSB_iiiSB_iiii.num_agpr, 0
	.set _ZL13mul_mat_vec_fI6__halfS0_Li4ELi224ELb0ELb0EEvPKT_PKfPKi31ggml_cuda_mm_fusion_args_devicePfi15HIP_vector_typeIjLj3EEiiiSB_iiiSB_iiii.numbered_sgpr, 36
	.set _ZL13mul_mat_vec_fI6__halfS0_Li4ELi224ELb0ELb0EEvPKT_PKfPKi31ggml_cuda_mm_fusion_args_devicePfi15HIP_vector_typeIjLj3EEiiiSB_iiiSB_iiii.num_named_barrier, 0
	.set _ZL13mul_mat_vec_fI6__halfS0_Li4ELi224ELb0ELb0EEvPKT_PKfPKi31ggml_cuda_mm_fusion_args_devicePfi15HIP_vector_typeIjLj3EEiiiSB_iiiSB_iiii.private_seg_size, 0
	.set _ZL13mul_mat_vec_fI6__halfS0_Li4ELi224ELb0ELb0EEvPKT_PKfPKi31ggml_cuda_mm_fusion_args_devicePfi15HIP_vector_typeIjLj3EEiiiSB_iiiSB_iiii.uses_vcc, 1
	.set _ZL13mul_mat_vec_fI6__halfS0_Li4ELi224ELb0ELb0EEvPKT_PKfPKi31ggml_cuda_mm_fusion_args_devicePfi15HIP_vector_typeIjLj3EEiiiSB_iiiSB_iiii.uses_flat_scratch, 0
	.set _ZL13mul_mat_vec_fI6__halfS0_Li4ELi224ELb0ELb0EEvPKT_PKfPKi31ggml_cuda_mm_fusion_args_devicePfi15HIP_vector_typeIjLj3EEiiiSB_iiiSB_iiii.has_dyn_sized_stack, 0
	.set _ZL13mul_mat_vec_fI6__halfS0_Li4ELi224ELb0ELb0EEvPKT_PKfPKi31ggml_cuda_mm_fusion_args_devicePfi15HIP_vector_typeIjLj3EEiiiSB_iiiSB_iiii.has_recursion, 0
	.set _ZL13mul_mat_vec_fI6__halfS0_Li4ELi224ELb0ELb0EEvPKT_PKfPKi31ggml_cuda_mm_fusion_args_devicePfi15HIP_vector_typeIjLj3EEiiiSB_iiiSB_iiii.has_indirect_call, 0
	.section	.AMDGPU.csdata,"",@progbits
; Kernel info:
; codeLenInByte = 2040
; TotalNumSgprs: 38
; NumVgprs: 20
; ScratchSize: 0
; MemoryBound: 0
; FloatMode: 240
; IeeeMode: 1
; LDSByteSize: 0 bytes/workgroup (compile time only)
; SGPRBlocks: 0
; VGPRBlocks: 2
; NumSGPRsForWavesPerEU: 38
; NumVGPRsForWavesPerEU: 20
; Occupancy: 16
; WaveLimiterHint : 0
; COMPUTE_PGM_RSRC2:SCRATCH_EN: 0
; COMPUTE_PGM_RSRC2:USER_SGPR: 6
; COMPUTE_PGM_RSRC2:TRAP_HANDLER: 0
; COMPUTE_PGM_RSRC2:TGID_X_EN: 1
; COMPUTE_PGM_RSRC2:TGID_Y_EN: 1
; COMPUTE_PGM_RSRC2:TGID_Z_EN: 1
; COMPUTE_PGM_RSRC2:TIDIG_COMP_CNT: 0
	.section	.text._ZL13mul_mat_vec_fI6__halfS0_Li4ELi256ELb0ELb0EEvPKT_PKfPKi31ggml_cuda_mm_fusion_args_devicePfi15HIP_vector_typeIjLj3EEiiiSB_iiiSB_iiii,"axG",@progbits,_ZL13mul_mat_vec_fI6__halfS0_Li4ELi256ELb0ELb0EEvPKT_PKfPKi31ggml_cuda_mm_fusion_args_devicePfi15HIP_vector_typeIjLj3EEiiiSB_iiiSB_iiii,comdat
	.globl	_ZL13mul_mat_vec_fI6__halfS0_Li4ELi256ELb0ELb0EEvPKT_PKfPKi31ggml_cuda_mm_fusion_args_devicePfi15HIP_vector_typeIjLj3EEiiiSB_iiiSB_iiii ; -- Begin function _ZL13mul_mat_vec_fI6__halfS0_Li4ELi256ELb0ELb0EEvPKT_PKfPKi31ggml_cuda_mm_fusion_args_devicePfi15HIP_vector_typeIjLj3EEiiiSB_iiiSB_iiii
	.p2align	8
	.type	_ZL13mul_mat_vec_fI6__halfS0_Li4ELi256ELb0ELb0EEvPKT_PKfPKi31ggml_cuda_mm_fusion_args_devicePfi15HIP_vector_typeIjLj3EEiiiSB_iiiSB_iiii,@function
_ZL13mul_mat_vec_fI6__halfS0_Li4ELi256ELb0ELb0EEvPKT_PKfPKi31ggml_cuda_mm_fusion_args_devicePfi15HIP_vector_typeIjLj3EEiiiSB_iiiSB_iiii: ; @_ZL13mul_mat_vec_fI6__halfS0_Li4ELi256ELb0ELb0EEvPKT_PKfPKi31ggml_cuda_mm_fusion_args_devicePfi15HIP_vector_typeIjLj3EEiiiSB_iiiSB_iiii
; %bb.0:
	s_clause 0x2
	s_load_dwordx2 s[0:1], s[4:5], 0x10
	s_load_dwordx8 s[12:19], s[4:5], 0x40
	s_load_dwordx4 s[20:23], s[4:5], 0x80
	s_waitcnt lgkmcnt(0)
	s_cmp_eq_u64 s[0:1], 0
	s_cselect_b32 s10, -1, 0
	s_cmp_lg_u64 s[0:1], 0
	s_cselect_b32 s9, -1, 0
	s_and_b32 vcc_lo, exec_lo, s10
	s_cbranch_vccnz .LBB143_2
; %bb.1:
	s_mul_i32 s2, s23, s8
	s_mov_b32 s3, 0
	s_add_i32 s2, s2, s7
	s_lshl_b64 s[24:25], s[2:3], 2
	s_add_u32 s0, s0, s24
	s_addc_u32 s1, s1, s25
	s_load_dword s19, s[0:1], 0x0
	s_cbranch_execz .LBB143_3
	s_branch .LBB143_4
.LBB143_2:
                                        ; implicit-def: $sgpr19
.LBB143_3:
	s_load_dwordx2 s[0:1], s[4:5], 0x5c
	s_waitcnt lgkmcnt(0)
	s_mul_hi_u32 s0, s0, s7
	s_add_i32 s0, s7, s0
	s_lshr_b32 s19, s0, s1
.LBB143_4:
	s_load_dwordx4 s[24:27], s[4:5], 0x68
	s_andn2_b32 vcc_lo, exec_lo, s9
	s_mov_b32 s23, s7
	s_cbranch_vccnz .LBB143_6
; %bb.5:
	s_mul_hi_u32 s0, s13, s7
	s_add_i32 s0, s7, s0
	s_lshr_b32 s0, s0, s14
	s_mul_i32 s0, s0, s15
	s_sub_i32 s23, s7, s0
.LBB143_6:
	s_load_dword s9, s[4:5], 0x78
	v_cmp_gt_u32_e32 vcc_lo, 32, v0
	v_lshl_add_u32 v5, v0, 2, 0
	s_and_saveexec_b32 s0, vcc_lo
; %bb.7:
	v_mov_b32_e32 v1, 0
	ds_write_b32 v5, v1
; %bb.8:
	s_or_b32 exec_lo, exec_lo, s0
	v_mov_b32_e32 v9, 0
	v_mov_b32_e32 v8, 0
	;; [unrolled: 1-line block ×4, first 2 shown]
	s_and_b32 s0, exec_lo, s10
	s_cselect_b32 s10, s8, 0
	s_mov_b32 s11, exec_lo
	s_waitcnt lgkmcnt(0)
	s_barrier
	buffer_gl0_inv
	v_cmpx_gt_i32_e64 s12, v0
	s_cbranch_execz .LBB143_12
; %bb.9:
	s_load_dwordx4 s[0:3], s[4:5], 0x0
	s_mul_hi_u32 s13, s27, s10
	s_mul_hi_i32 s15, s21, s10
	s_mul_i32 s14, s21, s10
	s_mul_i32 s24, s19, s24
	;; [unrolled: 1-line block ×4, first 2 shown]
	s_add_i32 s13, s10, s13
	s_lshl_b64 s[34:35], s[14:15], 2
	s_ashr_i32 s25, s24, 31
	s_ashr_i32 s29, s28, 31
	;; [unrolled: 1-line block ×3, first 2 shown]
	s_lshr_b32 s9, s13, s9
	s_mov_b32 s8, s17
	s_mul_hi_i32 s21, s9, s20
	s_mul_i32 s20, s9, s20
	v_lshlrev_b32_e32 v2, 3, v0
	v_lshlrev_b32_e32 v1, 2, v0
	v_mov_b32_e32 v6, 0
	v_mov_b32_e32 v7, 0
	s_waitcnt lgkmcnt(0)
	s_add_u32 s13, s2, s34
	s_addc_u32 s14, s3, s35
	s_lshl_b64 s[30:31], s[30:31], 2
	v_mov_b32_e32 v8, 0
	s_add_u32 s13, s13, s30
	s_addc_u32 s14, s14, s31
	s_lshl_b64 s[24:25], s[24:25], 1
	s_ashr_i32 s9, s17, 31
	s_add_i32 s15, s17, s17
	s_lshl_b64 s[20:21], s[20:21], 1
	s_lshl_b64 s[28:29], s[28:29], 1
	s_add_u32 s0, s0, s24
	s_addc_u32 s1, s1, s25
	s_add_u32 s0, s0, s28
	s_addc_u32 s1, s1, s29
	;; [unrolled: 2-line block ×3, first 2 shown]
	s_lshl_b64 s[8:9], s[8:9], 3
	s_add_u32 s2, s2, s30
	s_addc_u32 s3, s3, s31
	s_add_u32 s2, s2, s34
	s_addc_u32 s3, s3, s35
	v_add_co_u32 v3, s2, s2, v2
	v_add_co_ci_u32_e64 v4, null, s3, 0, s2
	v_add_co_u32 v1, s0, s0, v1
	v_add_co_ci_u32_e64 v2, null, s1, 0, s0
	;; [unrolled: 2-line block ×3, first 2 shown]
	v_mov_b32_e32 v9, 0
	v_mov_b32_e32 v10, v0
	s_mul_i32 s2, s17, 3
	s_mov_b32 s1, 0
.LBB143_10:                             ; =>This Inner Loop Header: Depth=1
	v_add_nc_u32_e32 v13, s15, v10
	v_add_nc_u32_e32 v17, s2, v10
	v_add_co_u32 v15, s0, v3, s8
	v_add_co_ci_u32_e64 v16, null, s9, v4, s0
	v_ashrrev_i32_e32 v14, 31, v13
	v_ashrrev_i32_e32 v18, 31, v17
	s_clause 0x1
	global_load_dwordx2 v[11:12], v[3:4], off offset:-4
	global_load_dwordx2 v[15:16], v[15:16], off offset:-4
	v_add_nc_u32_e32 v10, 0x100, v10
	v_lshlrev_b64 v[13:14], 3, v[13:14]
	v_lshlrev_b64 v[17:18], 3, v[17:18]
	v_add_co_u32 v13, s0, s13, v13
	v_add_co_ci_u32_e64 v14, null, s14, v14, s0
	v_add_co_u32 v17, s0, s13, v17
	v_add_co_ci_u32_e64 v18, null, s14, v18, s0
	s_clause 0x1
	global_load_dwordx2 v[13:14], v[13:14], off
	global_load_dwordx2 v[17:18], v[17:18], off
	global_load_dword v19, v[1:2], off
	v_add_co_u32 v1, s0, 0x400, v1
	v_add_co_ci_u32_e64 v2, null, 0, v2, s0
	v_add_co_u32 v3, s0, 0x800, v3
	v_add_co_ci_u32_e64 v4, null, 0, v4, s0
	v_cmp_le_i32_e64 s0, s12, v10
	s_or_b32 s1, s0, s1
	s_waitcnt vmcnt(4)
	v_cvt_f16_f32_e32 v11, v11
	v_cvt_f16_f32_e32 v12, v12
	s_waitcnt vmcnt(3)
	v_cvt_f16_f32_e32 v15, v15
	v_cvt_f16_f32_e32 v16, v16
	v_pack_b32_f16 v11, v11, v12
	v_pack_b32_f16 v12, v15, v16
	s_waitcnt vmcnt(2)
	v_cvt_f16_f32_e32 v13, v13
	v_cvt_f16_f32_e32 v14, v14
	s_waitcnt vmcnt(1)
	v_cvt_f16_f32_e32 v17, v17
	v_cvt_f16_f32_e32 v18, v18
	s_waitcnt vmcnt(0)
	v_pk_fma_f16 v9, v19, v11, v9
	v_pk_fma_f16 v8, v19, v12, v8
	v_pack_b32_f16 v13, v13, v14
	v_pack_b32_f16 v14, v17, v18
	v_pk_fma_f16 v7, v19, v13, v7
	v_pk_fma_f16 v6, v19, v14, v6
	s_andn2_b32 exec_lo, exec_lo, s1
	s_cbranch_execnz .LBB143_10
; %bb.11:
	s_or_b32 exec_lo, exec_lo, s1
.LBB143_12:
	s_or_b32 exec_lo, exec_lo, s11
	v_mbcnt_lo_u32_b32 v2, -1, 0
	v_cvt_f32_f16_e32 v3, v9
	v_cvt_f32_f16_sdwa v4, v9 dst_sel:DWORD dst_unused:UNUSED_PAD src0_sel:WORD_1
	v_cvt_f32_f16_e32 v13, v8
	v_cvt_f32_f16_sdwa v14, v8 dst_sel:DWORD dst_unused:UNUSED_PAD src0_sel:WORD_1
	v_xor_b32_e32 v1, 16, v2
	v_add_f32_e32 v4, v3, v4
	v_xor_b32_e32 v3, 8, v2
	v_cmp_gt_i32_e64 s0, 32, v1
	v_cndmask_b32_e64 v1, v2, v1, s0
	v_cmp_gt_i32_e64 s0, 32, v3
	v_lshlrev_b32_e32 v1, 2, v1
	v_cndmask_b32_e64 v3, v2, v3, s0
	ds_bpermute_b32 v9, v1, v4
	v_lshlrev_b32_e32 v3, 2, v3
	s_waitcnt lgkmcnt(0)
	v_add_f32_e32 v9, v4, v9
	v_xor_b32_e32 v4, 4, v2
	ds_bpermute_b32 v10, v3, v9
	v_cmp_gt_i32_e64 s0, 32, v4
	v_cndmask_b32_e64 v4, v2, v4, s0
	v_lshlrev_b32_e32 v4, 2, v4
	s_waitcnt lgkmcnt(0)
	v_add_f32_e32 v10, v9, v10
	v_xor_b32_e32 v9, 2, v2
	ds_bpermute_b32 v11, v4, v10
	v_cmp_gt_i32_e64 s0, 32, v9
	v_cndmask_b32_e64 v9, v2, v9, s0
	;; [unrolled: 7-line block ×3, first 2 shown]
	v_lshlrev_b32_e32 v10, 2, v2
	s_waitcnt lgkmcnt(0)
	v_add_f32_e32 v2, v11, v12
	v_lshrrev_b32_e32 v12, 3, v0
	ds_bpermute_b32 v11, v10, v2
	v_and_b32_e32 v12, 0x7c, v12
	v_add_nc_u32_e32 v8, 0, v12
	v_add_f32_e32 v12, v13, v14
	s_waitcnt lgkmcnt(0)
	v_add_f32_e32 v2, v2, v11
	v_cvt_f32_f16_e32 v11, v7
	v_cvt_f32_f16_sdwa v7, v7 dst_sel:DWORD dst_unused:UNUSED_PAD src0_sel:WORD_1
	ds_write_b32 v8, v2
	s_waitcnt lgkmcnt(0)
	s_barrier
	buffer_gl0_inv
	s_and_saveexec_b32 s0, vcc_lo
	s_cbranch_execz .LBB143_14
; %bb.13:
	ds_read_b32 v2, v5
	s_waitcnt lgkmcnt(0)
	ds_bpermute_b32 v13, v1, v2
	s_waitcnt lgkmcnt(0)
	v_add_f32_e32 v2, v2, v13
	ds_bpermute_b32 v13, v3, v2
	s_waitcnt lgkmcnt(0)
	v_add_f32_e32 v2, v2, v13
	;; [unrolled: 3-line block ×5, first 2 shown]
.LBB143_14:
	s_or_b32 exec_lo, exec_lo, s0
	ds_bpermute_b32 v13, v1, v12
	v_add_f32_e32 v7, v11, v7
	s_waitcnt lgkmcnt(0)
	s_barrier
	buffer_gl0_inv
	v_add_f32_e32 v12, v12, v13
	ds_bpermute_b32 v13, v3, v12
	s_waitcnt lgkmcnt(0)
	v_add_f32_e32 v12, v12, v13
	ds_bpermute_b32 v13, v4, v12
	s_waitcnt lgkmcnt(0)
	;; [unrolled: 3-line block ×3, first 2 shown]
	v_add_f32_e32 v14, v12, v13
	v_cvt_f32_f16_e32 v12, v6
	v_cvt_f32_f16_sdwa v13, v6 dst_sel:DWORD dst_unused:UNUSED_PAD src0_sel:WORD_1
	ds_bpermute_b32 v15, v10, v14
	s_waitcnt lgkmcnt(0)
	v_add_f32_e32 v6, v14, v15
	ds_write_b32 v8, v6
	s_waitcnt lgkmcnt(0)
	s_barrier
	buffer_gl0_inv
	s_and_saveexec_b32 s0, vcc_lo
	s_cbranch_execz .LBB143_16
; %bb.15:
	ds_read_b32 v6, v5
	s_waitcnt lgkmcnt(0)
	ds_bpermute_b32 v11, v1, v6
	s_waitcnt lgkmcnt(0)
	v_add_f32_e32 v6, v6, v11
	ds_bpermute_b32 v11, v3, v6
	s_waitcnt lgkmcnt(0)
	v_add_f32_e32 v6, v6, v11
	;; [unrolled: 3-line block ×5, first 2 shown]
.LBB143_16:
	s_or_b32 exec_lo, exec_lo, s0
	ds_bpermute_b32 v11, v1, v7
	s_waitcnt lgkmcnt(0)
	s_barrier
	buffer_gl0_inv
	v_add_f32_e32 v7, v7, v11
	ds_bpermute_b32 v11, v3, v7
	s_waitcnt lgkmcnt(0)
	v_add_f32_e32 v7, v7, v11
	ds_bpermute_b32 v11, v4, v7
	s_waitcnt lgkmcnt(0)
	;; [unrolled: 3-line block ×4, first 2 shown]
	v_add_f32_e32 v7, v7, v11
	v_add_f32_e32 v11, v12, v13
	ds_write_b32 v8, v7
	s_waitcnt lgkmcnt(0)
	s_barrier
	buffer_gl0_inv
	s_and_saveexec_b32 s0, vcc_lo
	s_cbranch_execz .LBB143_18
; %bb.17:
	ds_read_b32 v7, v5
	s_waitcnt lgkmcnt(0)
	ds_bpermute_b32 v12, v1, v7
	s_waitcnt lgkmcnt(0)
	v_add_f32_e32 v7, v7, v12
	ds_bpermute_b32 v12, v3, v7
	s_waitcnt lgkmcnt(0)
	v_add_f32_e32 v7, v7, v12
	;; [unrolled: 3-line block ×5, first 2 shown]
.LBB143_18:
	s_or_b32 exec_lo, exec_lo, s0
	ds_bpermute_b32 v12, v1, v11
	s_waitcnt lgkmcnt(0)
	s_barrier
	buffer_gl0_inv
	v_add_f32_e32 v11, v11, v12
	ds_bpermute_b32 v12, v3, v11
	s_waitcnt lgkmcnt(0)
	v_add_f32_e32 v11, v11, v12
	ds_bpermute_b32 v12, v4, v11
	s_waitcnt lgkmcnt(0)
	;; [unrolled: 3-line block ×4, first 2 shown]
	v_add_f32_e32 v11, v11, v12
	ds_write_b32 v8, v11
	s_waitcnt lgkmcnt(0)
	s_barrier
	buffer_gl0_inv
	s_and_saveexec_b32 s0, vcc_lo
	s_cbranch_execz .LBB143_20
; %bb.19:
	ds_read_b32 v5, v5
	s_waitcnt lgkmcnt(0)
	ds_bpermute_b32 v1, v1, v5
	s_waitcnt lgkmcnt(0)
	v_add_f32_e32 v1, v5, v1
	ds_bpermute_b32 v3, v3, v1
	s_waitcnt lgkmcnt(0)
	v_add_f32_e32 v1, v1, v3
	;; [unrolled: 3-line block ×5, first 2 shown]
.LBB143_20:
	s_or_b32 exec_lo, exec_lo, s0
	s_barrier
	buffer_gl0_inv
	s_mov_b32 s0, exec_lo
	v_cmpx_gt_u32_e32 4, v0
	s_cbranch_execz .LBB143_22
; %bb.21:
	s_load_dwordx2 s[0:1], s[4:5], 0x38
	v_mad_u64_u32 v[3:4], null, s18, v0, s[6:7]
	v_cmp_eq_u32_e32 vcc_lo, 1, v0
	s_mul_hi_i32 s3, s22, s10
	s_mul_i32 s2, s22, s10
	s_mul_i32 s4, s26, s7
	s_lshl_b64 s[2:3], s[2:3], 2
	v_cndmask_b32_e32 v1, v2, v6, vcc_lo
	v_ashrrev_i32_e32 v4, 31, v3
	v_cmp_eq_u32_e32 vcc_lo, 2, v0
	s_ashr_i32 s5, s4, 31
	v_cndmask_b32_e32 v5, v1, v7, vcc_lo
	v_lshlrev_b64 v[1:2], 2, v[3:4]
	v_cmp_eq_u32_e32 vcc_lo, 3, v0
	s_waitcnt lgkmcnt(0)
	s_add_u32 s2, s0, s2
	s_addc_u32 s3, s1, s3
	s_lshl_b64 s[0:1], s[4:5], 2
	v_cndmask_b32_e32 v3, v5, v11, vcc_lo
	s_add_u32 s0, s2, s0
	s_addc_u32 s1, s3, s1
	v_add_co_u32 v0, vcc_lo, s0, v1
	v_add_co_ci_u32_e64 v1, null, s1, v2, vcc_lo
	global_store_dword v[0:1], v3, off
.LBB143_22:
	s_endpgm
	.section	.rodata,"a",@progbits
	.p2align	6, 0x0
	.amdhsa_kernel _ZL13mul_mat_vec_fI6__halfS0_Li4ELi256ELb0ELb0EEvPKT_PKfPKi31ggml_cuda_mm_fusion_args_devicePfi15HIP_vector_typeIjLj3EEiiiSB_iiiSB_iiii
		.amdhsa_group_segment_fixed_size 0
		.amdhsa_private_segment_fixed_size 0
		.amdhsa_kernarg_size 144
		.amdhsa_user_sgpr_count 6
		.amdhsa_user_sgpr_private_segment_buffer 1
		.amdhsa_user_sgpr_dispatch_ptr 0
		.amdhsa_user_sgpr_queue_ptr 0
		.amdhsa_user_sgpr_kernarg_segment_ptr 1
		.amdhsa_user_sgpr_dispatch_id 0
		.amdhsa_user_sgpr_flat_scratch_init 0
		.amdhsa_user_sgpr_private_segment_size 0
		.amdhsa_wavefront_size32 1
		.amdhsa_uses_dynamic_stack 0
		.amdhsa_system_sgpr_private_segment_wavefront_offset 0
		.amdhsa_system_sgpr_workgroup_id_x 1
		.amdhsa_system_sgpr_workgroup_id_y 1
		.amdhsa_system_sgpr_workgroup_id_z 1
		.amdhsa_system_sgpr_workgroup_info 0
		.amdhsa_system_vgpr_workitem_id 0
		.amdhsa_next_free_vgpr 20
		.amdhsa_next_free_sgpr 36
		.amdhsa_reserve_vcc 1
		.amdhsa_reserve_flat_scratch 0
		.amdhsa_float_round_mode_32 0
		.amdhsa_float_round_mode_16_64 0
		.amdhsa_float_denorm_mode_32 3
		.amdhsa_float_denorm_mode_16_64 3
		.amdhsa_dx10_clamp 1
		.amdhsa_ieee_mode 1
		.amdhsa_fp16_overflow 0
		.amdhsa_workgroup_processor_mode 1
		.amdhsa_memory_ordered 1
		.amdhsa_forward_progress 1
		.amdhsa_shared_vgpr_count 0
		.amdhsa_exception_fp_ieee_invalid_op 0
		.amdhsa_exception_fp_denorm_src 0
		.amdhsa_exception_fp_ieee_div_zero 0
		.amdhsa_exception_fp_ieee_overflow 0
		.amdhsa_exception_fp_ieee_underflow 0
		.amdhsa_exception_fp_ieee_inexact 0
		.amdhsa_exception_int_div_zero 0
	.end_amdhsa_kernel
	.section	.text._ZL13mul_mat_vec_fI6__halfS0_Li4ELi256ELb0ELb0EEvPKT_PKfPKi31ggml_cuda_mm_fusion_args_devicePfi15HIP_vector_typeIjLj3EEiiiSB_iiiSB_iiii,"axG",@progbits,_ZL13mul_mat_vec_fI6__halfS0_Li4ELi256ELb0ELb0EEvPKT_PKfPKi31ggml_cuda_mm_fusion_args_devicePfi15HIP_vector_typeIjLj3EEiiiSB_iiiSB_iiii,comdat
.Lfunc_end143:
	.size	_ZL13mul_mat_vec_fI6__halfS0_Li4ELi256ELb0ELb0EEvPKT_PKfPKi31ggml_cuda_mm_fusion_args_devicePfi15HIP_vector_typeIjLj3EEiiiSB_iiiSB_iiii, .Lfunc_end143-_ZL13mul_mat_vec_fI6__halfS0_Li4ELi256ELb0ELb0EEvPKT_PKfPKi31ggml_cuda_mm_fusion_args_devicePfi15HIP_vector_typeIjLj3EEiiiSB_iiiSB_iiii
                                        ; -- End function
	.set _ZL13mul_mat_vec_fI6__halfS0_Li4ELi256ELb0ELb0EEvPKT_PKfPKi31ggml_cuda_mm_fusion_args_devicePfi15HIP_vector_typeIjLj3EEiiiSB_iiiSB_iiii.num_vgpr, 20
	.set _ZL13mul_mat_vec_fI6__halfS0_Li4ELi256ELb0ELb0EEvPKT_PKfPKi31ggml_cuda_mm_fusion_args_devicePfi15HIP_vector_typeIjLj3EEiiiSB_iiiSB_iiii.num_agpr, 0
	.set _ZL13mul_mat_vec_fI6__halfS0_Li4ELi256ELb0ELb0EEvPKT_PKfPKi31ggml_cuda_mm_fusion_args_devicePfi15HIP_vector_typeIjLj3EEiiiSB_iiiSB_iiii.numbered_sgpr, 36
	.set _ZL13mul_mat_vec_fI6__halfS0_Li4ELi256ELb0ELb0EEvPKT_PKfPKi31ggml_cuda_mm_fusion_args_devicePfi15HIP_vector_typeIjLj3EEiiiSB_iiiSB_iiii.num_named_barrier, 0
	.set _ZL13mul_mat_vec_fI6__halfS0_Li4ELi256ELb0ELb0EEvPKT_PKfPKi31ggml_cuda_mm_fusion_args_devicePfi15HIP_vector_typeIjLj3EEiiiSB_iiiSB_iiii.private_seg_size, 0
	.set _ZL13mul_mat_vec_fI6__halfS0_Li4ELi256ELb0ELb0EEvPKT_PKfPKi31ggml_cuda_mm_fusion_args_devicePfi15HIP_vector_typeIjLj3EEiiiSB_iiiSB_iiii.uses_vcc, 1
	.set _ZL13mul_mat_vec_fI6__halfS0_Li4ELi256ELb0ELb0EEvPKT_PKfPKi31ggml_cuda_mm_fusion_args_devicePfi15HIP_vector_typeIjLj3EEiiiSB_iiiSB_iiii.uses_flat_scratch, 0
	.set _ZL13mul_mat_vec_fI6__halfS0_Li4ELi256ELb0ELb0EEvPKT_PKfPKi31ggml_cuda_mm_fusion_args_devicePfi15HIP_vector_typeIjLj3EEiiiSB_iiiSB_iiii.has_dyn_sized_stack, 0
	.set _ZL13mul_mat_vec_fI6__halfS0_Li4ELi256ELb0ELb0EEvPKT_PKfPKi31ggml_cuda_mm_fusion_args_devicePfi15HIP_vector_typeIjLj3EEiiiSB_iiiSB_iiii.has_recursion, 0
	.set _ZL13mul_mat_vec_fI6__halfS0_Li4ELi256ELb0ELb0EEvPKT_PKfPKi31ggml_cuda_mm_fusion_args_devicePfi15HIP_vector_typeIjLj3EEiiiSB_iiiSB_iiii.has_indirect_call, 0
	.section	.AMDGPU.csdata,"",@progbits
; Kernel info:
; codeLenInByte = 2040
; TotalNumSgprs: 38
; NumVgprs: 20
; ScratchSize: 0
; MemoryBound: 0
; FloatMode: 240
; IeeeMode: 1
; LDSByteSize: 0 bytes/workgroup (compile time only)
; SGPRBlocks: 0
; VGPRBlocks: 2
; NumSGPRsForWavesPerEU: 38
; NumVGPRsForWavesPerEU: 20
; Occupancy: 16
; WaveLimiterHint : 0
; COMPUTE_PGM_RSRC2:SCRATCH_EN: 0
; COMPUTE_PGM_RSRC2:USER_SGPR: 6
; COMPUTE_PGM_RSRC2:TRAP_HANDLER: 0
; COMPUTE_PGM_RSRC2:TGID_X_EN: 1
; COMPUTE_PGM_RSRC2:TGID_Y_EN: 1
; COMPUTE_PGM_RSRC2:TGID_Z_EN: 1
; COMPUTE_PGM_RSRC2:TIDIG_COMP_CNT: 0
	.section	.text._ZL13mul_mat_vec_fI6__halfS0_Li5ELi32ELb0ELb0EEvPKT_PKfPKi31ggml_cuda_mm_fusion_args_devicePfi15HIP_vector_typeIjLj3EEiiiSB_iiiSB_iiii,"axG",@progbits,_ZL13mul_mat_vec_fI6__halfS0_Li5ELi32ELb0ELb0EEvPKT_PKfPKi31ggml_cuda_mm_fusion_args_devicePfi15HIP_vector_typeIjLj3EEiiiSB_iiiSB_iiii,comdat
	.globl	_ZL13mul_mat_vec_fI6__halfS0_Li5ELi32ELb0ELb0EEvPKT_PKfPKi31ggml_cuda_mm_fusion_args_devicePfi15HIP_vector_typeIjLj3EEiiiSB_iiiSB_iiii ; -- Begin function _ZL13mul_mat_vec_fI6__halfS0_Li5ELi32ELb0ELb0EEvPKT_PKfPKi31ggml_cuda_mm_fusion_args_devicePfi15HIP_vector_typeIjLj3EEiiiSB_iiiSB_iiii
	.p2align	8
	.type	_ZL13mul_mat_vec_fI6__halfS0_Li5ELi32ELb0ELb0EEvPKT_PKfPKi31ggml_cuda_mm_fusion_args_devicePfi15HIP_vector_typeIjLj3EEiiiSB_iiiSB_iiii,@function
_ZL13mul_mat_vec_fI6__halfS0_Li5ELi32ELb0ELb0EEvPKT_PKfPKi31ggml_cuda_mm_fusion_args_devicePfi15HIP_vector_typeIjLj3EEiiiSB_iiiSB_iiii: ; @_ZL13mul_mat_vec_fI6__halfS0_Li5ELi32ELb0ELb0EEvPKT_PKfPKi31ggml_cuda_mm_fusion_args_devicePfi15HIP_vector_typeIjLj3EEiiiSB_iiiSB_iiii
; %bb.0:
	s_clause 0x2
	s_load_dwordx2 s[20:21], s[4:5], 0x10
	s_load_dwordx8 s[12:19], s[4:5], 0x40
	s_load_dwordx4 s[0:3], s[4:5], 0x80
	s_waitcnt lgkmcnt(0)
	s_cmp_eq_u64 s[20:21], 0
	s_cselect_b32 s9, -1, 0
	s_cmp_lg_u64 s[20:21], 0
	s_cselect_b32 s25, -1, 0
	s_and_b32 vcc_lo, exec_lo, s9
	s_cbranch_vccnz .LBB144_2
; %bb.1:
	s_mul_i32 s3, s3, s8
	s_mov_b32 s11, 0
	s_add_i32 s10, s3, s7
	s_lshl_b64 s[22:23], s[10:11], 2
	s_add_u32 s20, s20, s22
	s_addc_u32 s21, s21, s23
	s_load_dword s24, s[20:21], 0x0
	s_load_dwordx4 s[20:23], s[4:5], 0x68
	s_cbranch_execz .LBB144_3
	s_branch .LBB144_4
.LBB144_2:
                                        ; implicit-def: $sgpr24
	s_load_dwordx4 s[20:23], s[4:5], 0x68
.LBB144_3:
	s_load_dwordx2 s[10:11], s[4:5], 0x5c
	s_waitcnt lgkmcnt(0)
	s_mul_hi_u32 s3, s10, s7
	s_add_i32 s3, s7, s3
	s_lshr_b32 s24, s3, s11
.LBB144_4:
	s_load_dword s19, s[4:5], 0x78
	s_andn2_b32 vcc_lo, exec_lo, s25
	s_mov_b32 s25, s7
	s_cbranch_vccnz .LBB144_6
; %bb.5:
	s_mul_hi_u32 s3, s13, s7
	s_add_i32 s3, s7, s3
	s_lshr_b32 s3, s3, s14
	s_mul_i32 s3, s3, s15
	s_sub_i32 s25, s7, s3
.LBB144_6:
	v_mov_b32_e32 v9, 0
	v_mov_b32_e32 v8, 0
	v_mov_b32_e32 v7, 0
	v_mov_b32_e32 v6, 0
	v_mov_b32_e32 v5, 0
	s_and_b32 s3, exec_lo, s9
	s_cselect_b32 s3, s8, 0
	s_mov_b32 s13, exec_lo
	v_cmpx_gt_i32_e64 s12, v0
	s_cbranch_execz .LBB144_10
; %bb.7:
	s_load_dwordx4 s[8:11], s[4:5], 0x0
	s_waitcnt lgkmcnt(0)
	s_mul_hi_u32 s23, s23, s3
	s_mul_hi_i32 s15, s1, s3
	s_mul_i32 s14, s1, s3
	s_mul_i32 s20, s24, s20
	s_add_i32 s1, s3, s23
	s_lshl_b64 s[30:31], s[14:15], 2
	s_mul_i32 s24, s16, s6
	s_mul_i32 s26, s25, s21
	s_ashr_i32 s21, s20, 31
	s_lshr_b32 s16, s1, s19
	s_mov_b32 s28, s17
	s_mul_hi_i32 s1, s16, s0
	s_mul_i32 s0, s16, s0
	v_lshlrev_b32_e32 v2, 3, v0
	v_lshlrev_b32_e32 v1, 2, v0
	v_mov_b32_e32 v5, 0
	v_mov_b32_e32 v6, 0
	;; [unrolled: 1-line block ×4, first 2 shown]
	s_add_u32 s14, s10, s30
	s_addc_u32 s15, s11, s31
	s_ashr_i32 s27, s26, 31
	s_ashr_i32 s25, s24, 31
	s_lshl_b64 s[26:27], s[26:27], 2
	v_mov_b32_e32 v9, 0
	s_add_u32 s14, s14, s26
	s_addc_u32 s15, s15, s27
	s_lshl_b64 s[20:21], s[20:21], 1
	s_ashr_i32 s29, s17, 31
	s_add_i32 s16, s17, s17
	s_lshl_b32 s19, s17, 2
	s_lshl_b64 s[0:1], s[0:1], 1
	s_lshl_b64 s[24:25], s[24:25], 1
	s_add_u32 s8, s8, s20
	s_addc_u32 s9, s9, s21
	s_add_u32 s8, s8, s24
	s_addc_u32 s9, s9, s25
	s_add_u32 s8, s8, s0
	s_addc_u32 s9, s9, s1
	s_lshl_b64 s[0:1], s[28:29], 3
	s_add_u32 s10, s10, s26
	s_addc_u32 s11, s11, s27
	s_add_u32 s10, s10, s30
	s_addc_u32 s11, s11, s31
	v_add_co_u32 v3, s10, s10, v2
	v_add_co_ci_u32_e64 v4, null, s11, 0, s10
	v_add_co_u32 v1, s8, s8, v1
	v_add_co_u32 v3, vcc_lo, v3, 4
	v_add_co_ci_u32_e64 v2, null, s9, 0, s8
	v_add_co_ci_u32_e64 v4, null, 0, v4, vcc_lo
	v_mov_b32_e32 v10, v0
	s_mul_i32 s9, s17, 3
	s_mov_b32 s8, 0
.LBB144_8:                              ; =>This Inner Loop Header: Depth=1
	v_add_nc_u32_e32 v13, s16, v10
	v_add_nc_u32_e32 v17, s9, v10
	;; [unrolled: 1-line block ×3, first 2 shown]
	v_add_co_u32 v15, vcc_lo, v3, s0
	v_ashrrev_i32_e32 v14, 31, v13
	v_ashrrev_i32_e32 v18, 31, v17
	;; [unrolled: 1-line block ×3, first 2 shown]
	v_add_co_ci_u32_e64 v16, null, s1, v4, vcc_lo
	v_lshlrev_b64 v[13:14], 3, v[13:14]
	v_lshlrev_b64 v[17:18], 3, v[17:18]
	;; [unrolled: 1-line block ×3, first 2 shown]
	s_clause 0x1
	global_load_dwordx2 v[11:12], v[3:4], off offset:-4
	global_load_dwordx2 v[15:16], v[15:16], off offset:-4
	v_add_nc_u32_e32 v10, 32, v10
	v_add_co_u32 v13, vcc_lo, s14, v13
	v_add_co_ci_u32_e64 v14, null, s15, v14, vcc_lo
	v_add_co_u32 v17, vcc_lo, s14, v17
	v_add_co_ci_u32_e64 v18, null, s15, v18, vcc_lo
	;; [unrolled: 2-line block ×3, first 2 shown]
	s_clause 0x2
	global_load_dwordx2 v[13:14], v[13:14], off
	global_load_dwordx2 v[17:18], v[17:18], off
	global_load_dwordx2 v[19:20], v[19:20], off
	global_load_dword v21, v[1:2], off
	v_add_co_u32 v1, vcc_lo, 0x80, v1
	v_add_co_ci_u32_e64 v2, null, 0, v2, vcc_lo
	v_add_co_u32 v3, vcc_lo, 0x100, v3
	v_add_co_ci_u32_e64 v4, null, 0, v4, vcc_lo
	v_cmp_le_i32_e32 vcc_lo, s12, v10
	s_or_b32 s8, vcc_lo, s8
	s_waitcnt vmcnt(5)
	v_cvt_f16_f32_e32 v11, v11
	v_cvt_f16_f32_e32 v12, v12
	s_waitcnt vmcnt(4)
	v_cvt_f16_f32_e32 v15, v15
	v_cvt_f16_f32_e32 v16, v16
	v_pack_b32_f16 v11, v11, v12
	v_pack_b32_f16 v12, v15, v16
	s_waitcnt vmcnt(3)
	v_cvt_f16_f32_e32 v13, v13
	v_cvt_f16_f32_e32 v14, v14
	s_waitcnt vmcnt(2)
	v_cvt_f16_f32_e32 v17, v17
	v_cvt_f16_f32_e32 v18, v18
	;; [unrolled: 3-line block ×3, first 2 shown]
	v_pack_b32_f16 v13, v13, v14
	s_waitcnt vmcnt(0)
	v_pk_fma_f16 v9, v21, v11, v9
	v_pack_b32_f16 v14, v17, v18
	v_pk_fma_f16 v8, v21, v12, v8
	v_pack_b32_f16 v15, v19, v20
	v_pk_fma_f16 v7, v21, v13, v7
	v_pk_fma_f16 v6, v21, v14, v6
	;; [unrolled: 1-line block ×3, first 2 shown]
	s_andn2_b32 exec_lo, exec_lo, s8
	s_cbranch_execnz .LBB144_8
; %bb.9:
	s_or_b32 exec_lo, exec_lo, s8
.LBB144_10:
	s_or_b32 exec_lo, exec_lo, s13
	v_mbcnt_lo_u32_b32 v1, -1, 0
	v_cvt_f32_f16_e32 v2, v9
	v_cvt_f32_f16_sdwa v3, v9 dst_sel:DWORD dst_unused:UNUSED_PAD src0_sel:WORD_1
	v_cvt_f32_f16_e32 v4, v8
	v_cvt_f32_f16_sdwa v8, v8 dst_sel:DWORD dst_unused:UNUSED_PAD src0_sel:WORD_1
	v_xor_b32_e32 v9, 16, v1
	v_cvt_f32_f16_e32 v10, v7
	v_cvt_f32_f16_sdwa v7, v7 dst_sel:DWORD dst_unused:UNUSED_PAD src0_sel:WORD_1
	v_cvt_f32_f16_e32 v11, v6
	v_cvt_f32_f16_sdwa v6, v6 dst_sel:DWORD dst_unused:UNUSED_PAD src0_sel:WORD_1
	v_cmp_gt_i32_e32 vcc_lo, 32, v9
	v_cvt_f32_f16_e32 v12, v5
	v_cvt_f32_f16_sdwa v5, v5 dst_sel:DWORD dst_unused:UNUSED_PAD src0_sel:WORD_1
	v_add_f32_e32 v2, v2, v3
	v_add_f32_e32 v4, v4, v8
	v_cndmask_b32_e32 v9, v1, v9, vcc_lo
	v_add_f32_e32 v7, v10, v7
	v_add_f32_e32 v6, v11, v6
	;; [unrolled: 1-line block ×3, first 2 shown]
	v_xor_b32_e32 v12, 8, v1
	v_lshlrev_b32_e32 v3, 2, v9
	s_mov_b32 s0, exec_lo
	v_cmp_gt_i32_e32 vcc_lo, 32, v12
	ds_bpermute_b32 v8, v3, v2
	ds_bpermute_b32 v9, v3, v4
	;; [unrolled: 1-line block ×5, first 2 shown]
	v_cndmask_b32_e32 v12, v1, v12, vcc_lo
	v_lshlrev_b32_e32 v12, 2, v12
	s_waitcnt lgkmcnt(0)
	v_add_f32_e32 v2, v2, v8
	v_add_f32_e32 v4, v4, v9
	;; [unrolled: 1-line block ×5, first 2 shown]
	ds_bpermute_b32 v5, v12, v2
	ds_bpermute_b32 v8, v12, v4
	ds_bpermute_b32 v9, v12, v7
	ds_bpermute_b32 v10, v12, v6
	ds_bpermute_b32 v11, v12, v3
	v_xor_b32_e32 v12, 4, v1
	v_cmp_gt_i32_e32 vcc_lo, 32, v12
	v_cndmask_b32_e32 v12, v1, v12, vcc_lo
	v_lshlrev_b32_e32 v12, 2, v12
	s_waitcnt lgkmcnt(4)
	v_add_f32_e32 v2, v2, v5
	s_waitcnt lgkmcnt(3)
	v_add_f32_e32 v4, v4, v8
	s_waitcnt lgkmcnt(2)
	v_add_f32_e32 v5, v7, v9
	s_waitcnt lgkmcnt(1)
	v_add_f32_e32 v6, v6, v10
	s_waitcnt lgkmcnt(0)
	v_add_f32_e32 v3, v3, v11
	ds_bpermute_b32 v7, v12, v2
	ds_bpermute_b32 v8, v12, v4
	ds_bpermute_b32 v9, v12, v5
	ds_bpermute_b32 v10, v12, v6
	ds_bpermute_b32 v11, v12, v3
	v_xor_b32_e32 v12, 2, v1
	v_cmp_gt_i32_e32 vcc_lo, 32, v12
	v_cndmask_b32_e32 v12, v1, v12, vcc_lo
	v_lshlrev_b32_e32 v12, 2, v12
	s_waitcnt lgkmcnt(4)
	v_add_f32_e32 v2, v2, v7
	s_waitcnt lgkmcnt(3)
	v_add_f32_e32 v4, v4, v8
	s_waitcnt lgkmcnt(2)
	v_add_f32_e32 v5, v5, v9
	s_waitcnt lgkmcnt(1)
	v_add_f32_e32 v6, v6, v10
	s_waitcnt lgkmcnt(0)
	v_add_f32_e32 v3, v3, v11
	;; [unrolled: 19-line block ×3, first 2 shown]
	ds_bpermute_b32 v9, v12, v7
	ds_bpermute_b32 v10, v12, v8
	;; [unrolled: 1-line block ×5, first 2 shown]
	v_cmpx_gt_u32_e32 5, v0
	s_cbranch_execz .LBB144_12
; %bb.11:
	s_load_dwordx2 s[0:1], s[4:5], 0x38
	s_waitcnt lgkmcnt(0)
	v_add_f32_e32 v9, v7, v9
	v_add_f32_e32 v10, v8, v10
	v_cmp_eq_u32_e32 vcc_lo, 1, v0
	v_mad_u64_u32 v[7:8], null, s18, v0, s[6:7]
	v_add_f32_e32 v2, v2, v5
	s_mul_hi_i32 s5, s2, s3
	v_cndmask_b32_e32 v5, v9, v10, vcc_lo
	v_cmp_eq_u32_e32 vcc_lo, 2, v0
	s_mul_i32 s4, s2, s3
	v_add_f32_e32 v1, v1, v3
	v_ashrrev_i32_e32 v8, 31, v7
	s_lshl_b64 s[4:5], s[4:5], 2
	v_cndmask_b32_e32 v2, v5, v2, vcc_lo
	v_cmp_eq_u32_e32 vcc_lo, 3, v0
	s_mul_i32 s2, s22, s7
	v_add_f32_e32 v4, v4, v6
	v_cndmask_b32_e32 v3, v2, v1, vcc_lo
	s_add_u32 s4, s0, s4
	s_addc_u32 s5, s1, s5
	s_ashr_i32 s3, s2, 31
	v_lshlrev_b64 v[1:2], 2, v[7:8]
	v_cmp_eq_u32_e32 vcc_lo, 4, v0
	s_lshl_b64 s[0:1], s[2:3], 2
	s_add_u32 s0, s4, s0
	s_addc_u32 s1, s5, s1
	v_cndmask_b32_e32 v3, v3, v4, vcc_lo
	v_add_co_u32 v0, vcc_lo, s0, v1
	v_add_co_ci_u32_e64 v1, null, s1, v2, vcc_lo
	global_store_dword v[0:1], v3, off
.LBB144_12:
	s_endpgm
	.section	.rodata,"a",@progbits
	.p2align	6, 0x0
	.amdhsa_kernel _ZL13mul_mat_vec_fI6__halfS0_Li5ELi32ELb0ELb0EEvPKT_PKfPKi31ggml_cuda_mm_fusion_args_devicePfi15HIP_vector_typeIjLj3EEiiiSB_iiiSB_iiii
		.amdhsa_group_segment_fixed_size 0
		.amdhsa_private_segment_fixed_size 0
		.amdhsa_kernarg_size 144
		.amdhsa_user_sgpr_count 6
		.amdhsa_user_sgpr_private_segment_buffer 1
		.amdhsa_user_sgpr_dispatch_ptr 0
		.amdhsa_user_sgpr_queue_ptr 0
		.amdhsa_user_sgpr_kernarg_segment_ptr 1
		.amdhsa_user_sgpr_dispatch_id 0
		.amdhsa_user_sgpr_flat_scratch_init 0
		.amdhsa_user_sgpr_private_segment_size 0
		.amdhsa_wavefront_size32 1
		.amdhsa_uses_dynamic_stack 0
		.amdhsa_system_sgpr_private_segment_wavefront_offset 0
		.amdhsa_system_sgpr_workgroup_id_x 1
		.amdhsa_system_sgpr_workgroup_id_y 1
		.amdhsa_system_sgpr_workgroup_id_z 1
		.amdhsa_system_sgpr_workgroup_info 0
		.amdhsa_system_vgpr_workitem_id 0
		.amdhsa_next_free_vgpr 22
		.amdhsa_next_free_sgpr 32
		.amdhsa_reserve_vcc 1
		.amdhsa_reserve_flat_scratch 0
		.amdhsa_float_round_mode_32 0
		.amdhsa_float_round_mode_16_64 0
		.amdhsa_float_denorm_mode_32 3
		.amdhsa_float_denorm_mode_16_64 3
		.amdhsa_dx10_clamp 1
		.amdhsa_ieee_mode 1
		.amdhsa_fp16_overflow 0
		.amdhsa_workgroup_processor_mode 1
		.amdhsa_memory_ordered 1
		.amdhsa_forward_progress 1
		.amdhsa_shared_vgpr_count 0
		.amdhsa_exception_fp_ieee_invalid_op 0
		.amdhsa_exception_fp_denorm_src 0
		.amdhsa_exception_fp_ieee_div_zero 0
		.amdhsa_exception_fp_ieee_overflow 0
		.amdhsa_exception_fp_ieee_underflow 0
		.amdhsa_exception_fp_ieee_inexact 0
		.amdhsa_exception_int_div_zero 0
	.end_amdhsa_kernel
	.section	.text._ZL13mul_mat_vec_fI6__halfS0_Li5ELi32ELb0ELb0EEvPKT_PKfPKi31ggml_cuda_mm_fusion_args_devicePfi15HIP_vector_typeIjLj3EEiiiSB_iiiSB_iiii,"axG",@progbits,_ZL13mul_mat_vec_fI6__halfS0_Li5ELi32ELb0ELb0EEvPKT_PKfPKi31ggml_cuda_mm_fusion_args_devicePfi15HIP_vector_typeIjLj3EEiiiSB_iiiSB_iiii,comdat
.Lfunc_end144:
	.size	_ZL13mul_mat_vec_fI6__halfS0_Li5ELi32ELb0ELb0EEvPKT_PKfPKi31ggml_cuda_mm_fusion_args_devicePfi15HIP_vector_typeIjLj3EEiiiSB_iiiSB_iiii, .Lfunc_end144-_ZL13mul_mat_vec_fI6__halfS0_Li5ELi32ELb0ELb0EEvPKT_PKfPKi31ggml_cuda_mm_fusion_args_devicePfi15HIP_vector_typeIjLj3EEiiiSB_iiiSB_iiii
                                        ; -- End function
	.set _ZL13mul_mat_vec_fI6__halfS0_Li5ELi32ELb0ELb0EEvPKT_PKfPKi31ggml_cuda_mm_fusion_args_devicePfi15HIP_vector_typeIjLj3EEiiiSB_iiiSB_iiii.num_vgpr, 22
	.set _ZL13mul_mat_vec_fI6__halfS0_Li5ELi32ELb0ELb0EEvPKT_PKfPKi31ggml_cuda_mm_fusion_args_devicePfi15HIP_vector_typeIjLj3EEiiiSB_iiiSB_iiii.num_agpr, 0
	.set _ZL13mul_mat_vec_fI6__halfS0_Li5ELi32ELb0ELb0EEvPKT_PKfPKi31ggml_cuda_mm_fusion_args_devicePfi15HIP_vector_typeIjLj3EEiiiSB_iiiSB_iiii.numbered_sgpr, 32
	.set _ZL13mul_mat_vec_fI6__halfS0_Li5ELi32ELb0ELb0EEvPKT_PKfPKi31ggml_cuda_mm_fusion_args_devicePfi15HIP_vector_typeIjLj3EEiiiSB_iiiSB_iiii.num_named_barrier, 0
	.set _ZL13mul_mat_vec_fI6__halfS0_Li5ELi32ELb0ELb0EEvPKT_PKfPKi31ggml_cuda_mm_fusion_args_devicePfi15HIP_vector_typeIjLj3EEiiiSB_iiiSB_iiii.private_seg_size, 0
	.set _ZL13mul_mat_vec_fI6__halfS0_Li5ELi32ELb0ELb0EEvPKT_PKfPKi31ggml_cuda_mm_fusion_args_devicePfi15HIP_vector_typeIjLj3EEiiiSB_iiiSB_iiii.uses_vcc, 1
	.set _ZL13mul_mat_vec_fI6__halfS0_Li5ELi32ELb0ELb0EEvPKT_PKfPKi31ggml_cuda_mm_fusion_args_devicePfi15HIP_vector_typeIjLj3EEiiiSB_iiiSB_iiii.uses_flat_scratch, 0
	.set _ZL13mul_mat_vec_fI6__halfS0_Li5ELi32ELb0ELb0EEvPKT_PKfPKi31ggml_cuda_mm_fusion_args_devicePfi15HIP_vector_typeIjLj3EEiiiSB_iiiSB_iiii.has_dyn_sized_stack, 0
	.set _ZL13mul_mat_vec_fI6__halfS0_Li5ELi32ELb0ELb0EEvPKT_PKfPKi31ggml_cuda_mm_fusion_args_devicePfi15HIP_vector_typeIjLj3EEiiiSB_iiiSB_iiii.has_recursion, 0
	.set _ZL13mul_mat_vec_fI6__halfS0_Li5ELi32ELb0ELb0EEvPKT_PKfPKi31ggml_cuda_mm_fusion_args_devicePfi15HIP_vector_typeIjLj3EEiiiSB_iiiSB_iiii.has_indirect_call, 0
	.section	.AMDGPU.csdata,"",@progbits
; Kernel info:
; codeLenInByte = 1524
; TotalNumSgprs: 34
; NumVgprs: 22
; ScratchSize: 0
; MemoryBound: 0
; FloatMode: 240
; IeeeMode: 1
; LDSByteSize: 0 bytes/workgroup (compile time only)
; SGPRBlocks: 0
; VGPRBlocks: 2
; NumSGPRsForWavesPerEU: 34
; NumVGPRsForWavesPerEU: 22
; Occupancy: 16
; WaveLimiterHint : 0
; COMPUTE_PGM_RSRC2:SCRATCH_EN: 0
; COMPUTE_PGM_RSRC2:USER_SGPR: 6
; COMPUTE_PGM_RSRC2:TRAP_HANDLER: 0
; COMPUTE_PGM_RSRC2:TGID_X_EN: 1
; COMPUTE_PGM_RSRC2:TGID_Y_EN: 1
; COMPUTE_PGM_RSRC2:TGID_Z_EN: 1
; COMPUTE_PGM_RSRC2:TIDIG_COMP_CNT: 0
	.section	.text._ZL13mul_mat_vec_fI6__halfS0_Li5ELi64ELb0ELb0EEvPKT_PKfPKi31ggml_cuda_mm_fusion_args_devicePfi15HIP_vector_typeIjLj3EEiiiSB_iiiSB_iiii,"axG",@progbits,_ZL13mul_mat_vec_fI6__halfS0_Li5ELi64ELb0ELb0EEvPKT_PKfPKi31ggml_cuda_mm_fusion_args_devicePfi15HIP_vector_typeIjLj3EEiiiSB_iiiSB_iiii,comdat
	.globl	_ZL13mul_mat_vec_fI6__halfS0_Li5ELi64ELb0ELb0EEvPKT_PKfPKi31ggml_cuda_mm_fusion_args_devicePfi15HIP_vector_typeIjLj3EEiiiSB_iiiSB_iiii ; -- Begin function _ZL13mul_mat_vec_fI6__halfS0_Li5ELi64ELb0ELb0EEvPKT_PKfPKi31ggml_cuda_mm_fusion_args_devicePfi15HIP_vector_typeIjLj3EEiiiSB_iiiSB_iiii
	.p2align	8
	.type	_ZL13mul_mat_vec_fI6__halfS0_Li5ELi64ELb0ELb0EEvPKT_PKfPKi31ggml_cuda_mm_fusion_args_devicePfi15HIP_vector_typeIjLj3EEiiiSB_iiiSB_iiii,@function
_ZL13mul_mat_vec_fI6__halfS0_Li5ELi64ELb0ELb0EEvPKT_PKfPKi31ggml_cuda_mm_fusion_args_devicePfi15HIP_vector_typeIjLj3EEiiiSB_iiiSB_iiii: ; @_ZL13mul_mat_vec_fI6__halfS0_Li5ELi64ELb0ELb0EEvPKT_PKfPKi31ggml_cuda_mm_fusion_args_devicePfi15HIP_vector_typeIjLj3EEiiiSB_iiiSB_iiii
; %bb.0:
	s_clause 0x2
	s_load_dwordx2 s[0:1], s[4:5], 0x10
	s_load_dwordx8 s[12:19], s[4:5], 0x40
	s_load_dwordx4 s[20:23], s[4:5], 0x80
	s_waitcnt lgkmcnt(0)
	s_cmp_eq_u64 s[0:1], 0
	s_cselect_b32 s10, -1, 0
	s_cmp_lg_u64 s[0:1], 0
	s_cselect_b32 s11, -1, 0
	s_and_b32 vcc_lo, exec_lo, s10
	s_cbranch_vccnz .LBB145_2
; %bb.1:
	s_mul_i32 s2, s23, s8
	s_mov_b32 s3, 0
	s_add_i32 s2, s2, s7
	s_lshl_b64 s[24:25], s[2:3], 2
	s_add_u32 s0, s0, s24
	s_addc_u32 s1, s1, s25
	s_load_dword s9, s[0:1], 0x0
	s_cbranch_execz .LBB145_3
	s_branch .LBB145_4
.LBB145_2:
                                        ; implicit-def: $sgpr9
.LBB145_3:
	s_load_dwordx2 s[0:1], s[4:5], 0x5c
	s_waitcnt lgkmcnt(0)
	s_mul_hi_u32 s0, s0, s7
	s_add_i32 s0, s7, s0
	s_lshr_b32 s9, s0, s1
.LBB145_4:
	s_load_dwordx4 s[24:27], s[4:5], 0x68
	s_andn2_b32 vcc_lo, exec_lo, s11
	s_mov_b32 s19, s7
	s_cbranch_vccnz .LBB145_6
; %bb.5:
	s_mul_hi_u32 s0, s13, s7
	s_add_i32 s0, s7, s0
	s_lshr_b32 s0, s0, s14
	s_mul_i32 s0, s0, s15
	s_sub_i32 s19, s7, s0
.LBB145_6:
	s_load_dword s13, s[4:5], 0x78
	v_cmp_gt_u32_e32 vcc_lo, 32, v0
	v_lshl_add_u32 v5, v0, 2, 0
	s_and_saveexec_b32 s0, vcc_lo
; %bb.7:
	v_mov_b32_e32 v1, 0
	ds_write_b32 v5, v1
; %bb.8:
	s_or_b32 exec_lo, exec_lo, s0
	v_mov_b32_e32 v10, 0
	v_mov_b32_e32 v9, 0
	;; [unrolled: 1-line block ×5, first 2 shown]
	s_and_b32 s0, exec_lo, s10
	s_cselect_b32 s10, s8, 0
	s_mov_b32 s11, exec_lo
	s_waitcnt lgkmcnt(0)
	s_barrier
	buffer_gl0_inv
	v_cmpx_gt_i32_e64 s12, v0
	s_cbranch_execz .LBB145_12
; %bb.9:
	s_load_dwordx4 s[0:3], s[4:5], 0x0
	s_mul_hi_u32 s23, s27, s10
	s_mul_hi_i32 s15, s21, s10
	s_mul_i32 s14, s21, s10
	s_mul_i32 s8, s9, s24
	;; [unrolled: 1-line block ×4, first 2 shown]
	s_add_i32 s16, s10, s23
	s_lshl_b64 s[34:35], s[14:15], 2
	s_ashr_i32 s9, s8, 31
	s_ashr_i32 s25, s24, 31
	;; [unrolled: 1-line block ×3, first 2 shown]
	s_lshr_b32 s13, s16, s13
	s_mov_b32 s30, s17
	s_mul_hi_i32 s21, s13, s20
	s_mul_i32 s20, s13, s20
	v_lshlrev_b32_e32 v2, 3, v0
	v_lshlrev_b32_e32 v1, 2, v0
	v_mov_b32_e32 v6, 0
	v_mov_b32_e32 v7, 0
	s_waitcnt lgkmcnt(0)
	s_add_u32 s14, s2, s34
	s_addc_u32 s15, s3, s35
	s_lshl_b64 s[28:29], s[28:29], 2
	v_mov_b32_e32 v8, 0
	s_add_u32 s13, s14, s28
	s_addc_u32 s14, s15, s29
	s_lshl_b64 s[8:9], s[8:9], 1
	s_ashr_i32 s31, s17, 31
	s_add_i32 s15, s17, s17
	s_lshl_b32 s16, s17, 2
	s_lshl_b64 s[20:21], s[20:21], 1
	s_lshl_b64 s[24:25], s[24:25], 1
	s_add_u32 s0, s0, s8
	s_addc_u32 s1, s1, s9
	s_add_u32 s0, s0, s24
	s_addc_u32 s1, s1, s25
	;; [unrolled: 2-line block ×3, first 2 shown]
	s_lshl_b64 s[8:9], s[30:31], 3
	s_add_u32 s2, s2, s28
	s_addc_u32 s3, s3, s29
	s_add_u32 s2, s2, s34
	s_addc_u32 s3, s3, s35
	v_add_co_u32 v3, s2, s2, v2
	v_add_co_ci_u32_e64 v4, null, s3, 0, s2
	v_add_co_u32 v1, s0, s0, v1
	v_add_co_ci_u32_e64 v2, null, s1, 0, s0
	;; [unrolled: 2-line block ×3, first 2 shown]
	v_mov_b32_e32 v9, 0
	v_mov_b32_e32 v10, 0
	;; [unrolled: 1-line block ×3, first 2 shown]
	s_mul_i32 s2, s17, 3
	s_mov_b32 s1, 0
.LBB145_10:                             ; =>This Inner Loop Header: Depth=1
	v_add_nc_u32_e32 v14, s15, v11
	v_add_nc_u32_e32 v18, s2, v11
	;; [unrolled: 1-line block ×3, first 2 shown]
	v_add_co_u32 v16, s0, v3, s8
	v_ashrrev_i32_e32 v15, 31, v14
	v_ashrrev_i32_e32 v19, 31, v18
	;; [unrolled: 1-line block ×3, first 2 shown]
	v_add_co_ci_u32_e64 v17, null, s9, v4, s0
	v_lshlrev_b64 v[14:15], 3, v[14:15]
	v_lshlrev_b64 v[18:19], 3, v[18:19]
	;; [unrolled: 1-line block ×3, first 2 shown]
	s_clause 0x1
	global_load_dwordx2 v[12:13], v[3:4], off offset:-4
	global_load_dwordx2 v[16:17], v[16:17], off offset:-4
	v_add_nc_u32_e32 v11, 64, v11
	v_add_co_u32 v14, s0, s13, v14
	v_add_co_ci_u32_e64 v15, null, s14, v15, s0
	v_add_co_u32 v18, s0, s13, v18
	v_add_co_ci_u32_e64 v19, null, s14, v19, s0
	;; [unrolled: 2-line block ×3, first 2 shown]
	s_clause 0x2
	global_load_dwordx2 v[14:15], v[14:15], off
	global_load_dwordx2 v[18:19], v[18:19], off
	;; [unrolled: 1-line block ×3, first 2 shown]
	global_load_dword v22, v[1:2], off
	v_add_co_u32 v1, s0, 0x100, v1
	v_add_co_ci_u32_e64 v2, null, 0, v2, s0
	v_add_co_u32 v3, s0, 0x200, v3
	v_add_co_ci_u32_e64 v4, null, 0, v4, s0
	v_cmp_le_i32_e64 s0, s12, v11
	s_or_b32 s1, s0, s1
	s_waitcnt vmcnt(5)
	v_cvt_f16_f32_e32 v12, v12
	v_cvt_f16_f32_e32 v13, v13
	s_waitcnt vmcnt(4)
	v_cvt_f16_f32_e32 v16, v16
	v_cvt_f16_f32_e32 v17, v17
	v_pack_b32_f16 v12, v12, v13
	v_pack_b32_f16 v13, v16, v17
	s_waitcnt vmcnt(3)
	v_cvt_f16_f32_e32 v14, v14
	v_cvt_f16_f32_e32 v15, v15
	s_waitcnt vmcnt(2)
	v_cvt_f16_f32_e32 v18, v18
	v_cvt_f16_f32_e32 v19, v19
	;; [unrolled: 3-line block ×3, first 2 shown]
	v_pack_b32_f16 v14, v14, v15
	s_waitcnt vmcnt(0)
	v_pk_fma_f16 v10, v22, v12, v10
	v_pack_b32_f16 v15, v18, v19
	v_pk_fma_f16 v9, v22, v13, v9
	v_pack_b32_f16 v16, v20, v21
	v_pk_fma_f16 v8, v22, v14, v8
	v_pk_fma_f16 v7, v22, v15, v7
	;; [unrolled: 1-line block ×3, first 2 shown]
	s_andn2_b32 exec_lo, exec_lo, s1
	s_cbranch_execnz .LBB145_10
; %bb.11:
	s_or_b32 exec_lo, exec_lo, s1
.LBB145_12:
	s_or_b32 exec_lo, exec_lo, s11
	v_mbcnt_lo_u32_b32 v2, -1, 0
	v_cvt_f32_f16_e32 v3, v10
	v_cvt_f32_f16_sdwa v4, v10 dst_sel:DWORD dst_unused:UNUSED_PAD src0_sel:WORD_1
	v_cvt_f32_f16_e32 v15, v9
	v_cvt_f32_f16_sdwa v16, v9 dst_sel:DWORD dst_unused:UNUSED_PAD src0_sel:WORD_1
	v_xor_b32_e32 v1, 16, v2
	v_cvt_f32_f16_sdwa v14, v8 dst_sel:DWORD dst_unused:UNUSED_PAD src0_sel:WORD_1
	v_add_f32_e32 v4, v3, v4
	v_xor_b32_e32 v3, 8, v2
	v_cmp_gt_i32_e64 s0, 32, v1
	v_cndmask_b32_e64 v1, v2, v1, s0
	v_cmp_gt_i32_e64 s0, 32, v3
	v_lshlrev_b32_e32 v1, 2, v1
	v_cndmask_b32_e64 v3, v2, v3, s0
	ds_bpermute_b32 v10, v1, v4
	v_lshlrev_b32_e32 v3, 2, v3
	s_waitcnt lgkmcnt(0)
	v_add_f32_e32 v10, v4, v10
	v_xor_b32_e32 v4, 4, v2
	ds_bpermute_b32 v11, v3, v10
	v_cmp_gt_i32_e64 s0, 32, v4
	v_cndmask_b32_e64 v4, v2, v4, s0
	v_lshlrev_b32_e32 v4, 2, v4
	s_waitcnt lgkmcnt(0)
	v_add_f32_e32 v11, v10, v11
	v_xor_b32_e32 v10, 2, v2
	ds_bpermute_b32 v12, v4, v11
	v_cmp_gt_i32_e64 s0, 32, v10
	v_cndmask_b32_e64 v10, v2, v10, s0
	;; [unrolled: 7-line block ×3, first 2 shown]
	v_lshlrev_b32_e32 v11, 2, v2
	s_waitcnt lgkmcnt(0)
	v_add_f32_e32 v2, v12, v13
	v_lshrrev_b32_e32 v13, 3, v0
	ds_bpermute_b32 v12, v11, v2
	v_and_b32_e32 v13, 0x7c, v13
	v_add_nc_u32_e32 v9, 0, v13
	s_waitcnt lgkmcnt(0)
	v_add_f32_e32 v2, v2, v12
	v_cvt_f32_f16_e32 v12, v8
	v_add_f32_e32 v8, v15, v16
	ds_write_b32 v9, v2
	s_waitcnt lgkmcnt(0)
	s_barrier
	buffer_gl0_inv
	s_and_saveexec_b32 s0, vcc_lo
	s_cbranch_execz .LBB145_14
; %bb.13:
	ds_read_b32 v2, v5
	s_waitcnt lgkmcnt(0)
	ds_bpermute_b32 v13, v1, v2
	s_waitcnt lgkmcnt(0)
	v_add_f32_e32 v2, v2, v13
	ds_bpermute_b32 v13, v3, v2
	s_waitcnt lgkmcnt(0)
	v_add_f32_e32 v2, v2, v13
	;; [unrolled: 3-line block ×5, first 2 shown]
.LBB145_14:
	s_or_b32 exec_lo, exec_lo, s0
	ds_bpermute_b32 v13, v1, v8
	v_add_f32_e32 v12, v12, v14
	s_waitcnt lgkmcnt(0)
	s_barrier
	buffer_gl0_inv
	v_add_f32_e32 v8, v8, v13
	ds_bpermute_b32 v13, v3, v8
	s_waitcnt lgkmcnt(0)
	v_add_f32_e32 v8, v8, v13
	ds_bpermute_b32 v13, v4, v8
	s_waitcnt lgkmcnt(0)
	;; [unrolled: 3-line block ×3, first 2 shown]
	v_add_f32_e32 v15, v8, v13
	v_cvt_f32_f16_e32 v8, v7
	v_cvt_f32_f16_sdwa v13, v7 dst_sel:DWORD dst_unused:UNUSED_PAD src0_sel:WORD_1
	ds_bpermute_b32 v16, v11, v15
	s_waitcnt lgkmcnt(0)
	v_add_f32_e32 v7, v15, v16
	ds_write_b32 v9, v7
	s_waitcnt lgkmcnt(0)
	s_barrier
	buffer_gl0_inv
	s_and_saveexec_b32 s0, vcc_lo
	s_cbranch_execz .LBB145_16
; %bb.15:
	ds_read_b32 v7, v5
	s_waitcnt lgkmcnt(0)
	ds_bpermute_b32 v14, v1, v7
	s_waitcnt lgkmcnt(0)
	v_add_f32_e32 v7, v7, v14
	ds_bpermute_b32 v14, v3, v7
	s_waitcnt lgkmcnt(0)
	v_add_f32_e32 v7, v7, v14
	;; [unrolled: 3-line block ×5, first 2 shown]
.LBB145_16:
	s_or_b32 exec_lo, exec_lo, s0
	ds_bpermute_b32 v14, v1, v12
	v_add_f32_e32 v8, v8, v13
	s_waitcnt lgkmcnt(0)
	s_barrier
	buffer_gl0_inv
	v_add_f32_e32 v12, v12, v14
	ds_bpermute_b32 v14, v3, v12
	s_waitcnt lgkmcnt(0)
	v_add_f32_e32 v12, v12, v14
	ds_bpermute_b32 v14, v4, v12
	s_waitcnt lgkmcnt(0)
	;; [unrolled: 3-line block ×3, first 2 shown]
	v_add_f32_e32 v15, v12, v14
	v_cvt_f32_f16_e32 v12, v6
	v_cvt_f32_f16_sdwa v14, v6 dst_sel:DWORD dst_unused:UNUSED_PAD src0_sel:WORD_1
	ds_bpermute_b32 v16, v11, v15
	s_waitcnt lgkmcnt(0)
	v_add_f32_e32 v6, v15, v16
	ds_write_b32 v9, v6
	s_waitcnt lgkmcnt(0)
	s_barrier
	buffer_gl0_inv
	s_and_saveexec_b32 s0, vcc_lo
	s_cbranch_execz .LBB145_18
; %bb.17:
	ds_read_b32 v6, v5
	s_waitcnt lgkmcnt(0)
	ds_bpermute_b32 v13, v1, v6
	s_waitcnt lgkmcnt(0)
	v_add_f32_e32 v6, v6, v13
	ds_bpermute_b32 v13, v3, v6
	s_waitcnt lgkmcnt(0)
	v_add_f32_e32 v6, v6, v13
	;; [unrolled: 3-line block ×5, first 2 shown]
.LBB145_18:
	s_or_b32 exec_lo, exec_lo, s0
	ds_bpermute_b32 v13, v1, v8
	v_add_f32_e32 v12, v12, v14
	s_waitcnt lgkmcnt(0)
	s_barrier
	buffer_gl0_inv
	v_add_f32_e32 v8, v8, v13
	ds_bpermute_b32 v13, v3, v8
	s_waitcnt lgkmcnt(0)
	v_add_f32_e32 v8, v8, v13
	ds_bpermute_b32 v13, v4, v8
	s_waitcnt lgkmcnt(0)
	;; [unrolled: 3-line block ×4, first 2 shown]
	v_add_f32_e32 v8, v8, v13
	ds_write_b32 v9, v8
	s_waitcnt lgkmcnt(0)
	s_barrier
	buffer_gl0_inv
	s_and_saveexec_b32 s0, vcc_lo
	s_cbranch_execz .LBB145_20
; %bb.19:
	ds_read_b32 v8, v5
	s_waitcnt lgkmcnt(0)
	ds_bpermute_b32 v13, v1, v8
	s_waitcnt lgkmcnt(0)
	v_add_f32_e32 v8, v8, v13
	ds_bpermute_b32 v13, v3, v8
	s_waitcnt lgkmcnt(0)
	v_add_f32_e32 v8, v8, v13
	;; [unrolled: 3-line block ×5, first 2 shown]
.LBB145_20:
	s_or_b32 exec_lo, exec_lo, s0
	ds_bpermute_b32 v13, v1, v12
	s_waitcnt lgkmcnt(0)
	s_barrier
	buffer_gl0_inv
	v_add_f32_e32 v12, v12, v13
	ds_bpermute_b32 v13, v3, v12
	s_waitcnt lgkmcnt(0)
	v_add_f32_e32 v12, v12, v13
	ds_bpermute_b32 v13, v4, v12
	s_waitcnt lgkmcnt(0)
	;; [unrolled: 3-line block ×4, first 2 shown]
	v_add_f32_e32 v12, v12, v13
	ds_write_b32 v9, v12
	s_waitcnt lgkmcnt(0)
	s_barrier
	buffer_gl0_inv
	s_and_saveexec_b32 s0, vcc_lo
	s_cbranch_execz .LBB145_22
; %bb.21:
	ds_read_b32 v5, v5
	s_waitcnt lgkmcnt(0)
	ds_bpermute_b32 v1, v1, v5
	s_waitcnt lgkmcnt(0)
	v_add_f32_e32 v1, v5, v1
	ds_bpermute_b32 v3, v3, v1
	s_waitcnt lgkmcnt(0)
	v_add_f32_e32 v1, v1, v3
	;; [unrolled: 3-line block ×5, first 2 shown]
.LBB145_22:
	s_or_b32 exec_lo, exec_lo, s0
	s_barrier
	buffer_gl0_inv
	s_mov_b32 s0, exec_lo
	v_cmpx_gt_u32_e32 5, v0
	s_cbranch_execz .LBB145_24
; %bb.23:
	s_load_dwordx2 s[0:1], s[4:5], 0x38
	v_cmp_eq_u32_e32 vcc_lo, 1, v0
	v_mad_u64_u32 v[3:4], null, s18, v0, s[6:7]
	s_mul_hi_i32 s3, s22, s10
	s_mul_i32 s2, s22, s10
	v_cndmask_b32_e32 v1, v2, v7, vcc_lo
	v_cmp_eq_u32_e32 vcc_lo, 2, v0
	s_mul_i32 s4, s26, s7
	s_lshl_b64 s[2:3], s[2:3], 2
	v_ashrrev_i32_e32 v4, 31, v3
	s_ashr_i32 s5, s4, 31
	v_cndmask_b32_e32 v1, v1, v6, vcc_lo
	v_cmp_eq_u32_e32 vcc_lo, 3, v0
	v_cndmask_b32_e32 v5, v1, v8, vcc_lo
	v_lshlrev_b64 v[1:2], 2, v[3:4]
	s_waitcnt lgkmcnt(0)
	s_add_u32 s2, s0, s2
	v_cmp_eq_u32_e32 vcc_lo, 4, v0
	s_addc_u32 s3, s1, s3
	s_lshl_b64 s[0:1], s[4:5], 2
	s_add_u32 s0, s2, s0
	v_cndmask_b32_e32 v3, v5, v12, vcc_lo
	s_addc_u32 s1, s3, s1
	v_add_co_u32 v0, vcc_lo, s0, v1
	v_add_co_ci_u32_e64 v1, null, s1, v2, vcc_lo
	global_store_dword v[0:1], v3, off
.LBB145_24:
	s_endpgm
	.section	.rodata,"a",@progbits
	.p2align	6, 0x0
	.amdhsa_kernel _ZL13mul_mat_vec_fI6__halfS0_Li5ELi64ELb0ELb0EEvPKT_PKfPKi31ggml_cuda_mm_fusion_args_devicePfi15HIP_vector_typeIjLj3EEiiiSB_iiiSB_iiii
		.amdhsa_group_segment_fixed_size 0
		.amdhsa_private_segment_fixed_size 0
		.amdhsa_kernarg_size 144
		.amdhsa_user_sgpr_count 6
		.amdhsa_user_sgpr_private_segment_buffer 1
		.amdhsa_user_sgpr_dispatch_ptr 0
		.amdhsa_user_sgpr_queue_ptr 0
		.amdhsa_user_sgpr_kernarg_segment_ptr 1
		.amdhsa_user_sgpr_dispatch_id 0
		.amdhsa_user_sgpr_flat_scratch_init 0
		.amdhsa_user_sgpr_private_segment_size 0
		.amdhsa_wavefront_size32 1
		.amdhsa_uses_dynamic_stack 0
		.amdhsa_system_sgpr_private_segment_wavefront_offset 0
		.amdhsa_system_sgpr_workgroup_id_x 1
		.amdhsa_system_sgpr_workgroup_id_y 1
		.amdhsa_system_sgpr_workgroup_id_z 1
		.amdhsa_system_sgpr_workgroup_info 0
		.amdhsa_system_vgpr_workitem_id 0
		.amdhsa_next_free_vgpr 23
		.amdhsa_next_free_sgpr 36
		.amdhsa_reserve_vcc 1
		.amdhsa_reserve_flat_scratch 0
		.amdhsa_float_round_mode_32 0
		.amdhsa_float_round_mode_16_64 0
		.amdhsa_float_denorm_mode_32 3
		.amdhsa_float_denorm_mode_16_64 3
		.amdhsa_dx10_clamp 1
		.amdhsa_ieee_mode 1
		.amdhsa_fp16_overflow 0
		.amdhsa_workgroup_processor_mode 1
		.amdhsa_memory_ordered 1
		.amdhsa_forward_progress 1
		.amdhsa_shared_vgpr_count 0
		.amdhsa_exception_fp_ieee_invalid_op 0
		.amdhsa_exception_fp_denorm_src 0
		.amdhsa_exception_fp_ieee_div_zero 0
		.amdhsa_exception_fp_ieee_overflow 0
		.amdhsa_exception_fp_ieee_underflow 0
		.amdhsa_exception_fp_ieee_inexact 0
		.amdhsa_exception_int_div_zero 0
	.end_amdhsa_kernel
	.section	.text._ZL13mul_mat_vec_fI6__halfS0_Li5ELi64ELb0ELb0EEvPKT_PKfPKi31ggml_cuda_mm_fusion_args_devicePfi15HIP_vector_typeIjLj3EEiiiSB_iiiSB_iiii,"axG",@progbits,_ZL13mul_mat_vec_fI6__halfS0_Li5ELi64ELb0ELb0EEvPKT_PKfPKi31ggml_cuda_mm_fusion_args_devicePfi15HIP_vector_typeIjLj3EEiiiSB_iiiSB_iiii,comdat
.Lfunc_end145:
	.size	_ZL13mul_mat_vec_fI6__halfS0_Li5ELi64ELb0ELb0EEvPKT_PKfPKi31ggml_cuda_mm_fusion_args_devicePfi15HIP_vector_typeIjLj3EEiiiSB_iiiSB_iiii, .Lfunc_end145-_ZL13mul_mat_vec_fI6__halfS0_Li5ELi64ELb0ELb0EEvPKT_PKfPKi31ggml_cuda_mm_fusion_args_devicePfi15HIP_vector_typeIjLj3EEiiiSB_iiiSB_iiii
                                        ; -- End function
	.set _ZL13mul_mat_vec_fI6__halfS0_Li5ELi64ELb0ELb0EEvPKT_PKfPKi31ggml_cuda_mm_fusion_args_devicePfi15HIP_vector_typeIjLj3EEiiiSB_iiiSB_iiii.num_vgpr, 23
	.set _ZL13mul_mat_vec_fI6__halfS0_Li5ELi64ELb0ELb0EEvPKT_PKfPKi31ggml_cuda_mm_fusion_args_devicePfi15HIP_vector_typeIjLj3EEiiiSB_iiiSB_iiii.num_agpr, 0
	.set _ZL13mul_mat_vec_fI6__halfS0_Li5ELi64ELb0ELb0EEvPKT_PKfPKi31ggml_cuda_mm_fusion_args_devicePfi15HIP_vector_typeIjLj3EEiiiSB_iiiSB_iiii.numbered_sgpr, 36
	.set _ZL13mul_mat_vec_fI6__halfS0_Li5ELi64ELb0ELb0EEvPKT_PKfPKi31ggml_cuda_mm_fusion_args_devicePfi15HIP_vector_typeIjLj3EEiiiSB_iiiSB_iiii.num_named_barrier, 0
	.set _ZL13mul_mat_vec_fI6__halfS0_Li5ELi64ELb0ELb0EEvPKT_PKfPKi31ggml_cuda_mm_fusion_args_devicePfi15HIP_vector_typeIjLj3EEiiiSB_iiiSB_iiii.private_seg_size, 0
	.set _ZL13mul_mat_vec_fI6__halfS0_Li5ELi64ELb0ELb0EEvPKT_PKfPKi31ggml_cuda_mm_fusion_args_devicePfi15HIP_vector_typeIjLj3EEiiiSB_iiiSB_iiii.uses_vcc, 1
	.set _ZL13mul_mat_vec_fI6__halfS0_Li5ELi64ELb0ELb0EEvPKT_PKfPKi31ggml_cuda_mm_fusion_args_devicePfi15HIP_vector_typeIjLj3EEiiiSB_iiiSB_iiii.uses_flat_scratch, 0
	.set _ZL13mul_mat_vec_fI6__halfS0_Li5ELi64ELb0ELb0EEvPKT_PKfPKi31ggml_cuda_mm_fusion_args_devicePfi15HIP_vector_typeIjLj3EEiiiSB_iiiSB_iiii.has_dyn_sized_stack, 0
	.set _ZL13mul_mat_vec_fI6__halfS0_Li5ELi64ELb0ELb0EEvPKT_PKfPKi31ggml_cuda_mm_fusion_args_devicePfi15HIP_vector_typeIjLj3EEiiiSB_iiiSB_iiii.has_recursion, 0
	.set _ZL13mul_mat_vec_fI6__halfS0_Li5ELi64ELb0ELb0EEvPKT_PKfPKi31ggml_cuda_mm_fusion_args_devicePfi15HIP_vector_typeIjLj3EEiiiSB_iiiSB_iiii.has_indirect_call, 0
	.section	.AMDGPU.csdata,"",@progbits
; Kernel info:
; codeLenInByte = 2360
; TotalNumSgprs: 38
; NumVgprs: 23
; ScratchSize: 0
; MemoryBound: 0
; FloatMode: 240
; IeeeMode: 1
; LDSByteSize: 0 bytes/workgroup (compile time only)
; SGPRBlocks: 0
; VGPRBlocks: 2
; NumSGPRsForWavesPerEU: 38
; NumVGPRsForWavesPerEU: 23
; Occupancy: 16
; WaveLimiterHint : 0
; COMPUTE_PGM_RSRC2:SCRATCH_EN: 0
; COMPUTE_PGM_RSRC2:USER_SGPR: 6
; COMPUTE_PGM_RSRC2:TRAP_HANDLER: 0
; COMPUTE_PGM_RSRC2:TGID_X_EN: 1
; COMPUTE_PGM_RSRC2:TGID_Y_EN: 1
; COMPUTE_PGM_RSRC2:TGID_Z_EN: 1
; COMPUTE_PGM_RSRC2:TIDIG_COMP_CNT: 0
	.section	.text._ZL13mul_mat_vec_fI6__halfS0_Li5ELi96ELb0ELb0EEvPKT_PKfPKi31ggml_cuda_mm_fusion_args_devicePfi15HIP_vector_typeIjLj3EEiiiSB_iiiSB_iiii,"axG",@progbits,_ZL13mul_mat_vec_fI6__halfS0_Li5ELi96ELb0ELb0EEvPKT_PKfPKi31ggml_cuda_mm_fusion_args_devicePfi15HIP_vector_typeIjLj3EEiiiSB_iiiSB_iiii,comdat
	.globl	_ZL13mul_mat_vec_fI6__halfS0_Li5ELi96ELb0ELb0EEvPKT_PKfPKi31ggml_cuda_mm_fusion_args_devicePfi15HIP_vector_typeIjLj3EEiiiSB_iiiSB_iiii ; -- Begin function _ZL13mul_mat_vec_fI6__halfS0_Li5ELi96ELb0ELb0EEvPKT_PKfPKi31ggml_cuda_mm_fusion_args_devicePfi15HIP_vector_typeIjLj3EEiiiSB_iiiSB_iiii
	.p2align	8
	.type	_ZL13mul_mat_vec_fI6__halfS0_Li5ELi96ELb0ELb0EEvPKT_PKfPKi31ggml_cuda_mm_fusion_args_devicePfi15HIP_vector_typeIjLj3EEiiiSB_iiiSB_iiii,@function
_ZL13mul_mat_vec_fI6__halfS0_Li5ELi96ELb0ELb0EEvPKT_PKfPKi31ggml_cuda_mm_fusion_args_devicePfi15HIP_vector_typeIjLj3EEiiiSB_iiiSB_iiii: ; @_ZL13mul_mat_vec_fI6__halfS0_Li5ELi96ELb0ELb0EEvPKT_PKfPKi31ggml_cuda_mm_fusion_args_devicePfi15HIP_vector_typeIjLj3EEiiiSB_iiiSB_iiii
; %bb.0:
	s_clause 0x2
	s_load_dwordx2 s[0:1], s[4:5], 0x10
	s_load_dwordx8 s[12:19], s[4:5], 0x40
	s_load_dwordx4 s[20:23], s[4:5], 0x80
	s_waitcnt lgkmcnt(0)
	s_cmp_eq_u64 s[0:1], 0
	s_cselect_b32 s10, -1, 0
	s_cmp_lg_u64 s[0:1], 0
	s_cselect_b32 s11, -1, 0
	s_and_b32 vcc_lo, exec_lo, s10
	s_cbranch_vccnz .LBB146_2
; %bb.1:
	s_mul_i32 s2, s23, s8
	s_mov_b32 s3, 0
	s_add_i32 s2, s2, s7
	s_lshl_b64 s[24:25], s[2:3], 2
	s_add_u32 s0, s0, s24
	s_addc_u32 s1, s1, s25
	s_load_dword s9, s[0:1], 0x0
	s_cbranch_execz .LBB146_3
	s_branch .LBB146_4
.LBB146_2:
                                        ; implicit-def: $sgpr9
.LBB146_3:
	s_load_dwordx2 s[0:1], s[4:5], 0x5c
	s_waitcnt lgkmcnt(0)
	s_mul_hi_u32 s0, s0, s7
	s_add_i32 s0, s7, s0
	s_lshr_b32 s9, s0, s1
.LBB146_4:
	s_load_dwordx4 s[24:27], s[4:5], 0x68
	s_andn2_b32 vcc_lo, exec_lo, s11
	s_mov_b32 s19, s7
	s_cbranch_vccnz .LBB146_6
; %bb.5:
	s_mul_hi_u32 s0, s13, s7
	s_add_i32 s0, s7, s0
	s_lshr_b32 s0, s0, s14
	s_mul_i32 s0, s0, s15
	s_sub_i32 s19, s7, s0
.LBB146_6:
	s_load_dword s13, s[4:5], 0x78
	v_cmp_gt_u32_e32 vcc_lo, 32, v0
	v_lshl_add_u32 v5, v0, 2, 0
	s_and_saveexec_b32 s0, vcc_lo
; %bb.7:
	v_mov_b32_e32 v1, 0
	ds_write_b32 v5, v1
; %bb.8:
	s_or_b32 exec_lo, exec_lo, s0
	v_mov_b32_e32 v10, 0
	v_mov_b32_e32 v9, 0
	;; [unrolled: 1-line block ×5, first 2 shown]
	s_and_b32 s0, exec_lo, s10
	s_cselect_b32 s10, s8, 0
	s_mov_b32 s11, exec_lo
	s_waitcnt lgkmcnt(0)
	s_barrier
	buffer_gl0_inv
	v_cmpx_gt_i32_e64 s12, v0
	s_cbranch_execz .LBB146_12
; %bb.9:
	s_load_dwordx4 s[0:3], s[4:5], 0x0
	s_mul_hi_u32 s23, s27, s10
	s_mul_hi_i32 s15, s21, s10
	s_mul_i32 s14, s21, s10
	s_mul_i32 s8, s9, s24
	;; [unrolled: 1-line block ×4, first 2 shown]
	s_add_i32 s16, s10, s23
	s_lshl_b64 s[34:35], s[14:15], 2
	s_ashr_i32 s9, s8, 31
	s_ashr_i32 s25, s24, 31
	;; [unrolled: 1-line block ×3, first 2 shown]
	s_lshr_b32 s13, s16, s13
	s_mov_b32 s30, s17
	s_mul_hi_i32 s21, s13, s20
	s_mul_i32 s20, s13, s20
	v_lshlrev_b32_e32 v2, 3, v0
	v_lshlrev_b32_e32 v1, 2, v0
	v_mov_b32_e32 v6, 0
	v_mov_b32_e32 v7, 0
	s_waitcnt lgkmcnt(0)
	s_add_u32 s14, s2, s34
	s_addc_u32 s15, s3, s35
	s_lshl_b64 s[28:29], s[28:29], 2
	v_mov_b32_e32 v8, 0
	s_add_u32 s13, s14, s28
	s_addc_u32 s14, s15, s29
	s_lshl_b64 s[8:9], s[8:9], 1
	s_ashr_i32 s31, s17, 31
	s_add_i32 s15, s17, s17
	s_lshl_b32 s16, s17, 2
	s_lshl_b64 s[20:21], s[20:21], 1
	s_lshl_b64 s[24:25], s[24:25], 1
	s_add_u32 s0, s0, s8
	s_addc_u32 s1, s1, s9
	s_add_u32 s0, s0, s24
	s_addc_u32 s1, s1, s25
	;; [unrolled: 2-line block ×3, first 2 shown]
	s_lshl_b64 s[8:9], s[30:31], 3
	s_add_u32 s2, s2, s28
	s_addc_u32 s3, s3, s29
	s_add_u32 s2, s2, s34
	s_addc_u32 s3, s3, s35
	v_add_co_u32 v3, s2, s2, v2
	v_add_co_ci_u32_e64 v4, null, s3, 0, s2
	v_add_co_u32 v1, s0, s0, v1
	v_add_co_ci_u32_e64 v2, null, s1, 0, s0
	;; [unrolled: 2-line block ×3, first 2 shown]
	v_mov_b32_e32 v9, 0
	v_mov_b32_e32 v10, 0
	;; [unrolled: 1-line block ×3, first 2 shown]
	s_mul_i32 s2, s17, 3
	s_mov_b32 s1, 0
.LBB146_10:                             ; =>This Inner Loop Header: Depth=1
	v_add_nc_u32_e32 v14, s15, v11
	v_add_nc_u32_e32 v18, s2, v11
	v_add_nc_u32_e32 v20, s16, v11
	v_add_co_u32 v16, s0, v3, s8
	v_ashrrev_i32_e32 v15, 31, v14
	v_ashrrev_i32_e32 v19, 31, v18
	;; [unrolled: 1-line block ×3, first 2 shown]
	v_add_co_ci_u32_e64 v17, null, s9, v4, s0
	v_lshlrev_b64 v[14:15], 3, v[14:15]
	v_lshlrev_b64 v[18:19], 3, v[18:19]
	;; [unrolled: 1-line block ×3, first 2 shown]
	s_clause 0x1
	global_load_dwordx2 v[12:13], v[3:4], off offset:-4
	global_load_dwordx2 v[16:17], v[16:17], off offset:-4
	v_add_nc_u32_e32 v11, 0x60, v11
	v_add_co_u32 v14, s0, s13, v14
	v_add_co_ci_u32_e64 v15, null, s14, v15, s0
	v_add_co_u32 v18, s0, s13, v18
	v_add_co_ci_u32_e64 v19, null, s14, v19, s0
	;; [unrolled: 2-line block ×3, first 2 shown]
	s_clause 0x2
	global_load_dwordx2 v[14:15], v[14:15], off
	global_load_dwordx2 v[18:19], v[18:19], off
	;; [unrolled: 1-line block ×3, first 2 shown]
	global_load_dword v22, v[1:2], off
	v_add_co_u32 v1, s0, 0x180, v1
	v_add_co_ci_u32_e64 v2, null, 0, v2, s0
	v_add_co_u32 v3, s0, 0x300, v3
	v_add_co_ci_u32_e64 v4, null, 0, v4, s0
	v_cmp_le_i32_e64 s0, s12, v11
	s_or_b32 s1, s0, s1
	s_waitcnt vmcnt(5)
	v_cvt_f16_f32_e32 v12, v12
	v_cvt_f16_f32_e32 v13, v13
	s_waitcnt vmcnt(4)
	v_cvt_f16_f32_e32 v16, v16
	v_cvt_f16_f32_e32 v17, v17
	v_pack_b32_f16 v12, v12, v13
	v_pack_b32_f16 v13, v16, v17
	s_waitcnt vmcnt(3)
	v_cvt_f16_f32_e32 v14, v14
	v_cvt_f16_f32_e32 v15, v15
	s_waitcnt vmcnt(2)
	v_cvt_f16_f32_e32 v18, v18
	v_cvt_f16_f32_e32 v19, v19
	s_waitcnt vmcnt(1)
	v_cvt_f16_f32_e32 v20, v20
	v_cvt_f16_f32_e32 v21, v21
	v_pack_b32_f16 v14, v14, v15
	s_waitcnt vmcnt(0)
	v_pk_fma_f16 v10, v22, v12, v10
	v_pack_b32_f16 v15, v18, v19
	v_pk_fma_f16 v9, v22, v13, v9
	v_pack_b32_f16 v16, v20, v21
	v_pk_fma_f16 v8, v22, v14, v8
	v_pk_fma_f16 v7, v22, v15, v7
	;; [unrolled: 1-line block ×3, first 2 shown]
	s_andn2_b32 exec_lo, exec_lo, s1
	s_cbranch_execnz .LBB146_10
; %bb.11:
	s_or_b32 exec_lo, exec_lo, s1
.LBB146_12:
	s_or_b32 exec_lo, exec_lo, s11
	v_mbcnt_lo_u32_b32 v2, -1, 0
	v_cvt_f32_f16_e32 v3, v10
	v_cvt_f32_f16_sdwa v4, v10 dst_sel:DWORD dst_unused:UNUSED_PAD src0_sel:WORD_1
	v_cvt_f32_f16_e32 v15, v9
	v_cvt_f32_f16_sdwa v16, v9 dst_sel:DWORD dst_unused:UNUSED_PAD src0_sel:WORD_1
	v_xor_b32_e32 v1, 16, v2
	v_cvt_f32_f16_sdwa v14, v8 dst_sel:DWORD dst_unused:UNUSED_PAD src0_sel:WORD_1
	v_add_f32_e32 v4, v3, v4
	v_xor_b32_e32 v3, 8, v2
	v_cmp_gt_i32_e64 s0, 32, v1
	v_cndmask_b32_e64 v1, v2, v1, s0
	v_cmp_gt_i32_e64 s0, 32, v3
	v_lshlrev_b32_e32 v1, 2, v1
	v_cndmask_b32_e64 v3, v2, v3, s0
	ds_bpermute_b32 v10, v1, v4
	v_lshlrev_b32_e32 v3, 2, v3
	s_waitcnt lgkmcnt(0)
	v_add_f32_e32 v10, v4, v10
	v_xor_b32_e32 v4, 4, v2
	ds_bpermute_b32 v11, v3, v10
	v_cmp_gt_i32_e64 s0, 32, v4
	v_cndmask_b32_e64 v4, v2, v4, s0
	v_lshlrev_b32_e32 v4, 2, v4
	s_waitcnt lgkmcnt(0)
	v_add_f32_e32 v11, v10, v11
	v_xor_b32_e32 v10, 2, v2
	ds_bpermute_b32 v12, v4, v11
	v_cmp_gt_i32_e64 s0, 32, v10
	v_cndmask_b32_e64 v10, v2, v10, s0
	;; [unrolled: 7-line block ×3, first 2 shown]
	v_lshlrev_b32_e32 v11, 2, v2
	s_waitcnt lgkmcnt(0)
	v_add_f32_e32 v2, v12, v13
	v_lshrrev_b32_e32 v13, 3, v0
	ds_bpermute_b32 v12, v11, v2
	v_and_b32_e32 v13, 0x7c, v13
	v_add_nc_u32_e32 v9, 0, v13
	s_waitcnt lgkmcnt(0)
	v_add_f32_e32 v2, v2, v12
	v_cvt_f32_f16_e32 v12, v8
	v_add_f32_e32 v8, v15, v16
	ds_write_b32 v9, v2
	s_waitcnt lgkmcnt(0)
	s_barrier
	buffer_gl0_inv
	s_and_saveexec_b32 s0, vcc_lo
	s_cbranch_execz .LBB146_14
; %bb.13:
	ds_read_b32 v2, v5
	s_waitcnt lgkmcnt(0)
	ds_bpermute_b32 v13, v1, v2
	s_waitcnt lgkmcnt(0)
	v_add_f32_e32 v2, v2, v13
	ds_bpermute_b32 v13, v3, v2
	s_waitcnt lgkmcnt(0)
	v_add_f32_e32 v2, v2, v13
	ds_bpermute_b32 v13, v4, v2
	s_waitcnt lgkmcnt(0)
	v_add_f32_e32 v2, v2, v13
	ds_bpermute_b32 v13, v10, v2
	s_waitcnt lgkmcnt(0)
	v_add_f32_e32 v2, v2, v13
	ds_bpermute_b32 v13, v11, v2
	s_waitcnt lgkmcnt(0)
	v_add_f32_e32 v2, v2, v13
.LBB146_14:
	s_or_b32 exec_lo, exec_lo, s0
	ds_bpermute_b32 v13, v1, v8
	v_add_f32_e32 v12, v12, v14
	s_waitcnt lgkmcnt(0)
	s_barrier
	buffer_gl0_inv
	v_add_f32_e32 v8, v8, v13
	ds_bpermute_b32 v13, v3, v8
	s_waitcnt lgkmcnt(0)
	v_add_f32_e32 v8, v8, v13
	ds_bpermute_b32 v13, v4, v8
	s_waitcnt lgkmcnt(0)
	;; [unrolled: 3-line block ×3, first 2 shown]
	v_add_f32_e32 v15, v8, v13
	v_cvt_f32_f16_e32 v8, v7
	v_cvt_f32_f16_sdwa v13, v7 dst_sel:DWORD dst_unused:UNUSED_PAD src0_sel:WORD_1
	ds_bpermute_b32 v16, v11, v15
	s_waitcnt lgkmcnt(0)
	v_add_f32_e32 v7, v15, v16
	ds_write_b32 v9, v7
	s_waitcnt lgkmcnt(0)
	s_barrier
	buffer_gl0_inv
	s_and_saveexec_b32 s0, vcc_lo
	s_cbranch_execz .LBB146_16
; %bb.15:
	ds_read_b32 v7, v5
	s_waitcnt lgkmcnt(0)
	ds_bpermute_b32 v14, v1, v7
	s_waitcnt lgkmcnt(0)
	v_add_f32_e32 v7, v7, v14
	ds_bpermute_b32 v14, v3, v7
	s_waitcnt lgkmcnt(0)
	v_add_f32_e32 v7, v7, v14
	;; [unrolled: 3-line block ×5, first 2 shown]
.LBB146_16:
	s_or_b32 exec_lo, exec_lo, s0
	ds_bpermute_b32 v14, v1, v12
	v_add_f32_e32 v8, v8, v13
	s_waitcnt lgkmcnt(0)
	s_barrier
	buffer_gl0_inv
	v_add_f32_e32 v12, v12, v14
	ds_bpermute_b32 v14, v3, v12
	s_waitcnt lgkmcnt(0)
	v_add_f32_e32 v12, v12, v14
	ds_bpermute_b32 v14, v4, v12
	s_waitcnt lgkmcnt(0)
	;; [unrolled: 3-line block ×3, first 2 shown]
	v_add_f32_e32 v15, v12, v14
	v_cvt_f32_f16_e32 v12, v6
	v_cvt_f32_f16_sdwa v14, v6 dst_sel:DWORD dst_unused:UNUSED_PAD src0_sel:WORD_1
	ds_bpermute_b32 v16, v11, v15
	s_waitcnt lgkmcnt(0)
	v_add_f32_e32 v6, v15, v16
	ds_write_b32 v9, v6
	s_waitcnt lgkmcnt(0)
	s_barrier
	buffer_gl0_inv
	s_and_saveexec_b32 s0, vcc_lo
	s_cbranch_execz .LBB146_18
; %bb.17:
	ds_read_b32 v6, v5
	s_waitcnt lgkmcnt(0)
	ds_bpermute_b32 v13, v1, v6
	s_waitcnt lgkmcnt(0)
	v_add_f32_e32 v6, v6, v13
	ds_bpermute_b32 v13, v3, v6
	s_waitcnt lgkmcnt(0)
	v_add_f32_e32 v6, v6, v13
	;; [unrolled: 3-line block ×5, first 2 shown]
.LBB146_18:
	s_or_b32 exec_lo, exec_lo, s0
	ds_bpermute_b32 v13, v1, v8
	v_add_f32_e32 v12, v12, v14
	s_waitcnt lgkmcnt(0)
	s_barrier
	buffer_gl0_inv
	v_add_f32_e32 v8, v8, v13
	ds_bpermute_b32 v13, v3, v8
	s_waitcnt lgkmcnt(0)
	v_add_f32_e32 v8, v8, v13
	ds_bpermute_b32 v13, v4, v8
	s_waitcnt lgkmcnt(0)
	;; [unrolled: 3-line block ×4, first 2 shown]
	v_add_f32_e32 v8, v8, v13
	ds_write_b32 v9, v8
	s_waitcnt lgkmcnt(0)
	s_barrier
	buffer_gl0_inv
	s_and_saveexec_b32 s0, vcc_lo
	s_cbranch_execz .LBB146_20
; %bb.19:
	ds_read_b32 v8, v5
	s_waitcnt lgkmcnt(0)
	ds_bpermute_b32 v13, v1, v8
	s_waitcnt lgkmcnt(0)
	v_add_f32_e32 v8, v8, v13
	ds_bpermute_b32 v13, v3, v8
	s_waitcnt lgkmcnt(0)
	v_add_f32_e32 v8, v8, v13
	;; [unrolled: 3-line block ×5, first 2 shown]
.LBB146_20:
	s_or_b32 exec_lo, exec_lo, s0
	ds_bpermute_b32 v13, v1, v12
	s_waitcnt lgkmcnt(0)
	s_barrier
	buffer_gl0_inv
	v_add_f32_e32 v12, v12, v13
	ds_bpermute_b32 v13, v3, v12
	s_waitcnt lgkmcnt(0)
	v_add_f32_e32 v12, v12, v13
	ds_bpermute_b32 v13, v4, v12
	s_waitcnt lgkmcnt(0)
	;; [unrolled: 3-line block ×4, first 2 shown]
	v_add_f32_e32 v12, v12, v13
	ds_write_b32 v9, v12
	s_waitcnt lgkmcnt(0)
	s_barrier
	buffer_gl0_inv
	s_and_saveexec_b32 s0, vcc_lo
	s_cbranch_execz .LBB146_22
; %bb.21:
	ds_read_b32 v5, v5
	s_waitcnt lgkmcnt(0)
	ds_bpermute_b32 v1, v1, v5
	s_waitcnt lgkmcnt(0)
	v_add_f32_e32 v1, v5, v1
	ds_bpermute_b32 v3, v3, v1
	s_waitcnt lgkmcnt(0)
	v_add_f32_e32 v1, v1, v3
	;; [unrolled: 3-line block ×5, first 2 shown]
.LBB146_22:
	s_or_b32 exec_lo, exec_lo, s0
	s_barrier
	buffer_gl0_inv
	s_mov_b32 s0, exec_lo
	v_cmpx_gt_u32_e32 5, v0
	s_cbranch_execz .LBB146_24
; %bb.23:
	s_load_dwordx2 s[0:1], s[4:5], 0x38
	v_cmp_eq_u32_e32 vcc_lo, 1, v0
	v_mad_u64_u32 v[3:4], null, s18, v0, s[6:7]
	s_mul_hi_i32 s3, s22, s10
	s_mul_i32 s2, s22, s10
	v_cndmask_b32_e32 v1, v2, v7, vcc_lo
	v_cmp_eq_u32_e32 vcc_lo, 2, v0
	s_mul_i32 s4, s26, s7
	s_lshl_b64 s[2:3], s[2:3], 2
	v_ashrrev_i32_e32 v4, 31, v3
	s_ashr_i32 s5, s4, 31
	v_cndmask_b32_e32 v1, v1, v6, vcc_lo
	v_cmp_eq_u32_e32 vcc_lo, 3, v0
	v_cndmask_b32_e32 v5, v1, v8, vcc_lo
	v_lshlrev_b64 v[1:2], 2, v[3:4]
	s_waitcnt lgkmcnt(0)
	s_add_u32 s2, s0, s2
	v_cmp_eq_u32_e32 vcc_lo, 4, v0
	s_addc_u32 s3, s1, s3
	s_lshl_b64 s[0:1], s[4:5], 2
	s_add_u32 s0, s2, s0
	v_cndmask_b32_e32 v3, v5, v12, vcc_lo
	s_addc_u32 s1, s3, s1
	v_add_co_u32 v0, vcc_lo, s0, v1
	v_add_co_ci_u32_e64 v1, null, s1, v2, vcc_lo
	global_store_dword v[0:1], v3, off
.LBB146_24:
	s_endpgm
	.section	.rodata,"a",@progbits
	.p2align	6, 0x0
	.amdhsa_kernel _ZL13mul_mat_vec_fI6__halfS0_Li5ELi96ELb0ELb0EEvPKT_PKfPKi31ggml_cuda_mm_fusion_args_devicePfi15HIP_vector_typeIjLj3EEiiiSB_iiiSB_iiii
		.amdhsa_group_segment_fixed_size 0
		.amdhsa_private_segment_fixed_size 0
		.amdhsa_kernarg_size 144
		.amdhsa_user_sgpr_count 6
		.amdhsa_user_sgpr_private_segment_buffer 1
		.amdhsa_user_sgpr_dispatch_ptr 0
		.amdhsa_user_sgpr_queue_ptr 0
		.amdhsa_user_sgpr_kernarg_segment_ptr 1
		.amdhsa_user_sgpr_dispatch_id 0
		.amdhsa_user_sgpr_flat_scratch_init 0
		.amdhsa_user_sgpr_private_segment_size 0
		.amdhsa_wavefront_size32 1
		.amdhsa_uses_dynamic_stack 0
		.amdhsa_system_sgpr_private_segment_wavefront_offset 0
		.amdhsa_system_sgpr_workgroup_id_x 1
		.amdhsa_system_sgpr_workgroup_id_y 1
		.amdhsa_system_sgpr_workgroup_id_z 1
		.amdhsa_system_sgpr_workgroup_info 0
		.amdhsa_system_vgpr_workitem_id 0
		.amdhsa_next_free_vgpr 23
		.amdhsa_next_free_sgpr 36
		.amdhsa_reserve_vcc 1
		.amdhsa_reserve_flat_scratch 0
		.amdhsa_float_round_mode_32 0
		.amdhsa_float_round_mode_16_64 0
		.amdhsa_float_denorm_mode_32 3
		.amdhsa_float_denorm_mode_16_64 3
		.amdhsa_dx10_clamp 1
		.amdhsa_ieee_mode 1
		.amdhsa_fp16_overflow 0
		.amdhsa_workgroup_processor_mode 1
		.amdhsa_memory_ordered 1
		.amdhsa_forward_progress 1
		.amdhsa_shared_vgpr_count 0
		.amdhsa_exception_fp_ieee_invalid_op 0
		.amdhsa_exception_fp_denorm_src 0
		.amdhsa_exception_fp_ieee_div_zero 0
		.amdhsa_exception_fp_ieee_overflow 0
		.amdhsa_exception_fp_ieee_underflow 0
		.amdhsa_exception_fp_ieee_inexact 0
		.amdhsa_exception_int_div_zero 0
	.end_amdhsa_kernel
	.section	.text._ZL13mul_mat_vec_fI6__halfS0_Li5ELi96ELb0ELb0EEvPKT_PKfPKi31ggml_cuda_mm_fusion_args_devicePfi15HIP_vector_typeIjLj3EEiiiSB_iiiSB_iiii,"axG",@progbits,_ZL13mul_mat_vec_fI6__halfS0_Li5ELi96ELb0ELb0EEvPKT_PKfPKi31ggml_cuda_mm_fusion_args_devicePfi15HIP_vector_typeIjLj3EEiiiSB_iiiSB_iiii,comdat
.Lfunc_end146:
	.size	_ZL13mul_mat_vec_fI6__halfS0_Li5ELi96ELb0ELb0EEvPKT_PKfPKi31ggml_cuda_mm_fusion_args_devicePfi15HIP_vector_typeIjLj3EEiiiSB_iiiSB_iiii, .Lfunc_end146-_ZL13mul_mat_vec_fI6__halfS0_Li5ELi96ELb0ELb0EEvPKT_PKfPKi31ggml_cuda_mm_fusion_args_devicePfi15HIP_vector_typeIjLj3EEiiiSB_iiiSB_iiii
                                        ; -- End function
	.set _ZL13mul_mat_vec_fI6__halfS0_Li5ELi96ELb0ELb0EEvPKT_PKfPKi31ggml_cuda_mm_fusion_args_devicePfi15HIP_vector_typeIjLj3EEiiiSB_iiiSB_iiii.num_vgpr, 23
	.set _ZL13mul_mat_vec_fI6__halfS0_Li5ELi96ELb0ELb0EEvPKT_PKfPKi31ggml_cuda_mm_fusion_args_devicePfi15HIP_vector_typeIjLj3EEiiiSB_iiiSB_iiii.num_agpr, 0
	.set _ZL13mul_mat_vec_fI6__halfS0_Li5ELi96ELb0ELb0EEvPKT_PKfPKi31ggml_cuda_mm_fusion_args_devicePfi15HIP_vector_typeIjLj3EEiiiSB_iiiSB_iiii.numbered_sgpr, 36
	.set _ZL13mul_mat_vec_fI6__halfS0_Li5ELi96ELb0ELb0EEvPKT_PKfPKi31ggml_cuda_mm_fusion_args_devicePfi15HIP_vector_typeIjLj3EEiiiSB_iiiSB_iiii.num_named_barrier, 0
	.set _ZL13mul_mat_vec_fI6__halfS0_Li5ELi96ELb0ELb0EEvPKT_PKfPKi31ggml_cuda_mm_fusion_args_devicePfi15HIP_vector_typeIjLj3EEiiiSB_iiiSB_iiii.private_seg_size, 0
	.set _ZL13mul_mat_vec_fI6__halfS0_Li5ELi96ELb0ELb0EEvPKT_PKfPKi31ggml_cuda_mm_fusion_args_devicePfi15HIP_vector_typeIjLj3EEiiiSB_iiiSB_iiii.uses_vcc, 1
	.set _ZL13mul_mat_vec_fI6__halfS0_Li5ELi96ELb0ELb0EEvPKT_PKfPKi31ggml_cuda_mm_fusion_args_devicePfi15HIP_vector_typeIjLj3EEiiiSB_iiiSB_iiii.uses_flat_scratch, 0
	.set _ZL13mul_mat_vec_fI6__halfS0_Li5ELi96ELb0ELb0EEvPKT_PKfPKi31ggml_cuda_mm_fusion_args_devicePfi15HIP_vector_typeIjLj3EEiiiSB_iiiSB_iiii.has_dyn_sized_stack, 0
	.set _ZL13mul_mat_vec_fI6__halfS0_Li5ELi96ELb0ELb0EEvPKT_PKfPKi31ggml_cuda_mm_fusion_args_devicePfi15HIP_vector_typeIjLj3EEiiiSB_iiiSB_iiii.has_recursion, 0
	.set _ZL13mul_mat_vec_fI6__halfS0_Li5ELi96ELb0ELb0EEvPKT_PKfPKi31ggml_cuda_mm_fusion_args_devicePfi15HIP_vector_typeIjLj3EEiiiSB_iiiSB_iiii.has_indirect_call, 0
	.section	.AMDGPU.csdata,"",@progbits
; Kernel info:
; codeLenInByte = 2364
; TotalNumSgprs: 38
; NumVgprs: 23
; ScratchSize: 0
; MemoryBound: 0
; FloatMode: 240
; IeeeMode: 1
; LDSByteSize: 0 bytes/workgroup (compile time only)
; SGPRBlocks: 0
; VGPRBlocks: 2
; NumSGPRsForWavesPerEU: 38
; NumVGPRsForWavesPerEU: 23
; Occupancy: 16
; WaveLimiterHint : 0
; COMPUTE_PGM_RSRC2:SCRATCH_EN: 0
; COMPUTE_PGM_RSRC2:USER_SGPR: 6
; COMPUTE_PGM_RSRC2:TRAP_HANDLER: 0
; COMPUTE_PGM_RSRC2:TGID_X_EN: 1
; COMPUTE_PGM_RSRC2:TGID_Y_EN: 1
; COMPUTE_PGM_RSRC2:TGID_Z_EN: 1
; COMPUTE_PGM_RSRC2:TIDIG_COMP_CNT: 0
	.section	.text._ZL13mul_mat_vec_fI6__halfS0_Li5ELi128ELb0ELb0EEvPKT_PKfPKi31ggml_cuda_mm_fusion_args_devicePfi15HIP_vector_typeIjLj3EEiiiSB_iiiSB_iiii,"axG",@progbits,_ZL13mul_mat_vec_fI6__halfS0_Li5ELi128ELb0ELb0EEvPKT_PKfPKi31ggml_cuda_mm_fusion_args_devicePfi15HIP_vector_typeIjLj3EEiiiSB_iiiSB_iiii,comdat
	.globl	_ZL13mul_mat_vec_fI6__halfS0_Li5ELi128ELb0ELb0EEvPKT_PKfPKi31ggml_cuda_mm_fusion_args_devicePfi15HIP_vector_typeIjLj3EEiiiSB_iiiSB_iiii ; -- Begin function _ZL13mul_mat_vec_fI6__halfS0_Li5ELi128ELb0ELb0EEvPKT_PKfPKi31ggml_cuda_mm_fusion_args_devicePfi15HIP_vector_typeIjLj3EEiiiSB_iiiSB_iiii
	.p2align	8
	.type	_ZL13mul_mat_vec_fI6__halfS0_Li5ELi128ELb0ELb0EEvPKT_PKfPKi31ggml_cuda_mm_fusion_args_devicePfi15HIP_vector_typeIjLj3EEiiiSB_iiiSB_iiii,@function
_ZL13mul_mat_vec_fI6__halfS0_Li5ELi128ELb0ELb0EEvPKT_PKfPKi31ggml_cuda_mm_fusion_args_devicePfi15HIP_vector_typeIjLj3EEiiiSB_iiiSB_iiii: ; @_ZL13mul_mat_vec_fI6__halfS0_Li5ELi128ELb0ELb0EEvPKT_PKfPKi31ggml_cuda_mm_fusion_args_devicePfi15HIP_vector_typeIjLj3EEiiiSB_iiiSB_iiii
; %bb.0:
	s_clause 0x2
	s_load_dwordx2 s[0:1], s[4:5], 0x10
	s_load_dwordx8 s[12:19], s[4:5], 0x40
	s_load_dwordx4 s[20:23], s[4:5], 0x80
	s_waitcnt lgkmcnt(0)
	s_cmp_eq_u64 s[0:1], 0
	s_cselect_b32 s10, -1, 0
	s_cmp_lg_u64 s[0:1], 0
	s_cselect_b32 s11, -1, 0
	s_and_b32 vcc_lo, exec_lo, s10
	s_cbranch_vccnz .LBB147_2
; %bb.1:
	s_mul_i32 s2, s23, s8
	s_mov_b32 s3, 0
	s_add_i32 s2, s2, s7
	s_lshl_b64 s[24:25], s[2:3], 2
	s_add_u32 s0, s0, s24
	s_addc_u32 s1, s1, s25
	s_load_dword s9, s[0:1], 0x0
	s_cbranch_execz .LBB147_3
	s_branch .LBB147_4
.LBB147_2:
                                        ; implicit-def: $sgpr9
.LBB147_3:
	s_load_dwordx2 s[0:1], s[4:5], 0x5c
	s_waitcnt lgkmcnt(0)
	s_mul_hi_u32 s0, s0, s7
	s_add_i32 s0, s7, s0
	s_lshr_b32 s9, s0, s1
.LBB147_4:
	s_load_dwordx4 s[24:27], s[4:5], 0x68
	s_andn2_b32 vcc_lo, exec_lo, s11
	s_mov_b32 s19, s7
	s_cbranch_vccnz .LBB147_6
; %bb.5:
	s_mul_hi_u32 s0, s13, s7
	s_add_i32 s0, s7, s0
	s_lshr_b32 s0, s0, s14
	s_mul_i32 s0, s0, s15
	s_sub_i32 s19, s7, s0
.LBB147_6:
	s_load_dword s13, s[4:5], 0x78
	v_cmp_gt_u32_e32 vcc_lo, 32, v0
	v_lshl_add_u32 v5, v0, 2, 0
	s_and_saveexec_b32 s0, vcc_lo
; %bb.7:
	v_mov_b32_e32 v1, 0
	ds_write_b32 v5, v1
; %bb.8:
	s_or_b32 exec_lo, exec_lo, s0
	v_mov_b32_e32 v10, 0
	v_mov_b32_e32 v9, 0
	;; [unrolled: 1-line block ×5, first 2 shown]
	s_and_b32 s0, exec_lo, s10
	s_cselect_b32 s10, s8, 0
	s_mov_b32 s11, exec_lo
	s_waitcnt lgkmcnt(0)
	s_barrier
	buffer_gl0_inv
	v_cmpx_gt_i32_e64 s12, v0
	s_cbranch_execz .LBB147_12
; %bb.9:
	s_load_dwordx4 s[0:3], s[4:5], 0x0
	s_mul_hi_u32 s23, s27, s10
	s_mul_hi_i32 s15, s21, s10
	s_mul_i32 s14, s21, s10
	s_mul_i32 s8, s9, s24
	;; [unrolled: 1-line block ×4, first 2 shown]
	s_add_i32 s16, s10, s23
	s_lshl_b64 s[34:35], s[14:15], 2
	s_ashr_i32 s9, s8, 31
	s_ashr_i32 s25, s24, 31
	;; [unrolled: 1-line block ×3, first 2 shown]
	s_lshr_b32 s13, s16, s13
	s_mov_b32 s30, s17
	s_mul_hi_i32 s21, s13, s20
	s_mul_i32 s20, s13, s20
	v_lshlrev_b32_e32 v2, 3, v0
	v_lshlrev_b32_e32 v1, 2, v0
	v_mov_b32_e32 v6, 0
	v_mov_b32_e32 v7, 0
	s_waitcnt lgkmcnt(0)
	s_add_u32 s14, s2, s34
	s_addc_u32 s15, s3, s35
	s_lshl_b64 s[28:29], s[28:29], 2
	v_mov_b32_e32 v8, 0
	s_add_u32 s13, s14, s28
	s_addc_u32 s14, s15, s29
	s_lshl_b64 s[8:9], s[8:9], 1
	s_ashr_i32 s31, s17, 31
	s_add_i32 s15, s17, s17
	s_lshl_b32 s16, s17, 2
	s_lshl_b64 s[20:21], s[20:21], 1
	s_lshl_b64 s[24:25], s[24:25], 1
	s_add_u32 s0, s0, s8
	s_addc_u32 s1, s1, s9
	s_add_u32 s0, s0, s24
	s_addc_u32 s1, s1, s25
	;; [unrolled: 2-line block ×3, first 2 shown]
	s_lshl_b64 s[8:9], s[30:31], 3
	s_add_u32 s2, s2, s28
	s_addc_u32 s3, s3, s29
	s_add_u32 s2, s2, s34
	s_addc_u32 s3, s3, s35
	v_add_co_u32 v3, s2, s2, v2
	v_add_co_ci_u32_e64 v4, null, s3, 0, s2
	v_add_co_u32 v1, s0, s0, v1
	v_add_co_ci_u32_e64 v2, null, s1, 0, s0
	;; [unrolled: 2-line block ×3, first 2 shown]
	v_mov_b32_e32 v9, 0
	v_mov_b32_e32 v10, 0
	;; [unrolled: 1-line block ×3, first 2 shown]
	s_mul_i32 s2, s17, 3
	s_mov_b32 s1, 0
.LBB147_10:                             ; =>This Inner Loop Header: Depth=1
	v_add_nc_u32_e32 v14, s15, v11
	v_add_nc_u32_e32 v18, s2, v11
	;; [unrolled: 1-line block ×3, first 2 shown]
	v_add_co_u32 v16, s0, v3, s8
	v_ashrrev_i32_e32 v15, 31, v14
	v_ashrrev_i32_e32 v19, 31, v18
	;; [unrolled: 1-line block ×3, first 2 shown]
	v_add_co_ci_u32_e64 v17, null, s9, v4, s0
	v_lshlrev_b64 v[14:15], 3, v[14:15]
	v_lshlrev_b64 v[18:19], 3, v[18:19]
	;; [unrolled: 1-line block ×3, first 2 shown]
	s_clause 0x1
	global_load_dwordx2 v[12:13], v[3:4], off offset:-4
	global_load_dwordx2 v[16:17], v[16:17], off offset:-4
	v_add_nc_u32_e32 v11, 0x80, v11
	v_add_co_u32 v14, s0, s13, v14
	v_add_co_ci_u32_e64 v15, null, s14, v15, s0
	v_add_co_u32 v18, s0, s13, v18
	v_add_co_ci_u32_e64 v19, null, s14, v19, s0
	;; [unrolled: 2-line block ×3, first 2 shown]
	s_clause 0x2
	global_load_dwordx2 v[14:15], v[14:15], off
	global_load_dwordx2 v[18:19], v[18:19], off
	;; [unrolled: 1-line block ×3, first 2 shown]
	global_load_dword v22, v[1:2], off
	v_add_co_u32 v1, s0, 0x200, v1
	v_add_co_ci_u32_e64 v2, null, 0, v2, s0
	v_add_co_u32 v3, s0, 0x400, v3
	v_add_co_ci_u32_e64 v4, null, 0, v4, s0
	v_cmp_le_i32_e64 s0, s12, v11
	s_or_b32 s1, s0, s1
	s_waitcnt vmcnt(5)
	v_cvt_f16_f32_e32 v12, v12
	v_cvt_f16_f32_e32 v13, v13
	s_waitcnt vmcnt(4)
	v_cvt_f16_f32_e32 v16, v16
	v_cvt_f16_f32_e32 v17, v17
	v_pack_b32_f16 v12, v12, v13
	v_pack_b32_f16 v13, v16, v17
	s_waitcnt vmcnt(3)
	v_cvt_f16_f32_e32 v14, v14
	v_cvt_f16_f32_e32 v15, v15
	s_waitcnt vmcnt(2)
	v_cvt_f16_f32_e32 v18, v18
	v_cvt_f16_f32_e32 v19, v19
	;; [unrolled: 3-line block ×3, first 2 shown]
	v_pack_b32_f16 v14, v14, v15
	s_waitcnt vmcnt(0)
	v_pk_fma_f16 v10, v22, v12, v10
	v_pack_b32_f16 v15, v18, v19
	v_pk_fma_f16 v9, v22, v13, v9
	v_pack_b32_f16 v16, v20, v21
	v_pk_fma_f16 v8, v22, v14, v8
	v_pk_fma_f16 v7, v22, v15, v7
	;; [unrolled: 1-line block ×3, first 2 shown]
	s_andn2_b32 exec_lo, exec_lo, s1
	s_cbranch_execnz .LBB147_10
; %bb.11:
	s_or_b32 exec_lo, exec_lo, s1
.LBB147_12:
	s_or_b32 exec_lo, exec_lo, s11
	v_mbcnt_lo_u32_b32 v2, -1, 0
	v_cvt_f32_f16_e32 v3, v10
	v_cvt_f32_f16_sdwa v4, v10 dst_sel:DWORD dst_unused:UNUSED_PAD src0_sel:WORD_1
	v_cvt_f32_f16_e32 v15, v9
	v_cvt_f32_f16_sdwa v16, v9 dst_sel:DWORD dst_unused:UNUSED_PAD src0_sel:WORD_1
	v_xor_b32_e32 v1, 16, v2
	v_cvt_f32_f16_sdwa v14, v8 dst_sel:DWORD dst_unused:UNUSED_PAD src0_sel:WORD_1
	v_add_f32_e32 v4, v3, v4
	v_xor_b32_e32 v3, 8, v2
	v_cmp_gt_i32_e64 s0, 32, v1
	v_cndmask_b32_e64 v1, v2, v1, s0
	v_cmp_gt_i32_e64 s0, 32, v3
	v_lshlrev_b32_e32 v1, 2, v1
	v_cndmask_b32_e64 v3, v2, v3, s0
	ds_bpermute_b32 v10, v1, v4
	v_lshlrev_b32_e32 v3, 2, v3
	s_waitcnt lgkmcnt(0)
	v_add_f32_e32 v10, v4, v10
	v_xor_b32_e32 v4, 4, v2
	ds_bpermute_b32 v11, v3, v10
	v_cmp_gt_i32_e64 s0, 32, v4
	v_cndmask_b32_e64 v4, v2, v4, s0
	v_lshlrev_b32_e32 v4, 2, v4
	s_waitcnt lgkmcnt(0)
	v_add_f32_e32 v11, v10, v11
	v_xor_b32_e32 v10, 2, v2
	ds_bpermute_b32 v12, v4, v11
	v_cmp_gt_i32_e64 s0, 32, v10
	v_cndmask_b32_e64 v10, v2, v10, s0
	;; [unrolled: 7-line block ×3, first 2 shown]
	v_lshlrev_b32_e32 v11, 2, v2
	s_waitcnt lgkmcnt(0)
	v_add_f32_e32 v2, v12, v13
	v_lshrrev_b32_e32 v13, 3, v0
	ds_bpermute_b32 v12, v11, v2
	v_and_b32_e32 v13, 0x7c, v13
	v_add_nc_u32_e32 v9, 0, v13
	s_waitcnt lgkmcnt(0)
	v_add_f32_e32 v2, v2, v12
	v_cvt_f32_f16_e32 v12, v8
	v_add_f32_e32 v8, v15, v16
	ds_write_b32 v9, v2
	s_waitcnt lgkmcnt(0)
	s_barrier
	buffer_gl0_inv
	s_and_saveexec_b32 s0, vcc_lo
	s_cbranch_execz .LBB147_14
; %bb.13:
	ds_read_b32 v2, v5
	s_waitcnt lgkmcnt(0)
	ds_bpermute_b32 v13, v1, v2
	s_waitcnt lgkmcnt(0)
	v_add_f32_e32 v2, v2, v13
	ds_bpermute_b32 v13, v3, v2
	s_waitcnt lgkmcnt(0)
	v_add_f32_e32 v2, v2, v13
	;; [unrolled: 3-line block ×5, first 2 shown]
.LBB147_14:
	s_or_b32 exec_lo, exec_lo, s0
	ds_bpermute_b32 v13, v1, v8
	v_add_f32_e32 v12, v12, v14
	s_waitcnt lgkmcnt(0)
	s_barrier
	buffer_gl0_inv
	v_add_f32_e32 v8, v8, v13
	ds_bpermute_b32 v13, v3, v8
	s_waitcnt lgkmcnt(0)
	v_add_f32_e32 v8, v8, v13
	ds_bpermute_b32 v13, v4, v8
	s_waitcnt lgkmcnt(0)
	;; [unrolled: 3-line block ×3, first 2 shown]
	v_add_f32_e32 v15, v8, v13
	v_cvt_f32_f16_e32 v8, v7
	v_cvt_f32_f16_sdwa v13, v7 dst_sel:DWORD dst_unused:UNUSED_PAD src0_sel:WORD_1
	ds_bpermute_b32 v16, v11, v15
	s_waitcnt lgkmcnt(0)
	v_add_f32_e32 v7, v15, v16
	ds_write_b32 v9, v7
	s_waitcnt lgkmcnt(0)
	s_barrier
	buffer_gl0_inv
	s_and_saveexec_b32 s0, vcc_lo
	s_cbranch_execz .LBB147_16
; %bb.15:
	ds_read_b32 v7, v5
	s_waitcnt lgkmcnt(0)
	ds_bpermute_b32 v14, v1, v7
	s_waitcnt lgkmcnt(0)
	v_add_f32_e32 v7, v7, v14
	ds_bpermute_b32 v14, v3, v7
	s_waitcnt lgkmcnt(0)
	v_add_f32_e32 v7, v7, v14
	;; [unrolled: 3-line block ×5, first 2 shown]
.LBB147_16:
	s_or_b32 exec_lo, exec_lo, s0
	ds_bpermute_b32 v14, v1, v12
	v_add_f32_e32 v8, v8, v13
	s_waitcnt lgkmcnt(0)
	s_barrier
	buffer_gl0_inv
	v_add_f32_e32 v12, v12, v14
	ds_bpermute_b32 v14, v3, v12
	s_waitcnt lgkmcnt(0)
	v_add_f32_e32 v12, v12, v14
	ds_bpermute_b32 v14, v4, v12
	s_waitcnt lgkmcnt(0)
	;; [unrolled: 3-line block ×3, first 2 shown]
	v_add_f32_e32 v15, v12, v14
	v_cvt_f32_f16_e32 v12, v6
	v_cvt_f32_f16_sdwa v14, v6 dst_sel:DWORD dst_unused:UNUSED_PAD src0_sel:WORD_1
	ds_bpermute_b32 v16, v11, v15
	s_waitcnt lgkmcnt(0)
	v_add_f32_e32 v6, v15, v16
	ds_write_b32 v9, v6
	s_waitcnt lgkmcnt(0)
	s_barrier
	buffer_gl0_inv
	s_and_saveexec_b32 s0, vcc_lo
	s_cbranch_execz .LBB147_18
; %bb.17:
	ds_read_b32 v6, v5
	s_waitcnt lgkmcnt(0)
	ds_bpermute_b32 v13, v1, v6
	s_waitcnt lgkmcnt(0)
	v_add_f32_e32 v6, v6, v13
	ds_bpermute_b32 v13, v3, v6
	s_waitcnt lgkmcnt(0)
	v_add_f32_e32 v6, v6, v13
	;; [unrolled: 3-line block ×5, first 2 shown]
.LBB147_18:
	s_or_b32 exec_lo, exec_lo, s0
	ds_bpermute_b32 v13, v1, v8
	v_add_f32_e32 v12, v12, v14
	s_waitcnt lgkmcnt(0)
	s_barrier
	buffer_gl0_inv
	v_add_f32_e32 v8, v8, v13
	ds_bpermute_b32 v13, v3, v8
	s_waitcnt lgkmcnt(0)
	v_add_f32_e32 v8, v8, v13
	ds_bpermute_b32 v13, v4, v8
	s_waitcnt lgkmcnt(0)
	;; [unrolled: 3-line block ×4, first 2 shown]
	v_add_f32_e32 v8, v8, v13
	ds_write_b32 v9, v8
	s_waitcnt lgkmcnt(0)
	s_barrier
	buffer_gl0_inv
	s_and_saveexec_b32 s0, vcc_lo
	s_cbranch_execz .LBB147_20
; %bb.19:
	ds_read_b32 v8, v5
	s_waitcnt lgkmcnt(0)
	ds_bpermute_b32 v13, v1, v8
	s_waitcnt lgkmcnt(0)
	v_add_f32_e32 v8, v8, v13
	ds_bpermute_b32 v13, v3, v8
	s_waitcnt lgkmcnt(0)
	v_add_f32_e32 v8, v8, v13
	ds_bpermute_b32 v13, v4, v8
	s_waitcnt lgkmcnt(0)
	v_add_f32_e32 v8, v8, v13
	ds_bpermute_b32 v13, v10, v8
	s_waitcnt lgkmcnt(0)
	v_add_f32_e32 v8, v8, v13
	ds_bpermute_b32 v13, v11, v8
	s_waitcnt lgkmcnt(0)
	v_add_f32_e32 v8, v8, v13
.LBB147_20:
	s_or_b32 exec_lo, exec_lo, s0
	ds_bpermute_b32 v13, v1, v12
	s_waitcnt lgkmcnt(0)
	s_barrier
	buffer_gl0_inv
	v_add_f32_e32 v12, v12, v13
	ds_bpermute_b32 v13, v3, v12
	s_waitcnt lgkmcnt(0)
	v_add_f32_e32 v12, v12, v13
	ds_bpermute_b32 v13, v4, v12
	s_waitcnt lgkmcnt(0)
	;; [unrolled: 3-line block ×4, first 2 shown]
	v_add_f32_e32 v12, v12, v13
	ds_write_b32 v9, v12
	s_waitcnt lgkmcnt(0)
	s_barrier
	buffer_gl0_inv
	s_and_saveexec_b32 s0, vcc_lo
	s_cbranch_execz .LBB147_22
; %bb.21:
	ds_read_b32 v5, v5
	s_waitcnt lgkmcnt(0)
	ds_bpermute_b32 v1, v1, v5
	s_waitcnt lgkmcnt(0)
	v_add_f32_e32 v1, v5, v1
	ds_bpermute_b32 v3, v3, v1
	s_waitcnt lgkmcnt(0)
	v_add_f32_e32 v1, v1, v3
	;; [unrolled: 3-line block ×5, first 2 shown]
.LBB147_22:
	s_or_b32 exec_lo, exec_lo, s0
	s_barrier
	buffer_gl0_inv
	s_mov_b32 s0, exec_lo
	v_cmpx_gt_u32_e32 5, v0
	s_cbranch_execz .LBB147_24
; %bb.23:
	s_load_dwordx2 s[0:1], s[4:5], 0x38
	v_cmp_eq_u32_e32 vcc_lo, 1, v0
	v_mad_u64_u32 v[3:4], null, s18, v0, s[6:7]
	s_mul_hi_i32 s3, s22, s10
	s_mul_i32 s2, s22, s10
	v_cndmask_b32_e32 v1, v2, v7, vcc_lo
	v_cmp_eq_u32_e32 vcc_lo, 2, v0
	s_mul_i32 s4, s26, s7
	s_lshl_b64 s[2:3], s[2:3], 2
	v_ashrrev_i32_e32 v4, 31, v3
	s_ashr_i32 s5, s4, 31
	v_cndmask_b32_e32 v1, v1, v6, vcc_lo
	v_cmp_eq_u32_e32 vcc_lo, 3, v0
	v_cndmask_b32_e32 v5, v1, v8, vcc_lo
	v_lshlrev_b64 v[1:2], 2, v[3:4]
	s_waitcnt lgkmcnt(0)
	s_add_u32 s2, s0, s2
	v_cmp_eq_u32_e32 vcc_lo, 4, v0
	s_addc_u32 s3, s1, s3
	s_lshl_b64 s[0:1], s[4:5], 2
	s_add_u32 s0, s2, s0
	v_cndmask_b32_e32 v3, v5, v12, vcc_lo
	s_addc_u32 s1, s3, s1
	v_add_co_u32 v0, vcc_lo, s0, v1
	v_add_co_ci_u32_e64 v1, null, s1, v2, vcc_lo
	global_store_dword v[0:1], v3, off
.LBB147_24:
	s_endpgm
	.section	.rodata,"a",@progbits
	.p2align	6, 0x0
	.amdhsa_kernel _ZL13mul_mat_vec_fI6__halfS0_Li5ELi128ELb0ELb0EEvPKT_PKfPKi31ggml_cuda_mm_fusion_args_devicePfi15HIP_vector_typeIjLj3EEiiiSB_iiiSB_iiii
		.amdhsa_group_segment_fixed_size 0
		.amdhsa_private_segment_fixed_size 0
		.amdhsa_kernarg_size 144
		.amdhsa_user_sgpr_count 6
		.amdhsa_user_sgpr_private_segment_buffer 1
		.amdhsa_user_sgpr_dispatch_ptr 0
		.amdhsa_user_sgpr_queue_ptr 0
		.amdhsa_user_sgpr_kernarg_segment_ptr 1
		.amdhsa_user_sgpr_dispatch_id 0
		.amdhsa_user_sgpr_flat_scratch_init 0
		.amdhsa_user_sgpr_private_segment_size 0
		.amdhsa_wavefront_size32 1
		.amdhsa_uses_dynamic_stack 0
		.amdhsa_system_sgpr_private_segment_wavefront_offset 0
		.amdhsa_system_sgpr_workgroup_id_x 1
		.amdhsa_system_sgpr_workgroup_id_y 1
		.amdhsa_system_sgpr_workgroup_id_z 1
		.amdhsa_system_sgpr_workgroup_info 0
		.amdhsa_system_vgpr_workitem_id 0
		.amdhsa_next_free_vgpr 23
		.amdhsa_next_free_sgpr 36
		.amdhsa_reserve_vcc 1
		.amdhsa_reserve_flat_scratch 0
		.amdhsa_float_round_mode_32 0
		.amdhsa_float_round_mode_16_64 0
		.amdhsa_float_denorm_mode_32 3
		.amdhsa_float_denorm_mode_16_64 3
		.amdhsa_dx10_clamp 1
		.amdhsa_ieee_mode 1
		.amdhsa_fp16_overflow 0
		.amdhsa_workgroup_processor_mode 1
		.amdhsa_memory_ordered 1
		.amdhsa_forward_progress 1
		.amdhsa_shared_vgpr_count 0
		.amdhsa_exception_fp_ieee_invalid_op 0
		.amdhsa_exception_fp_denorm_src 0
		.amdhsa_exception_fp_ieee_div_zero 0
		.amdhsa_exception_fp_ieee_overflow 0
		.amdhsa_exception_fp_ieee_underflow 0
		.amdhsa_exception_fp_ieee_inexact 0
		.amdhsa_exception_int_div_zero 0
	.end_amdhsa_kernel
	.section	.text._ZL13mul_mat_vec_fI6__halfS0_Li5ELi128ELb0ELb0EEvPKT_PKfPKi31ggml_cuda_mm_fusion_args_devicePfi15HIP_vector_typeIjLj3EEiiiSB_iiiSB_iiii,"axG",@progbits,_ZL13mul_mat_vec_fI6__halfS0_Li5ELi128ELb0ELb0EEvPKT_PKfPKi31ggml_cuda_mm_fusion_args_devicePfi15HIP_vector_typeIjLj3EEiiiSB_iiiSB_iiii,comdat
.Lfunc_end147:
	.size	_ZL13mul_mat_vec_fI6__halfS0_Li5ELi128ELb0ELb0EEvPKT_PKfPKi31ggml_cuda_mm_fusion_args_devicePfi15HIP_vector_typeIjLj3EEiiiSB_iiiSB_iiii, .Lfunc_end147-_ZL13mul_mat_vec_fI6__halfS0_Li5ELi128ELb0ELb0EEvPKT_PKfPKi31ggml_cuda_mm_fusion_args_devicePfi15HIP_vector_typeIjLj3EEiiiSB_iiiSB_iiii
                                        ; -- End function
	.set _ZL13mul_mat_vec_fI6__halfS0_Li5ELi128ELb0ELb0EEvPKT_PKfPKi31ggml_cuda_mm_fusion_args_devicePfi15HIP_vector_typeIjLj3EEiiiSB_iiiSB_iiii.num_vgpr, 23
	.set _ZL13mul_mat_vec_fI6__halfS0_Li5ELi128ELb0ELb0EEvPKT_PKfPKi31ggml_cuda_mm_fusion_args_devicePfi15HIP_vector_typeIjLj3EEiiiSB_iiiSB_iiii.num_agpr, 0
	.set _ZL13mul_mat_vec_fI6__halfS0_Li5ELi128ELb0ELb0EEvPKT_PKfPKi31ggml_cuda_mm_fusion_args_devicePfi15HIP_vector_typeIjLj3EEiiiSB_iiiSB_iiii.numbered_sgpr, 36
	.set _ZL13mul_mat_vec_fI6__halfS0_Li5ELi128ELb0ELb0EEvPKT_PKfPKi31ggml_cuda_mm_fusion_args_devicePfi15HIP_vector_typeIjLj3EEiiiSB_iiiSB_iiii.num_named_barrier, 0
	.set _ZL13mul_mat_vec_fI6__halfS0_Li5ELi128ELb0ELb0EEvPKT_PKfPKi31ggml_cuda_mm_fusion_args_devicePfi15HIP_vector_typeIjLj3EEiiiSB_iiiSB_iiii.private_seg_size, 0
	.set _ZL13mul_mat_vec_fI6__halfS0_Li5ELi128ELb0ELb0EEvPKT_PKfPKi31ggml_cuda_mm_fusion_args_devicePfi15HIP_vector_typeIjLj3EEiiiSB_iiiSB_iiii.uses_vcc, 1
	.set _ZL13mul_mat_vec_fI6__halfS0_Li5ELi128ELb0ELb0EEvPKT_PKfPKi31ggml_cuda_mm_fusion_args_devicePfi15HIP_vector_typeIjLj3EEiiiSB_iiiSB_iiii.uses_flat_scratch, 0
	.set _ZL13mul_mat_vec_fI6__halfS0_Li5ELi128ELb0ELb0EEvPKT_PKfPKi31ggml_cuda_mm_fusion_args_devicePfi15HIP_vector_typeIjLj3EEiiiSB_iiiSB_iiii.has_dyn_sized_stack, 0
	.set _ZL13mul_mat_vec_fI6__halfS0_Li5ELi128ELb0ELb0EEvPKT_PKfPKi31ggml_cuda_mm_fusion_args_devicePfi15HIP_vector_typeIjLj3EEiiiSB_iiiSB_iiii.has_recursion, 0
	.set _ZL13mul_mat_vec_fI6__halfS0_Li5ELi128ELb0ELb0EEvPKT_PKfPKi31ggml_cuda_mm_fusion_args_devicePfi15HIP_vector_typeIjLj3EEiiiSB_iiiSB_iiii.has_indirect_call, 0
	.section	.AMDGPU.csdata,"",@progbits
; Kernel info:
; codeLenInByte = 2364
; TotalNumSgprs: 38
; NumVgprs: 23
; ScratchSize: 0
; MemoryBound: 0
; FloatMode: 240
; IeeeMode: 1
; LDSByteSize: 0 bytes/workgroup (compile time only)
; SGPRBlocks: 0
; VGPRBlocks: 2
; NumSGPRsForWavesPerEU: 38
; NumVGPRsForWavesPerEU: 23
; Occupancy: 16
; WaveLimiterHint : 0
; COMPUTE_PGM_RSRC2:SCRATCH_EN: 0
; COMPUTE_PGM_RSRC2:USER_SGPR: 6
; COMPUTE_PGM_RSRC2:TRAP_HANDLER: 0
; COMPUTE_PGM_RSRC2:TGID_X_EN: 1
; COMPUTE_PGM_RSRC2:TGID_Y_EN: 1
; COMPUTE_PGM_RSRC2:TGID_Z_EN: 1
; COMPUTE_PGM_RSRC2:TIDIG_COMP_CNT: 0
	.section	.text._ZL13mul_mat_vec_fI6__halfS0_Li5ELi160ELb0ELb0EEvPKT_PKfPKi31ggml_cuda_mm_fusion_args_devicePfi15HIP_vector_typeIjLj3EEiiiSB_iiiSB_iiii,"axG",@progbits,_ZL13mul_mat_vec_fI6__halfS0_Li5ELi160ELb0ELb0EEvPKT_PKfPKi31ggml_cuda_mm_fusion_args_devicePfi15HIP_vector_typeIjLj3EEiiiSB_iiiSB_iiii,comdat
	.globl	_ZL13mul_mat_vec_fI6__halfS0_Li5ELi160ELb0ELb0EEvPKT_PKfPKi31ggml_cuda_mm_fusion_args_devicePfi15HIP_vector_typeIjLj3EEiiiSB_iiiSB_iiii ; -- Begin function _ZL13mul_mat_vec_fI6__halfS0_Li5ELi160ELb0ELb0EEvPKT_PKfPKi31ggml_cuda_mm_fusion_args_devicePfi15HIP_vector_typeIjLj3EEiiiSB_iiiSB_iiii
	.p2align	8
	.type	_ZL13mul_mat_vec_fI6__halfS0_Li5ELi160ELb0ELb0EEvPKT_PKfPKi31ggml_cuda_mm_fusion_args_devicePfi15HIP_vector_typeIjLj3EEiiiSB_iiiSB_iiii,@function
_ZL13mul_mat_vec_fI6__halfS0_Li5ELi160ELb0ELb0EEvPKT_PKfPKi31ggml_cuda_mm_fusion_args_devicePfi15HIP_vector_typeIjLj3EEiiiSB_iiiSB_iiii: ; @_ZL13mul_mat_vec_fI6__halfS0_Li5ELi160ELb0ELb0EEvPKT_PKfPKi31ggml_cuda_mm_fusion_args_devicePfi15HIP_vector_typeIjLj3EEiiiSB_iiiSB_iiii
; %bb.0:
	s_clause 0x2
	s_load_dwordx2 s[0:1], s[4:5], 0x10
	s_load_dwordx8 s[12:19], s[4:5], 0x40
	s_load_dwordx4 s[20:23], s[4:5], 0x80
	s_waitcnt lgkmcnt(0)
	s_cmp_eq_u64 s[0:1], 0
	s_cselect_b32 s10, -1, 0
	s_cmp_lg_u64 s[0:1], 0
	s_cselect_b32 s11, -1, 0
	s_and_b32 vcc_lo, exec_lo, s10
	s_cbranch_vccnz .LBB148_2
; %bb.1:
	s_mul_i32 s2, s23, s8
	s_mov_b32 s3, 0
	s_add_i32 s2, s2, s7
	s_lshl_b64 s[24:25], s[2:3], 2
	s_add_u32 s0, s0, s24
	s_addc_u32 s1, s1, s25
	s_load_dword s9, s[0:1], 0x0
	s_cbranch_execz .LBB148_3
	s_branch .LBB148_4
.LBB148_2:
                                        ; implicit-def: $sgpr9
.LBB148_3:
	s_load_dwordx2 s[0:1], s[4:5], 0x5c
	s_waitcnt lgkmcnt(0)
	s_mul_hi_u32 s0, s0, s7
	s_add_i32 s0, s7, s0
	s_lshr_b32 s9, s0, s1
.LBB148_4:
	s_load_dwordx4 s[24:27], s[4:5], 0x68
	s_andn2_b32 vcc_lo, exec_lo, s11
	s_mov_b32 s19, s7
	s_cbranch_vccnz .LBB148_6
; %bb.5:
	s_mul_hi_u32 s0, s13, s7
	s_add_i32 s0, s7, s0
	s_lshr_b32 s0, s0, s14
	s_mul_i32 s0, s0, s15
	s_sub_i32 s19, s7, s0
.LBB148_6:
	s_load_dword s13, s[4:5], 0x78
	v_cmp_gt_u32_e32 vcc_lo, 32, v0
	v_lshl_add_u32 v5, v0, 2, 0
	s_and_saveexec_b32 s0, vcc_lo
; %bb.7:
	v_mov_b32_e32 v1, 0
	ds_write_b32 v5, v1
; %bb.8:
	s_or_b32 exec_lo, exec_lo, s0
	v_mov_b32_e32 v10, 0
	v_mov_b32_e32 v9, 0
	;; [unrolled: 1-line block ×5, first 2 shown]
	s_and_b32 s0, exec_lo, s10
	s_cselect_b32 s10, s8, 0
	s_mov_b32 s11, exec_lo
	s_waitcnt lgkmcnt(0)
	s_barrier
	buffer_gl0_inv
	v_cmpx_gt_i32_e64 s12, v0
	s_cbranch_execz .LBB148_12
; %bb.9:
	s_load_dwordx4 s[0:3], s[4:5], 0x0
	s_mul_hi_u32 s23, s27, s10
	s_mul_hi_i32 s15, s21, s10
	s_mul_i32 s14, s21, s10
	s_mul_i32 s8, s9, s24
	;; [unrolled: 1-line block ×4, first 2 shown]
	s_add_i32 s16, s10, s23
	s_lshl_b64 s[34:35], s[14:15], 2
	s_ashr_i32 s9, s8, 31
	s_ashr_i32 s25, s24, 31
	;; [unrolled: 1-line block ×3, first 2 shown]
	s_lshr_b32 s13, s16, s13
	s_mov_b32 s30, s17
	s_mul_hi_i32 s21, s13, s20
	s_mul_i32 s20, s13, s20
	v_lshlrev_b32_e32 v2, 3, v0
	v_lshlrev_b32_e32 v1, 2, v0
	v_mov_b32_e32 v6, 0
	v_mov_b32_e32 v7, 0
	s_waitcnt lgkmcnt(0)
	s_add_u32 s14, s2, s34
	s_addc_u32 s15, s3, s35
	s_lshl_b64 s[28:29], s[28:29], 2
	v_mov_b32_e32 v8, 0
	s_add_u32 s13, s14, s28
	s_addc_u32 s14, s15, s29
	s_lshl_b64 s[8:9], s[8:9], 1
	s_ashr_i32 s31, s17, 31
	s_add_i32 s15, s17, s17
	s_lshl_b32 s16, s17, 2
	s_lshl_b64 s[20:21], s[20:21], 1
	s_lshl_b64 s[24:25], s[24:25], 1
	s_add_u32 s0, s0, s8
	s_addc_u32 s1, s1, s9
	s_add_u32 s0, s0, s24
	s_addc_u32 s1, s1, s25
	;; [unrolled: 2-line block ×3, first 2 shown]
	s_lshl_b64 s[8:9], s[30:31], 3
	s_add_u32 s2, s2, s28
	s_addc_u32 s3, s3, s29
	s_add_u32 s2, s2, s34
	s_addc_u32 s3, s3, s35
	v_add_co_u32 v3, s2, s2, v2
	v_add_co_ci_u32_e64 v4, null, s3, 0, s2
	v_add_co_u32 v1, s0, s0, v1
	v_add_co_ci_u32_e64 v2, null, s1, 0, s0
	;; [unrolled: 2-line block ×3, first 2 shown]
	v_mov_b32_e32 v9, 0
	v_mov_b32_e32 v10, 0
	;; [unrolled: 1-line block ×3, first 2 shown]
	s_mul_i32 s2, s17, 3
	s_mov_b32 s1, 0
.LBB148_10:                             ; =>This Inner Loop Header: Depth=1
	v_add_nc_u32_e32 v14, s15, v11
	v_add_nc_u32_e32 v18, s2, v11
	;; [unrolled: 1-line block ×3, first 2 shown]
	v_add_co_u32 v16, s0, v3, s8
	v_ashrrev_i32_e32 v15, 31, v14
	v_ashrrev_i32_e32 v19, 31, v18
	;; [unrolled: 1-line block ×3, first 2 shown]
	v_add_co_ci_u32_e64 v17, null, s9, v4, s0
	v_lshlrev_b64 v[14:15], 3, v[14:15]
	v_lshlrev_b64 v[18:19], 3, v[18:19]
	;; [unrolled: 1-line block ×3, first 2 shown]
	s_clause 0x1
	global_load_dwordx2 v[12:13], v[3:4], off offset:-4
	global_load_dwordx2 v[16:17], v[16:17], off offset:-4
	v_add_nc_u32_e32 v11, 0xa0, v11
	v_add_co_u32 v14, s0, s13, v14
	v_add_co_ci_u32_e64 v15, null, s14, v15, s0
	v_add_co_u32 v18, s0, s13, v18
	v_add_co_ci_u32_e64 v19, null, s14, v19, s0
	;; [unrolled: 2-line block ×3, first 2 shown]
	s_clause 0x2
	global_load_dwordx2 v[14:15], v[14:15], off
	global_load_dwordx2 v[18:19], v[18:19], off
	;; [unrolled: 1-line block ×3, first 2 shown]
	global_load_dword v22, v[1:2], off
	v_add_co_u32 v1, s0, 0x280, v1
	v_add_co_ci_u32_e64 v2, null, 0, v2, s0
	v_add_co_u32 v3, s0, 0x500, v3
	v_add_co_ci_u32_e64 v4, null, 0, v4, s0
	v_cmp_le_i32_e64 s0, s12, v11
	s_or_b32 s1, s0, s1
	s_waitcnt vmcnt(5)
	v_cvt_f16_f32_e32 v12, v12
	v_cvt_f16_f32_e32 v13, v13
	s_waitcnt vmcnt(4)
	v_cvt_f16_f32_e32 v16, v16
	v_cvt_f16_f32_e32 v17, v17
	v_pack_b32_f16 v12, v12, v13
	v_pack_b32_f16 v13, v16, v17
	s_waitcnt vmcnt(3)
	v_cvt_f16_f32_e32 v14, v14
	v_cvt_f16_f32_e32 v15, v15
	s_waitcnt vmcnt(2)
	v_cvt_f16_f32_e32 v18, v18
	v_cvt_f16_f32_e32 v19, v19
	;; [unrolled: 3-line block ×3, first 2 shown]
	v_pack_b32_f16 v14, v14, v15
	s_waitcnt vmcnt(0)
	v_pk_fma_f16 v10, v22, v12, v10
	v_pack_b32_f16 v15, v18, v19
	v_pk_fma_f16 v9, v22, v13, v9
	v_pack_b32_f16 v16, v20, v21
	v_pk_fma_f16 v8, v22, v14, v8
	v_pk_fma_f16 v7, v22, v15, v7
	;; [unrolled: 1-line block ×3, first 2 shown]
	s_andn2_b32 exec_lo, exec_lo, s1
	s_cbranch_execnz .LBB148_10
; %bb.11:
	s_or_b32 exec_lo, exec_lo, s1
.LBB148_12:
	s_or_b32 exec_lo, exec_lo, s11
	v_mbcnt_lo_u32_b32 v2, -1, 0
	v_cvt_f32_f16_e32 v3, v10
	v_cvt_f32_f16_sdwa v4, v10 dst_sel:DWORD dst_unused:UNUSED_PAD src0_sel:WORD_1
	v_cvt_f32_f16_e32 v15, v9
	v_cvt_f32_f16_sdwa v16, v9 dst_sel:DWORD dst_unused:UNUSED_PAD src0_sel:WORD_1
	v_xor_b32_e32 v1, 16, v2
	v_cvt_f32_f16_sdwa v14, v8 dst_sel:DWORD dst_unused:UNUSED_PAD src0_sel:WORD_1
	v_add_f32_e32 v4, v3, v4
	v_xor_b32_e32 v3, 8, v2
	v_cmp_gt_i32_e64 s0, 32, v1
	v_cndmask_b32_e64 v1, v2, v1, s0
	v_cmp_gt_i32_e64 s0, 32, v3
	v_lshlrev_b32_e32 v1, 2, v1
	v_cndmask_b32_e64 v3, v2, v3, s0
	ds_bpermute_b32 v10, v1, v4
	v_lshlrev_b32_e32 v3, 2, v3
	s_waitcnt lgkmcnt(0)
	v_add_f32_e32 v10, v4, v10
	v_xor_b32_e32 v4, 4, v2
	ds_bpermute_b32 v11, v3, v10
	v_cmp_gt_i32_e64 s0, 32, v4
	v_cndmask_b32_e64 v4, v2, v4, s0
	v_lshlrev_b32_e32 v4, 2, v4
	s_waitcnt lgkmcnt(0)
	v_add_f32_e32 v11, v10, v11
	v_xor_b32_e32 v10, 2, v2
	ds_bpermute_b32 v12, v4, v11
	v_cmp_gt_i32_e64 s0, 32, v10
	v_cndmask_b32_e64 v10, v2, v10, s0
	;; [unrolled: 7-line block ×3, first 2 shown]
	v_lshlrev_b32_e32 v11, 2, v2
	s_waitcnt lgkmcnt(0)
	v_add_f32_e32 v2, v12, v13
	v_lshrrev_b32_e32 v13, 3, v0
	ds_bpermute_b32 v12, v11, v2
	v_and_b32_e32 v13, 0x7c, v13
	v_add_nc_u32_e32 v9, 0, v13
	s_waitcnt lgkmcnt(0)
	v_add_f32_e32 v2, v2, v12
	v_cvt_f32_f16_e32 v12, v8
	v_add_f32_e32 v8, v15, v16
	ds_write_b32 v9, v2
	s_waitcnt lgkmcnt(0)
	s_barrier
	buffer_gl0_inv
	s_and_saveexec_b32 s0, vcc_lo
	s_cbranch_execz .LBB148_14
; %bb.13:
	ds_read_b32 v2, v5
	s_waitcnt lgkmcnt(0)
	ds_bpermute_b32 v13, v1, v2
	s_waitcnt lgkmcnt(0)
	v_add_f32_e32 v2, v2, v13
	ds_bpermute_b32 v13, v3, v2
	s_waitcnt lgkmcnt(0)
	v_add_f32_e32 v2, v2, v13
	;; [unrolled: 3-line block ×5, first 2 shown]
.LBB148_14:
	s_or_b32 exec_lo, exec_lo, s0
	ds_bpermute_b32 v13, v1, v8
	v_add_f32_e32 v12, v12, v14
	s_waitcnt lgkmcnt(0)
	s_barrier
	buffer_gl0_inv
	v_add_f32_e32 v8, v8, v13
	ds_bpermute_b32 v13, v3, v8
	s_waitcnt lgkmcnt(0)
	v_add_f32_e32 v8, v8, v13
	ds_bpermute_b32 v13, v4, v8
	s_waitcnt lgkmcnt(0)
	;; [unrolled: 3-line block ×3, first 2 shown]
	v_add_f32_e32 v15, v8, v13
	v_cvt_f32_f16_e32 v8, v7
	v_cvt_f32_f16_sdwa v13, v7 dst_sel:DWORD dst_unused:UNUSED_PAD src0_sel:WORD_1
	ds_bpermute_b32 v16, v11, v15
	s_waitcnt lgkmcnt(0)
	v_add_f32_e32 v7, v15, v16
	ds_write_b32 v9, v7
	s_waitcnt lgkmcnt(0)
	s_barrier
	buffer_gl0_inv
	s_and_saveexec_b32 s0, vcc_lo
	s_cbranch_execz .LBB148_16
; %bb.15:
	ds_read_b32 v7, v5
	s_waitcnt lgkmcnt(0)
	ds_bpermute_b32 v14, v1, v7
	s_waitcnt lgkmcnt(0)
	v_add_f32_e32 v7, v7, v14
	ds_bpermute_b32 v14, v3, v7
	s_waitcnt lgkmcnt(0)
	v_add_f32_e32 v7, v7, v14
	;; [unrolled: 3-line block ×5, first 2 shown]
.LBB148_16:
	s_or_b32 exec_lo, exec_lo, s0
	ds_bpermute_b32 v14, v1, v12
	v_add_f32_e32 v8, v8, v13
	s_waitcnt lgkmcnt(0)
	s_barrier
	buffer_gl0_inv
	v_add_f32_e32 v12, v12, v14
	ds_bpermute_b32 v14, v3, v12
	s_waitcnt lgkmcnt(0)
	v_add_f32_e32 v12, v12, v14
	ds_bpermute_b32 v14, v4, v12
	s_waitcnt lgkmcnt(0)
	;; [unrolled: 3-line block ×3, first 2 shown]
	v_add_f32_e32 v15, v12, v14
	v_cvt_f32_f16_e32 v12, v6
	v_cvt_f32_f16_sdwa v14, v6 dst_sel:DWORD dst_unused:UNUSED_PAD src0_sel:WORD_1
	ds_bpermute_b32 v16, v11, v15
	s_waitcnt lgkmcnt(0)
	v_add_f32_e32 v6, v15, v16
	ds_write_b32 v9, v6
	s_waitcnt lgkmcnt(0)
	s_barrier
	buffer_gl0_inv
	s_and_saveexec_b32 s0, vcc_lo
	s_cbranch_execz .LBB148_18
; %bb.17:
	ds_read_b32 v6, v5
	s_waitcnt lgkmcnt(0)
	ds_bpermute_b32 v13, v1, v6
	s_waitcnt lgkmcnt(0)
	v_add_f32_e32 v6, v6, v13
	ds_bpermute_b32 v13, v3, v6
	s_waitcnt lgkmcnt(0)
	v_add_f32_e32 v6, v6, v13
	ds_bpermute_b32 v13, v4, v6
	s_waitcnt lgkmcnt(0)
	v_add_f32_e32 v6, v6, v13
	ds_bpermute_b32 v13, v10, v6
	s_waitcnt lgkmcnt(0)
	v_add_f32_e32 v6, v6, v13
	ds_bpermute_b32 v13, v11, v6
	s_waitcnt lgkmcnt(0)
	v_add_f32_e32 v6, v6, v13
.LBB148_18:
	s_or_b32 exec_lo, exec_lo, s0
	ds_bpermute_b32 v13, v1, v8
	v_add_f32_e32 v12, v12, v14
	s_waitcnt lgkmcnt(0)
	s_barrier
	buffer_gl0_inv
	v_add_f32_e32 v8, v8, v13
	ds_bpermute_b32 v13, v3, v8
	s_waitcnt lgkmcnt(0)
	v_add_f32_e32 v8, v8, v13
	ds_bpermute_b32 v13, v4, v8
	s_waitcnt lgkmcnt(0)
	;; [unrolled: 3-line block ×4, first 2 shown]
	v_add_f32_e32 v8, v8, v13
	ds_write_b32 v9, v8
	s_waitcnt lgkmcnt(0)
	s_barrier
	buffer_gl0_inv
	s_and_saveexec_b32 s0, vcc_lo
	s_cbranch_execz .LBB148_20
; %bb.19:
	ds_read_b32 v8, v5
	s_waitcnt lgkmcnt(0)
	ds_bpermute_b32 v13, v1, v8
	s_waitcnt lgkmcnt(0)
	v_add_f32_e32 v8, v8, v13
	ds_bpermute_b32 v13, v3, v8
	s_waitcnt lgkmcnt(0)
	v_add_f32_e32 v8, v8, v13
	;; [unrolled: 3-line block ×5, first 2 shown]
.LBB148_20:
	s_or_b32 exec_lo, exec_lo, s0
	ds_bpermute_b32 v13, v1, v12
	s_waitcnt lgkmcnt(0)
	s_barrier
	buffer_gl0_inv
	v_add_f32_e32 v12, v12, v13
	ds_bpermute_b32 v13, v3, v12
	s_waitcnt lgkmcnt(0)
	v_add_f32_e32 v12, v12, v13
	ds_bpermute_b32 v13, v4, v12
	s_waitcnt lgkmcnt(0)
	;; [unrolled: 3-line block ×4, first 2 shown]
	v_add_f32_e32 v12, v12, v13
	ds_write_b32 v9, v12
	s_waitcnt lgkmcnt(0)
	s_barrier
	buffer_gl0_inv
	s_and_saveexec_b32 s0, vcc_lo
	s_cbranch_execz .LBB148_22
; %bb.21:
	ds_read_b32 v5, v5
	s_waitcnt lgkmcnt(0)
	ds_bpermute_b32 v1, v1, v5
	s_waitcnt lgkmcnt(0)
	v_add_f32_e32 v1, v5, v1
	ds_bpermute_b32 v3, v3, v1
	s_waitcnt lgkmcnt(0)
	v_add_f32_e32 v1, v1, v3
	;; [unrolled: 3-line block ×5, first 2 shown]
.LBB148_22:
	s_or_b32 exec_lo, exec_lo, s0
	s_barrier
	buffer_gl0_inv
	s_mov_b32 s0, exec_lo
	v_cmpx_gt_u32_e32 5, v0
	s_cbranch_execz .LBB148_24
; %bb.23:
	s_load_dwordx2 s[0:1], s[4:5], 0x38
	v_cmp_eq_u32_e32 vcc_lo, 1, v0
	v_mad_u64_u32 v[3:4], null, s18, v0, s[6:7]
	s_mul_hi_i32 s3, s22, s10
	s_mul_i32 s2, s22, s10
	v_cndmask_b32_e32 v1, v2, v7, vcc_lo
	v_cmp_eq_u32_e32 vcc_lo, 2, v0
	s_mul_i32 s4, s26, s7
	s_lshl_b64 s[2:3], s[2:3], 2
	v_ashrrev_i32_e32 v4, 31, v3
	s_ashr_i32 s5, s4, 31
	v_cndmask_b32_e32 v1, v1, v6, vcc_lo
	v_cmp_eq_u32_e32 vcc_lo, 3, v0
	v_cndmask_b32_e32 v5, v1, v8, vcc_lo
	v_lshlrev_b64 v[1:2], 2, v[3:4]
	s_waitcnt lgkmcnt(0)
	s_add_u32 s2, s0, s2
	v_cmp_eq_u32_e32 vcc_lo, 4, v0
	s_addc_u32 s3, s1, s3
	s_lshl_b64 s[0:1], s[4:5], 2
	s_add_u32 s0, s2, s0
	v_cndmask_b32_e32 v3, v5, v12, vcc_lo
	s_addc_u32 s1, s3, s1
	v_add_co_u32 v0, vcc_lo, s0, v1
	v_add_co_ci_u32_e64 v1, null, s1, v2, vcc_lo
	global_store_dword v[0:1], v3, off
.LBB148_24:
	s_endpgm
	.section	.rodata,"a",@progbits
	.p2align	6, 0x0
	.amdhsa_kernel _ZL13mul_mat_vec_fI6__halfS0_Li5ELi160ELb0ELb0EEvPKT_PKfPKi31ggml_cuda_mm_fusion_args_devicePfi15HIP_vector_typeIjLj3EEiiiSB_iiiSB_iiii
		.amdhsa_group_segment_fixed_size 0
		.amdhsa_private_segment_fixed_size 0
		.amdhsa_kernarg_size 144
		.amdhsa_user_sgpr_count 6
		.amdhsa_user_sgpr_private_segment_buffer 1
		.amdhsa_user_sgpr_dispatch_ptr 0
		.amdhsa_user_sgpr_queue_ptr 0
		.amdhsa_user_sgpr_kernarg_segment_ptr 1
		.amdhsa_user_sgpr_dispatch_id 0
		.amdhsa_user_sgpr_flat_scratch_init 0
		.amdhsa_user_sgpr_private_segment_size 0
		.amdhsa_wavefront_size32 1
		.amdhsa_uses_dynamic_stack 0
		.amdhsa_system_sgpr_private_segment_wavefront_offset 0
		.amdhsa_system_sgpr_workgroup_id_x 1
		.amdhsa_system_sgpr_workgroup_id_y 1
		.amdhsa_system_sgpr_workgroup_id_z 1
		.amdhsa_system_sgpr_workgroup_info 0
		.amdhsa_system_vgpr_workitem_id 0
		.amdhsa_next_free_vgpr 23
		.amdhsa_next_free_sgpr 36
		.amdhsa_reserve_vcc 1
		.amdhsa_reserve_flat_scratch 0
		.amdhsa_float_round_mode_32 0
		.amdhsa_float_round_mode_16_64 0
		.amdhsa_float_denorm_mode_32 3
		.amdhsa_float_denorm_mode_16_64 3
		.amdhsa_dx10_clamp 1
		.amdhsa_ieee_mode 1
		.amdhsa_fp16_overflow 0
		.amdhsa_workgroup_processor_mode 1
		.amdhsa_memory_ordered 1
		.amdhsa_forward_progress 1
		.amdhsa_shared_vgpr_count 0
		.amdhsa_exception_fp_ieee_invalid_op 0
		.amdhsa_exception_fp_denorm_src 0
		.amdhsa_exception_fp_ieee_div_zero 0
		.amdhsa_exception_fp_ieee_overflow 0
		.amdhsa_exception_fp_ieee_underflow 0
		.amdhsa_exception_fp_ieee_inexact 0
		.amdhsa_exception_int_div_zero 0
	.end_amdhsa_kernel
	.section	.text._ZL13mul_mat_vec_fI6__halfS0_Li5ELi160ELb0ELb0EEvPKT_PKfPKi31ggml_cuda_mm_fusion_args_devicePfi15HIP_vector_typeIjLj3EEiiiSB_iiiSB_iiii,"axG",@progbits,_ZL13mul_mat_vec_fI6__halfS0_Li5ELi160ELb0ELb0EEvPKT_PKfPKi31ggml_cuda_mm_fusion_args_devicePfi15HIP_vector_typeIjLj3EEiiiSB_iiiSB_iiii,comdat
.Lfunc_end148:
	.size	_ZL13mul_mat_vec_fI6__halfS0_Li5ELi160ELb0ELb0EEvPKT_PKfPKi31ggml_cuda_mm_fusion_args_devicePfi15HIP_vector_typeIjLj3EEiiiSB_iiiSB_iiii, .Lfunc_end148-_ZL13mul_mat_vec_fI6__halfS0_Li5ELi160ELb0ELb0EEvPKT_PKfPKi31ggml_cuda_mm_fusion_args_devicePfi15HIP_vector_typeIjLj3EEiiiSB_iiiSB_iiii
                                        ; -- End function
	.set _ZL13mul_mat_vec_fI6__halfS0_Li5ELi160ELb0ELb0EEvPKT_PKfPKi31ggml_cuda_mm_fusion_args_devicePfi15HIP_vector_typeIjLj3EEiiiSB_iiiSB_iiii.num_vgpr, 23
	.set _ZL13mul_mat_vec_fI6__halfS0_Li5ELi160ELb0ELb0EEvPKT_PKfPKi31ggml_cuda_mm_fusion_args_devicePfi15HIP_vector_typeIjLj3EEiiiSB_iiiSB_iiii.num_agpr, 0
	.set _ZL13mul_mat_vec_fI6__halfS0_Li5ELi160ELb0ELb0EEvPKT_PKfPKi31ggml_cuda_mm_fusion_args_devicePfi15HIP_vector_typeIjLj3EEiiiSB_iiiSB_iiii.numbered_sgpr, 36
	.set _ZL13mul_mat_vec_fI6__halfS0_Li5ELi160ELb0ELb0EEvPKT_PKfPKi31ggml_cuda_mm_fusion_args_devicePfi15HIP_vector_typeIjLj3EEiiiSB_iiiSB_iiii.num_named_barrier, 0
	.set _ZL13mul_mat_vec_fI6__halfS0_Li5ELi160ELb0ELb0EEvPKT_PKfPKi31ggml_cuda_mm_fusion_args_devicePfi15HIP_vector_typeIjLj3EEiiiSB_iiiSB_iiii.private_seg_size, 0
	.set _ZL13mul_mat_vec_fI6__halfS0_Li5ELi160ELb0ELb0EEvPKT_PKfPKi31ggml_cuda_mm_fusion_args_devicePfi15HIP_vector_typeIjLj3EEiiiSB_iiiSB_iiii.uses_vcc, 1
	.set _ZL13mul_mat_vec_fI6__halfS0_Li5ELi160ELb0ELb0EEvPKT_PKfPKi31ggml_cuda_mm_fusion_args_devicePfi15HIP_vector_typeIjLj3EEiiiSB_iiiSB_iiii.uses_flat_scratch, 0
	.set _ZL13mul_mat_vec_fI6__halfS0_Li5ELi160ELb0ELb0EEvPKT_PKfPKi31ggml_cuda_mm_fusion_args_devicePfi15HIP_vector_typeIjLj3EEiiiSB_iiiSB_iiii.has_dyn_sized_stack, 0
	.set _ZL13mul_mat_vec_fI6__halfS0_Li5ELi160ELb0ELb0EEvPKT_PKfPKi31ggml_cuda_mm_fusion_args_devicePfi15HIP_vector_typeIjLj3EEiiiSB_iiiSB_iiii.has_recursion, 0
	.set _ZL13mul_mat_vec_fI6__halfS0_Li5ELi160ELb0ELb0EEvPKT_PKfPKi31ggml_cuda_mm_fusion_args_devicePfi15HIP_vector_typeIjLj3EEiiiSB_iiiSB_iiii.has_indirect_call, 0
	.section	.AMDGPU.csdata,"",@progbits
; Kernel info:
; codeLenInByte = 2364
; TotalNumSgprs: 38
; NumVgprs: 23
; ScratchSize: 0
; MemoryBound: 0
; FloatMode: 240
; IeeeMode: 1
; LDSByteSize: 0 bytes/workgroup (compile time only)
; SGPRBlocks: 0
; VGPRBlocks: 2
; NumSGPRsForWavesPerEU: 38
; NumVGPRsForWavesPerEU: 23
; Occupancy: 16
; WaveLimiterHint : 0
; COMPUTE_PGM_RSRC2:SCRATCH_EN: 0
; COMPUTE_PGM_RSRC2:USER_SGPR: 6
; COMPUTE_PGM_RSRC2:TRAP_HANDLER: 0
; COMPUTE_PGM_RSRC2:TGID_X_EN: 1
; COMPUTE_PGM_RSRC2:TGID_Y_EN: 1
; COMPUTE_PGM_RSRC2:TGID_Z_EN: 1
; COMPUTE_PGM_RSRC2:TIDIG_COMP_CNT: 0
	.section	.text._ZL13mul_mat_vec_fI6__halfS0_Li5ELi192ELb0ELb0EEvPKT_PKfPKi31ggml_cuda_mm_fusion_args_devicePfi15HIP_vector_typeIjLj3EEiiiSB_iiiSB_iiii,"axG",@progbits,_ZL13mul_mat_vec_fI6__halfS0_Li5ELi192ELb0ELb0EEvPKT_PKfPKi31ggml_cuda_mm_fusion_args_devicePfi15HIP_vector_typeIjLj3EEiiiSB_iiiSB_iiii,comdat
	.globl	_ZL13mul_mat_vec_fI6__halfS0_Li5ELi192ELb0ELb0EEvPKT_PKfPKi31ggml_cuda_mm_fusion_args_devicePfi15HIP_vector_typeIjLj3EEiiiSB_iiiSB_iiii ; -- Begin function _ZL13mul_mat_vec_fI6__halfS0_Li5ELi192ELb0ELb0EEvPKT_PKfPKi31ggml_cuda_mm_fusion_args_devicePfi15HIP_vector_typeIjLj3EEiiiSB_iiiSB_iiii
	.p2align	8
	.type	_ZL13mul_mat_vec_fI6__halfS0_Li5ELi192ELb0ELb0EEvPKT_PKfPKi31ggml_cuda_mm_fusion_args_devicePfi15HIP_vector_typeIjLj3EEiiiSB_iiiSB_iiii,@function
_ZL13mul_mat_vec_fI6__halfS0_Li5ELi192ELb0ELb0EEvPKT_PKfPKi31ggml_cuda_mm_fusion_args_devicePfi15HIP_vector_typeIjLj3EEiiiSB_iiiSB_iiii: ; @_ZL13mul_mat_vec_fI6__halfS0_Li5ELi192ELb0ELb0EEvPKT_PKfPKi31ggml_cuda_mm_fusion_args_devicePfi15HIP_vector_typeIjLj3EEiiiSB_iiiSB_iiii
; %bb.0:
	s_clause 0x2
	s_load_dwordx2 s[0:1], s[4:5], 0x10
	s_load_dwordx8 s[12:19], s[4:5], 0x40
	s_load_dwordx4 s[20:23], s[4:5], 0x80
	s_waitcnt lgkmcnt(0)
	s_cmp_eq_u64 s[0:1], 0
	s_cselect_b32 s10, -1, 0
	s_cmp_lg_u64 s[0:1], 0
	s_cselect_b32 s11, -1, 0
	s_and_b32 vcc_lo, exec_lo, s10
	s_cbranch_vccnz .LBB149_2
; %bb.1:
	s_mul_i32 s2, s23, s8
	s_mov_b32 s3, 0
	s_add_i32 s2, s2, s7
	s_lshl_b64 s[24:25], s[2:3], 2
	s_add_u32 s0, s0, s24
	s_addc_u32 s1, s1, s25
	s_load_dword s9, s[0:1], 0x0
	s_cbranch_execz .LBB149_3
	s_branch .LBB149_4
.LBB149_2:
                                        ; implicit-def: $sgpr9
.LBB149_3:
	s_load_dwordx2 s[0:1], s[4:5], 0x5c
	s_waitcnt lgkmcnt(0)
	s_mul_hi_u32 s0, s0, s7
	s_add_i32 s0, s7, s0
	s_lshr_b32 s9, s0, s1
.LBB149_4:
	s_load_dwordx4 s[24:27], s[4:5], 0x68
	s_andn2_b32 vcc_lo, exec_lo, s11
	s_mov_b32 s19, s7
	s_cbranch_vccnz .LBB149_6
; %bb.5:
	s_mul_hi_u32 s0, s13, s7
	s_add_i32 s0, s7, s0
	s_lshr_b32 s0, s0, s14
	s_mul_i32 s0, s0, s15
	s_sub_i32 s19, s7, s0
.LBB149_6:
	s_load_dword s13, s[4:5], 0x78
	v_cmp_gt_u32_e32 vcc_lo, 32, v0
	v_lshl_add_u32 v5, v0, 2, 0
	s_and_saveexec_b32 s0, vcc_lo
; %bb.7:
	v_mov_b32_e32 v1, 0
	ds_write_b32 v5, v1
; %bb.8:
	s_or_b32 exec_lo, exec_lo, s0
	v_mov_b32_e32 v10, 0
	v_mov_b32_e32 v9, 0
	;; [unrolled: 1-line block ×5, first 2 shown]
	s_and_b32 s0, exec_lo, s10
	s_cselect_b32 s10, s8, 0
	s_mov_b32 s11, exec_lo
	s_waitcnt lgkmcnt(0)
	s_barrier
	buffer_gl0_inv
	v_cmpx_gt_i32_e64 s12, v0
	s_cbranch_execz .LBB149_12
; %bb.9:
	s_load_dwordx4 s[0:3], s[4:5], 0x0
	s_mul_hi_u32 s23, s27, s10
	s_mul_hi_i32 s15, s21, s10
	s_mul_i32 s14, s21, s10
	s_mul_i32 s8, s9, s24
	;; [unrolled: 1-line block ×4, first 2 shown]
	s_add_i32 s16, s10, s23
	s_lshl_b64 s[34:35], s[14:15], 2
	s_ashr_i32 s9, s8, 31
	s_ashr_i32 s25, s24, 31
	;; [unrolled: 1-line block ×3, first 2 shown]
	s_lshr_b32 s13, s16, s13
	s_mov_b32 s30, s17
	s_mul_hi_i32 s21, s13, s20
	s_mul_i32 s20, s13, s20
	v_lshlrev_b32_e32 v2, 3, v0
	v_lshlrev_b32_e32 v1, 2, v0
	v_mov_b32_e32 v6, 0
	v_mov_b32_e32 v7, 0
	s_waitcnt lgkmcnt(0)
	s_add_u32 s14, s2, s34
	s_addc_u32 s15, s3, s35
	s_lshl_b64 s[28:29], s[28:29], 2
	v_mov_b32_e32 v8, 0
	s_add_u32 s13, s14, s28
	s_addc_u32 s14, s15, s29
	s_lshl_b64 s[8:9], s[8:9], 1
	s_ashr_i32 s31, s17, 31
	s_add_i32 s15, s17, s17
	s_lshl_b32 s16, s17, 2
	s_lshl_b64 s[20:21], s[20:21], 1
	s_lshl_b64 s[24:25], s[24:25], 1
	s_add_u32 s0, s0, s8
	s_addc_u32 s1, s1, s9
	s_add_u32 s0, s0, s24
	s_addc_u32 s1, s1, s25
	;; [unrolled: 2-line block ×3, first 2 shown]
	s_lshl_b64 s[8:9], s[30:31], 3
	s_add_u32 s2, s2, s28
	s_addc_u32 s3, s3, s29
	s_add_u32 s2, s2, s34
	s_addc_u32 s3, s3, s35
	v_add_co_u32 v3, s2, s2, v2
	v_add_co_ci_u32_e64 v4, null, s3, 0, s2
	v_add_co_u32 v1, s0, s0, v1
	v_add_co_ci_u32_e64 v2, null, s1, 0, s0
	;; [unrolled: 2-line block ×3, first 2 shown]
	v_mov_b32_e32 v9, 0
	v_mov_b32_e32 v10, 0
	v_mov_b32_e32 v11, v0
	s_mul_i32 s2, s17, 3
	s_mov_b32 s1, 0
.LBB149_10:                             ; =>This Inner Loop Header: Depth=1
	v_add_nc_u32_e32 v14, s15, v11
	v_add_nc_u32_e32 v18, s2, v11
	;; [unrolled: 1-line block ×3, first 2 shown]
	v_add_co_u32 v16, s0, v3, s8
	v_ashrrev_i32_e32 v15, 31, v14
	v_ashrrev_i32_e32 v19, 31, v18
	v_ashrrev_i32_e32 v21, 31, v20
	v_add_co_ci_u32_e64 v17, null, s9, v4, s0
	v_lshlrev_b64 v[14:15], 3, v[14:15]
	v_lshlrev_b64 v[18:19], 3, v[18:19]
	;; [unrolled: 1-line block ×3, first 2 shown]
	s_clause 0x1
	global_load_dwordx2 v[12:13], v[3:4], off offset:-4
	global_load_dwordx2 v[16:17], v[16:17], off offset:-4
	v_add_nc_u32_e32 v11, 0xc0, v11
	v_add_co_u32 v14, s0, s13, v14
	v_add_co_ci_u32_e64 v15, null, s14, v15, s0
	v_add_co_u32 v18, s0, s13, v18
	v_add_co_ci_u32_e64 v19, null, s14, v19, s0
	;; [unrolled: 2-line block ×3, first 2 shown]
	s_clause 0x2
	global_load_dwordx2 v[14:15], v[14:15], off
	global_load_dwordx2 v[18:19], v[18:19], off
	global_load_dwordx2 v[20:21], v[20:21], off
	global_load_dword v22, v[1:2], off
	v_add_co_u32 v1, s0, 0x300, v1
	v_add_co_ci_u32_e64 v2, null, 0, v2, s0
	v_add_co_u32 v3, s0, 0x600, v3
	v_add_co_ci_u32_e64 v4, null, 0, v4, s0
	v_cmp_le_i32_e64 s0, s12, v11
	s_or_b32 s1, s0, s1
	s_waitcnt vmcnt(5)
	v_cvt_f16_f32_e32 v12, v12
	v_cvt_f16_f32_e32 v13, v13
	s_waitcnt vmcnt(4)
	v_cvt_f16_f32_e32 v16, v16
	v_cvt_f16_f32_e32 v17, v17
	v_pack_b32_f16 v12, v12, v13
	v_pack_b32_f16 v13, v16, v17
	s_waitcnt vmcnt(3)
	v_cvt_f16_f32_e32 v14, v14
	v_cvt_f16_f32_e32 v15, v15
	s_waitcnt vmcnt(2)
	v_cvt_f16_f32_e32 v18, v18
	v_cvt_f16_f32_e32 v19, v19
	;; [unrolled: 3-line block ×3, first 2 shown]
	v_pack_b32_f16 v14, v14, v15
	s_waitcnt vmcnt(0)
	v_pk_fma_f16 v10, v22, v12, v10
	v_pack_b32_f16 v15, v18, v19
	v_pk_fma_f16 v9, v22, v13, v9
	v_pack_b32_f16 v16, v20, v21
	v_pk_fma_f16 v8, v22, v14, v8
	v_pk_fma_f16 v7, v22, v15, v7
	;; [unrolled: 1-line block ×3, first 2 shown]
	s_andn2_b32 exec_lo, exec_lo, s1
	s_cbranch_execnz .LBB149_10
; %bb.11:
	s_or_b32 exec_lo, exec_lo, s1
.LBB149_12:
	s_or_b32 exec_lo, exec_lo, s11
	v_mbcnt_lo_u32_b32 v2, -1, 0
	v_cvt_f32_f16_e32 v3, v10
	v_cvt_f32_f16_sdwa v4, v10 dst_sel:DWORD dst_unused:UNUSED_PAD src0_sel:WORD_1
	v_cvt_f32_f16_e32 v15, v9
	v_cvt_f32_f16_sdwa v16, v9 dst_sel:DWORD dst_unused:UNUSED_PAD src0_sel:WORD_1
	v_xor_b32_e32 v1, 16, v2
	v_cvt_f32_f16_sdwa v14, v8 dst_sel:DWORD dst_unused:UNUSED_PAD src0_sel:WORD_1
	v_add_f32_e32 v4, v3, v4
	v_xor_b32_e32 v3, 8, v2
	v_cmp_gt_i32_e64 s0, 32, v1
	v_cndmask_b32_e64 v1, v2, v1, s0
	v_cmp_gt_i32_e64 s0, 32, v3
	v_lshlrev_b32_e32 v1, 2, v1
	v_cndmask_b32_e64 v3, v2, v3, s0
	ds_bpermute_b32 v10, v1, v4
	v_lshlrev_b32_e32 v3, 2, v3
	s_waitcnt lgkmcnt(0)
	v_add_f32_e32 v10, v4, v10
	v_xor_b32_e32 v4, 4, v2
	ds_bpermute_b32 v11, v3, v10
	v_cmp_gt_i32_e64 s0, 32, v4
	v_cndmask_b32_e64 v4, v2, v4, s0
	v_lshlrev_b32_e32 v4, 2, v4
	s_waitcnt lgkmcnt(0)
	v_add_f32_e32 v11, v10, v11
	v_xor_b32_e32 v10, 2, v2
	ds_bpermute_b32 v12, v4, v11
	v_cmp_gt_i32_e64 s0, 32, v10
	v_cndmask_b32_e64 v10, v2, v10, s0
	;; [unrolled: 7-line block ×3, first 2 shown]
	v_lshlrev_b32_e32 v11, 2, v2
	s_waitcnt lgkmcnt(0)
	v_add_f32_e32 v2, v12, v13
	v_lshrrev_b32_e32 v13, 3, v0
	ds_bpermute_b32 v12, v11, v2
	v_and_b32_e32 v13, 0x7c, v13
	v_add_nc_u32_e32 v9, 0, v13
	s_waitcnt lgkmcnt(0)
	v_add_f32_e32 v2, v2, v12
	v_cvt_f32_f16_e32 v12, v8
	v_add_f32_e32 v8, v15, v16
	ds_write_b32 v9, v2
	s_waitcnt lgkmcnt(0)
	s_barrier
	buffer_gl0_inv
	s_and_saveexec_b32 s0, vcc_lo
	s_cbranch_execz .LBB149_14
; %bb.13:
	ds_read_b32 v2, v5
	s_waitcnt lgkmcnt(0)
	ds_bpermute_b32 v13, v1, v2
	s_waitcnt lgkmcnt(0)
	v_add_f32_e32 v2, v2, v13
	ds_bpermute_b32 v13, v3, v2
	s_waitcnt lgkmcnt(0)
	v_add_f32_e32 v2, v2, v13
	;; [unrolled: 3-line block ×5, first 2 shown]
.LBB149_14:
	s_or_b32 exec_lo, exec_lo, s0
	ds_bpermute_b32 v13, v1, v8
	v_add_f32_e32 v12, v12, v14
	s_waitcnt lgkmcnt(0)
	s_barrier
	buffer_gl0_inv
	v_add_f32_e32 v8, v8, v13
	ds_bpermute_b32 v13, v3, v8
	s_waitcnt lgkmcnt(0)
	v_add_f32_e32 v8, v8, v13
	ds_bpermute_b32 v13, v4, v8
	s_waitcnt lgkmcnt(0)
	;; [unrolled: 3-line block ×3, first 2 shown]
	v_add_f32_e32 v15, v8, v13
	v_cvt_f32_f16_e32 v8, v7
	v_cvt_f32_f16_sdwa v13, v7 dst_sel:DWORD dst_unused:UNUSED_PAD src0_sel:WORD_1
	ds_bpermute_b32 v16, v11, v15
	s_waitcnt lgkmcnt(0)
	v_add_f32_e32 v7, v15, v16
	ds_write_b32 v9, v7
	s_waitcnt lgkmcnt(0)
	s_barrier
	buffer_gl0_inv
	s_and_saveexec_b32 s0, vcc_lo
	s_cbranch_execz .LBB149_16
; %bb.15:
	ds_read_b32 v7, v5
	s_waitcnt lgkmcnt(0)
	ds_bpermute_b32 v14, v1, v7
	s_waitcnt lgkmcnt(0)
	v_add_f32_e32 v7, v7, v14
	ds_bpermute_b32 v14, v3, v7
	s_waitcnt lgkmcnt(0)
	v_add_f32_e32 v7, v7, v14
	;; [unrolled: 3-line block ×5, first 2 shown]
.LBB149_16:
	s_or_b32 exec_lo, exec_lo, s0
	ds_bpermute_b32 v14, v1, v12
	v_add_f32_e32 v8, v8, v13
	s_waitcnt lgkmcnt(0)
	s_barrier
	buffer_gl0_inv
	v_add_f32_e32 v12, v12, v14
	ds_bpermute_b32 v14, v3, v12
	s_waitcnt lgkmcnt(0)
	v_add_f32_e32 v12, v12, v14
	ds_bpermute_b32 v14, v4, v12
	s_waitcnt lgkmcnt(0)
	;; [unrolled: 3-line block ×3, first 2 shown]
	v_add_f32_e32 v15, v12, v14
	v_cvt_f32_f16_e32 v12, v6
	v_cvt_f32_f16_sdwa v14, v6 dst_sel:DWORD dst_unused:UNUSED_PAD src0_sel:WORD_1
	ds_bpermute_b32 v16, v11, v15
	s_waitcnt lgkmcnt(0)
	v_add_f32_e32 v6, v15, v16
	ds_write_b32 v9, v6
	s_waitcnt lgkmcnt(0)
	s_barrier
	buffer_gl0_inv
	s_and_saveexec_b32 s0, vcc_lo
	s_cbranch_execz .LBB149_18
; %bb.17:
	ds_read_b32 v6, v5
	s_waitcnt lgkmcnt(0)
	ds_bpermute_b32 v13, v1, v6
	s_waitcnt lgkmcnt(0)
	v_add_f32_e32 v6, v6, v13
	ds_bpermute_b32 v13, v3, v6
	s_waitcnt lgkmcnt(0)
	v_add_f32_e32 v6, v6, v13
	;; [unrolled: 3-line block ×5, first 2 shown]
.LBB149_18:
	s_or_b32 exec_lo, exec_lo, s0
	ds_bpermute_b32 v13, v1, v8
	v_add_f32_e32 v12, v12, v14
	s_waitcnt lgkmcnt(0)
	s_barrier
	buffer_gl0_inv
	v_add_f32_e32 v8, v8, v13
	ds_bpermute_b32 v13, v3, v8
	s_waitcnt lgkmcnt(0)
	v_add_f32_e32 v8, v8, v13
	ds_bpermute_b32 v13, v4, v8
	s_waitcnt lgkmcnt(0)
	;; [unrolled: 3-line block ×4, first 2 shown]
	v_add_f32_e32 v8, v8, v13
	ds_write_b32 v9, v8
	s_waitcnt lgkmcnt(0)
	s_barrier
	buffer_gl0_inv
	s_and_saveexec_b32 s0, vcc_lo
	s_cbranch_execz .LBB149_20
; %bb.19:
	ds_read_b32 v8, v5
	s_waitcnt lgkmcnt(0)
	ds_bpermute_b32 v13, v1, v8
	s_waitcnt lgkmcnt(0)
	v_add_f32_e32 v8, v8, v13
	ds_bpermute_b32 v13, v3, v8
	s_waitcnt lgkmcnt(0)
	v_add_f32_e32 v8, v8, v13
	;; [unrolled: 3-line block ×5, first 2 shown]
.LBB149_20:
	s_or_b32 exec_lo, exec_lo, s0
	ds_bpermute_b32 v13, v1, v12
	s_waitcnt lgkmcnt(0)
	s_barrier
	buffer_gl0_inv
	v_add_f32_e32 v12, v12, v13
	ds_bpermute_b32 v13, v3, v12
	s_waitcnt lgkmcnt(0)
	v_add_f32_e32 v12, v12, v13
	ds_bpermute_b32 v13, v4, v12
	s_waitcnt lgkmcnt(0)
	;; [unrolled: 3-line block ×4, first 2 shown]
	v_add_f32_e32 v12, v12, v13
	ds_write_b32 v9, v12
	s_waitcnt lgkmcnt(0)
	s_barrier
	buffer_gl0_inv
	s_and_saveexec_b32 s0, vcc_lo
	s_cbranch_execz .LBB149_22
; %bb.21:
	ds_read_b32 v5, v5
	s_waitcnt lgkmcnt(0)
	ds_bpermute_b32 v1, v1, v5
	s_waitcnt lgkmcnt(0)
	v_add_f32_e32 v1, v5, v1
	ds_bpermute_b32 v3, v3, v1
	s_waitcnt lgkmcnt(0)
	v_add_f32_e32 v1, v1, v3
	ds_bpermute_b32 v3, v4, v1
	s_waitcnt lgkmcnt(0)
	v_add_f32_e32 v1, v1, v3
	ds_bpermute_b32 v3, v10, v1
	s_waitcnt lgkmcnt(0)
	v_add_f32_e32 v1, v1, v3
	ds_bpermute_b32 v3, v11, v1
	s_waitcnt lgkmcnt(0)
	v_add_f32_e32 v12, v1, v3
.LBB149_22:
	s_or_b32 exec_lo, exec_lo, s0
	s_barrier
	buffer_gl0_inv
	s_mov_b32 s0, exec_lo
	v_cmpx_gt_u32_e32 5, v0
	s_cbranch_execz .LBB149_24
; %bb.23:
	s_load_dwordx2 s[0:1], s[4:5], 0x38
	v_cmp_eq_u32_e32 vcc_lo, 1, v0
	v_mad_u64_u32 v[3:4], null, s18, v0, s[6:7]
	s_mul_hi_i32 s3, s22, s10
	s_mul_i32 s2, s22, s10
	v_cndmask_b32_e32 v1, v2, v7, vcc_lo
	v_cmp_eq_u32_e32 vcc_lo, 2, v0
	s_mul_i32 s4, s26, s7
	s_lshl_b64 s[2:3], s[2:3], 2
	v_ashrrev_i32_e32 v4, 31, v3
	s_ashr_i32 s5, s4, 31
	v_cndmask_b32_e32 v1, v1, v6, vcc_lo
	v_cmp_eq_u32_e32 vcc_lo, 3, v0
	v_cndmask_b32_e32 v5, v1, v8, vcc_lo
	v_lshlrev_b64 v[1:2], 2, v[3:4]
	s_waitcnt lgkmcnt(0)
	s_add_u32 s2, s0, s2
	v_cmp_eq_u32_e32 vcc_lo, 4, v0
	s_addc_u32 s3, s1, s3
	s_lshl_b64 s[0:1], s[4:5], 2
	s_add_u32 s0, s2, s0
	v_cndmask_b32_e32 v3, v5, v12, vcc_lo
	s_addc_u32 s1, s3, s1
	v_add_co_u32 v0, vcc_lo, s0, v1
	v_add_co_ci_u32_e64 v1, null, s1, v2, vcc_lo
	global_store_dword v[0:1], v3, off
.LBB149_24:
	s_endpgm
	.section	.rodata,"a",@progbits
	.p2align	6, 0x0
	.amdhsa_kernel _ZL13mul_mat_vec_fI6__halfS0_Li5ELi192ELb0ELb0EEvPKT_PKfPKi31ggml_cuda_mm_fusion_args_devicePfi15HIP_vector_typeIjLj3EEiiiSB_iiiSB_iiii
		.amdhsa_group_segment_fixed_size 0
		.amdhsa_private_segment_fixed_size 0
		.amdhsa_kernarg_size 144
		.amdhsa_user_sgpr_count 6
		.amdhsa_user_sgpr_private_segment_buffer 1
		.amdhsa_user_sgpr_dispatch_ptr 0
		.amdhsa_user_sgpr_queue_ptr 0
		.amdhsa_user_sgpr_kernarg_segment_ptr 1
		.amdhsa_user_sgpr_dispatch_id 0
		.amdhsa_user_sgpr_flat_scratch_init 0
		.amdhsa_user_sgpr_private_segment_size 0
		.amdhsa_wavefront_size32 1
		.amdhsa_uses_dynamic_stack 0
		.amdhsa_system_sgpr_private_segment_wavefront_offset 0
		.amdhsa_system_sgpr_workgroup_id_x 1
		.amdhsa_system_sgpr_workgroup_id_y 1
		.amdhsa_system_sgpr_workgroup_id_z 1
		.amdhsa_system_sgpr_workgroup_info 0
		.amdhsa_system_vgpr_workitem_id 0
		.amdhsa_next_free_vgpr 23
		.amdhsa_next_free_sgpr 36
		.amdhsa_reserve_vcc 1
		.amdhsa_reserve_flat_scratch 0
		.amdhsa_float_round_mode_32 0
		.amdhsa_float_round_mode_16_64 0
		.amdhsa_float_denorm_mode_32 3
		.amdhsa_float_denorm_mode_16_64 3
		.amdhsa_dx10_clamp 1
		.amdhsa_ieee_mode 1
		.amdhsa_fp16_overflow 0
		.amdhsa_workgroup_processor_mode 1
		.amdhsa_memory_ordered 1
		.amdhsa_forward_progress 1
		.amdhsa_shared_vgpr_count 0
		.amdhsa_exception_fp_ieee_invalid_op 0
		.amdhsa_exception_fp_denorm_src 0
		.amdhsa_exception_fp_ieee_div_zero 0
		.amdhsa_exception_fp_ieee_overflow 0
		.amdhsa_exception_fp_ieee_underflow 0
		.amdhsa_exception_fp_ieee_inexact 0
		.amdhsa_exception_int_div_zero 0
	.end_amdhsa_kernel
	.section	.text._ZL13mul_mat_vec_fI6__halfS0_Li5ELi192ELb0ELb0EEvPKT_PKfPKi31ggml_cuda_mm_fusion_args_devicePfi15HIP_vector_typeIjLj3EEiiiSB_iiiSB_iiii,"axG",@progbits,_ZL13mul_mat_vec_fI6__halfS0_Li5ELi192ELb0ELb0EEvPKT_PKfPKi31ggml_cuda_mm_fusion_args_devicePfi15HIP_vector_typeIjLj3EEiiiSB_iiiSB_iiii,comdat
.Lfunc_end149:
	.size	_ZL13mul_mat_vec_fI6__halfS0_Li5ELi192ELb0ELb0EEvPKT_PKfPKi31ggml_cuda_mm_fusion_args_devicePfi15HIP_vector_typeIjLj3EEiiiSB_iiiSB_iiii, .Lfunc_end149-_ZL13mul_mat_vec_fI6__halfS0_Li5ELi192ELb0ELb0EEvPKT_PKfPKi31ggml_cuda_mm_fusion_args_devicePfi15HIP_vector_typeIjLj3EEiiiSB_iiiSB_iiii
                                        ; -- End function
	.set _ZL13mul_mat_vec_fI6__halfS0_Li5ELi192ELb0ELb0EEvPKT_PKfPKi31ggml_cuda_mm_fusion_args_devicePfi15HIP_vector_typeIjLj3EEiiiSB_iiiSB_iiii.num_vgpr, 23
	.set _ZL13mul_mat_vec_fI6__halfS0_Li5ELi192ELb0ELb0EEvPKT_PKfPKi31ggml_cuda_mm_fusion_args_devicePfi15HIP_vector_typeIjLj3EEiiiSB_iiiSB_iiii.num_agpr, 0
	.set _ZL13mul_mat_vec_fI6__halfS0_Li5ELi192ELb0ELb0EEvPKT_PKfPKi31ggml_cuda_mm_fusion_args_devicePfi15HIP_vector_typeIjLj3EEiiiSB_iiiSB_iiii.numbered_sgpr, 36
	.set _ZL13mul_mat_vec_fI6__halfS0_Li5ELi192ELb0ELb0EEvPKT_PKfPKi31ggml_cuda_mm_fusion_args_devicePfi15HIP_vector_typeIjLj3EEiiiSB_iiiSB_iiii.num_named_barrier, 0
	.set _ZL13mul_mat_vec_fI6__halfS0_Li5ELi192ELb0ELb0EEvPKT_PKfPKi31ggml_cuda_mm_fusion_args_devicePfi15HIP_vector_typeIjLj3EEiiiSB_iiiSB_iiii.private_seg_size, 0
	.set _ZL13mul_mat_vec_fI6__halfS0_Li5ELi192ELb0ELb0EEvPKT_PKfPKi31ggml_cuda_mm_fusion_args_devicePfi15HIP_vector_typeIjLj3EEiiiSB_iiiSB_iiii.uses_vcc, 1
	.set _ZL13mul_mat_vec_fI6__halfS0_Li5ELi192ELb0ELb0EEvPKT_PKfPKi31ggml_cuda_mm_fusion_args_devicePfi15HIP_vector_typeIjLj3EEiiiSB_iiiSB_iiii.uses_flat_scratch, 0
	.set _ZL13mul_mat_vec_fI6__halfS0_Li5ELi192ELb0ELb0EEvPKT_PKfPKi31ggml_cuda_mm_fusion_args_devicePfi15HIP_vector_typeIjLj3EEiiiSB_iiiSB_iiii.has_dyn_sized_stack, 0
	.set _ZL13mul_mat_vec_fI6__halfS0_Li5ELi192ELb0ELb0EEvPKT_PKfPKi31ggml_cuda_mm_fusion_args_devicePfi15HIP_vector_typeIjLj3EEiiiSB_iiiSB_iiii.has_recursion, 0
	.set _ZL13mul_mat_vec_fI6__halfS0_Li5ELi192ELb0ELb0EEvPKT_PKfPKi31ggml_cuda_mm_fusion_args_devicePfi15HIP_vector_typeIjLj3EEiiiSB_iiiSB_iiii.has_indirect_call, 0
	.section	.AMDGPU.csdata,"",@progbits
; Kernel info:
; codeLenInByte = 2364
; TotalNumSgprs: 38
; NumVgprs: 23
; ScratchSize: 0
; MemoryBound: 0
; FloatMode: 240
; IeeeMode: 1
; LDSByteSize: 0 bytes/workgroup (compile time only)
; SGPRBlocks: 0
; VGPRBlocks: 2
; NumSGPRsForWavesPerEU: 38
; NumVGPRsForWavesPerEU: 23
; Occupancy: 16
; WaveLimiterHint : 0
; COMPUTE_PGM_RSRC2:SCRATCH_EN: 0
; COMPUTE_PGM_RSRC2:USER_SGPR: 6
; COMPUTE_PGM_RSRC2:TRAP_HANDLER: 0
; COMPUTE_PGM_RSRC2:TGID_X_EN: 1
; COMPUTE_PGM_RSRC2:TGID_Y_EN: 1
; COMPUTE_PGM_RSRC2:TGID_Z_EN: 1
; COMPUTE_PGM_RSRC2:TIDIG_COMP_CNT: 0
	.section	.text._ZL13mul_mat_vec_fI6__halfS0_Li5ELi224ELb0ELb0EEvPKT_PKfPKi31ggml_cuda_mm_fusion_args_devicePfi15HIP_vector_typeIjLj3EEiiiSB_iiiSB_iiii,"axG",@progbits,_ZL13mul_mat_vec_fI6__halfS0_Li5ELi224ELb0ELb0EEvPKT_PKfPKi31ggml_cuda_mm_fusion_args_devicePfi15HIP_vector_typeIjLj3EEiiiSB_iiiSB_iiii,comdat
	.globl	_ZL13mul_mat_vec_fI6__halfS0_Li5ELi224ELb0ELb0EEvPKT_PKfPKi31ggml_cuda_mm_fusion_args_devicePfi15HIP_vector_typeIjLj3EEiiiSB_iiiSB_iiii ; -- Begin function _ZL13mul_mat_vec_fI6__halfS0_Li5ELi224ELb0ELb0EEvPKT_PKfPKi31ggml_cuda_mm_fusion_args_devicePfi15HIP_vector_typeIjLj3EEiiiSB_iiiSB_iiii
	.p2align	8
	.type	_ZL13mul_mat_vec_fI6__halfS0_Li5ELi224ELb0ELb0EEvPKT_PKfPKi31ggml_cuda_mm_fusion_args_devicePfi15HIP_vector_typeIjLj3EEiiiSB_iiiSB_iiii,@function
_ZL13mul_mat_vec_fI6__halfS0_Li5ELi224ELb0ELb0EEvPKT_PKfPKi31ggml_cuda_mm_fusion_args_devicePfi15HIP_vector_typeIjLj3EEiiiSB_iiiSB_iiii: ; @_ZL13mul_mat_vec_fI6__halfS0_Li5ELi224ELb0ELb0EEvPKT_PKfPKi31ggml_cuda_mm_fusion_args_devicePfi15HIP_vector_typeIjLj3EEiiiSB_iiiSB_iiii
; %bb.0:
	s_clause 0x2
	s_load_dwordx2 s[0:1], s[4:5], 0x10
	s_load_dwordx8 s[12:19], s[4:5], 0x40
	s_load_dwordx4 s[20:23], s[4:5], 0x80
	s_waitcnt lgkmcnt(0)
	s_cmp_eq_u64 s[0:1], 0
	s_cselect_b32 s10, -1, 0
	s_cmp_lg_u64 s[0:1], 0
	s_cselect_b32 s11, -1, 0
	s_and_b32 vcc_lo, exec_lo, s10
	s_cbranch_vccnz .LBB150_2
; %bb.1:
	s_mul_i32 s2, s23, s8
	s_mov_b32 s3, 0
	s_add_i32 s2, s2, s7
	s_lshl_b64 s[24:25], s[2:3], 2
	s_add_u32 s0, s0, s24
	s_addc_u32 s1, s1, s25
	s_load_dword s9, s[0:1], 0x0
	s_cbranch_execz .LBB150_3
	s_branch .LBB150_4
.LBB150_2:
                                        ; implicit-def: $sgpr9
.LBB150_3:
	s_load_dwordx2 s[0:1], s[4:5], 0x5c
	s_waitcnt lgkmcnt(0)
	s_mul_hi_u32 s0, s0, s7
	s_add_i32 s0, s7, s0
	s_lshr_b32 s9, s0, s1
.LBB150_4:
	s_load_dwordx4 s[24:27], s[4:5], 0x68
	s_andn2_b32 vcc_lo, exec_lo, s11
	s_mov_b32 s19, s7
	s_cbranch_vccnz .LBB150_6
; %bb.5:
	s_mul_hi_u32 s0, s13, s7
	s_add_i32 s0, s7, s0
	s_lshr_b32 s0, s0, s14
	s_mul_i32 s0, s0, s15
	s_sub_i32 s19, s7, s0
.LBB150_6:
	s_load_dword s13, s[4:5], 0x78
	v_cmp_gt_u32_e32 vcc_lo, 32, v0
	v_lshl_add_u32 v5, v0, 2, 0
	s_and_saveexec_b32 s0, vcc_lo
; %bb.7:
	v_mov_b32_e32 v1, 0
	ds_write_b32 v5, v1
; %bb.8:
	s_or_b32 exec_lo, exec_lo, s0
	v_mov_b32_e32 v10, 0
	v_mov_b32_e32 v9, 0
	;; [unrolled: 1-line block ×5, first 2 shown]
	s_and_b32 s0, exec_lo, s10
	s_cselect_b32 s10, s8, 0
	s_mov_b32 s11, exec_lo
	s_waitcnt lgkmcnt(0)
	s_barrier
	buffer_gl0_inv
	v_cmpx_gt_i32_e64 s12, v0
	s_cbranch_execz .LBB150_12
; %bb.9:
	s_load_dwordx4 s[0:3], s[4:5], 0x0
	s_mul_hi_u32 s23, s27, s10
	s_mul_hi_i32 s15, s21, s10
	s_mul_i32 s14, s21, s10
	s_mul_i32 s8, s9, s24
	;; [unrolled: 1-line block ×4, first 2 shown]
	s_add_i32 s16, s10, s23
	s_lshl_b64 s[34:35], s[14:15], 2
	s_ashr_i32 s9, s8, 31
	s_ashr_i32 s25, s24, 31
	;; [unrolled: 1-line block ×3, first 2 shown]
	s_lshr_b32 s13, s16, s13
	s_mov_b32 s30, s17
	s_mul_hi_i32 s21, s13, s20
	s_mul_i32 s20, s13, s20
	v_lshlrev_b32_e32 v2, 3, v0
	v_lshlrev_b32_e32 v1, 2, v0
	v_mov_b32_e32 v6, 0
	v_mov_b32_e32 v7, 0
	s_waitcnt lgkmcnt(0)
	s_add_u32 s14, s2, s34
	s_addc_u32 s15, s3, s35
	s_lshl_b64 s[28:29], s[28:29], 2
	v_mov_b32_e32 v8, 0
	s_add_u32 s13, s14, s28
	s_addc_u32 s14, s15, s29
	s_lshl_b64 s[8:9], s[8:9], 1
	s_ashr_i32 s31, s17, 31
	s_add_i32 s15, s17, s17
	s_lshl_b32 s16, s17, 2
	s_lshl_b64 s[20:21], s[20:21], 1
	s_lshl_b64 s[24:25], s[24:25], 1
	s_add_u32 s0, s0, s8
	s_addc_u32 s1, s1, s9
	s_add_u32 s0, s0, s24
	s_addc_u32 s1, s1, s25
	;; [unrolled: 2-line block ×3, first 2 shown]
	s_lshl_b64 s[8:9], s[30:31], 3
	s_add_u32 s2, s2, s28
	s_addc_u32 s3, s3, s29
	s_add_u32 s2, s2, s34
	s_addc_u32 s3, s3, s35
	v_add_co_u32 v3, s2, s2, v2
	v_add_co_ci_u32_e64 v4, null, s3, 0, s2
	v_add_co_u32 v1, s0, s0, v1
	v_add_co_ci_u32_e64 v2, null, s1, 0, s0
	;; [unrolled: 2-line block ×3, first 2 shown]
	v_mov_b32_e32 v9, 0
	v_mov_b32_e32 v10, 0
	v_mov_b32_e32 v11, v0
	s_mul_i32 s2, s17, 3
	s_mov_b32 s1, 0
.LBB150_10:                             ; =>This Inner Loop Header: Depth=1
	v_add_nc_u32_e32 v14, s15, v11
	v_add_nc_u32_e32 v18, s2, v11
	;; [unrolled: 1-line block ×3, first 2 shown]
	v_add_co_u32 v16, s0, v3, s8
	v_ashrrev_i32_e32 v15, 31, v14
	v_ashrrev_i32_e32 v19, 31, v18
	;; [unrolled: 1-line block ×3, first 2 shown]
	v_add_co_ci_u32_e64 v17, null, s9, v4, s0
	v_lshlrev_b64 v[14:15], 3, v[14:15]
	v_lshlrev_b64 v[18:19], 3, v[18:19]
	;; [unrolled: 1-line block ×3, first 2 shown]
	s_clause 0x1
	global_load_dwordx2 v[12:13], v[3:4], off offset:-4
	global_load_dwordx2 v[16:17], v[16:17], off offset:-4
	v_add_nc_u32_e32 v11, 0xe0, v11
	v_add_co_u32 v14, s0, s13, v14
	v_add_co_ci_u32_e64 v15, null, s14, v15, s0
	v_add_co_u32 v18, s0, s13, v18
	v_add_co_ci_u32_e64 v19, null, s14, v19, s0
	;; [unrolled: 2-line block ×3, first 2 shown]
	s_clause 0x2
	global_load_dwordx2 v[14:15], v[14:15], off
	global_load_dwordx2 v[18:19], v[18:19], off
	;; [unrolled: 1-line block ×3, first 2 shown]
	global_load_dword v22, v[1:2], off
	v_add_co_u32 v1, s0, 0x380, v1
	v_add_co_ci_u32_e64 v2, null, 0, v2, s0
	v_add_co_u32 v3, s0, 0x700, v3
	v_add_co_ci_u32_e64 v4, null, 0, v4, s0
	v_cmp_le_i32_e64 s0, s12, v11
	s_or_b32 s1, s0, s1
	s_waitcnt vmcnt(5)
	v_cvt_f16_f32_e32 v12, v12
	v_cvt_f16_f32_e32 v13, v13
	s_waitcnt vmcnt(4)
	v_cvt_f16_f32_e32 v16, v16
	v_cvt_f16_f32_e32 v17, v17
	v_pack_b32_f16 v12, v12, v13
	v_pack_b32_f16 v13, v16, v17
	s_waitcnt vmcnt(3)
	v_cvt_f16_f32_e32 v14, v14
	v_cvt_f16_f32_e32 v15, v15
	s_waitcnt vmcnt(2)
	v_cvt_f16_f32_e32 v18, v18
	v_cvt_f16_f32_e32 v19, v19
	;; [unrolled: 3-line block ×3, first 2 shown]
	v_pack_b32_f16 v14, v14, v15
	s_waitcnt vmcnt(0)
	v_pk_fma_f16 v10, v22, v12, v10
	v_pack_b32_f16 v15, v18, v19
	v_pk_fma_f16 v9, v22, v13, v9
	v_pack_b32_f16 v16, v20, v21
	v_pk_fma_f16 v8, v22, v14, v8
	v_pk_fma_f16 v7, v22, v15, v7
	v_pk_fma_f16 v6, v22, v16, v6
	s_andn2_b32 exec_lo, exec_lo, s1
	s_cbranch_execnz .LBB150_10
; %bb.11:
	s_or_b32 exec_lo, exec_lo, s1
.LBB150_12:
	s_or_b32 exec_lo, exec_lo, s11
	v_mbcnt_lo_u32_b32 v2, -1, 0
	v_cvt_f32_f16_e32 v3, v10
	v_cvt_f32_f16_sdwa v4, v10 dst_sel:DWORD dst_unused:UNUSED_PAD src0_sel:WORD_1
	v_cvt_f32_f16_e32 v15, v9
	v_cvt_f32_f16_sdwa v16, v9 dst_sel:DWORD dst_unused:UNUSED_PAD src0_sel:WORD_1
	v_xor_b32_e32 v1, 16, v2
	v_cvt_f32_f16_sdwa v14, v8 dst_sel:DWORD dst_unused:UNUSED_PAD src0_sel:WORD_1
	v_add_f32_e32 v4, v3, v4
	v_xor_b32_e32 v3, 8, v2
	v_cmp_gt_i32_e64 s0, 32, v1
	v_cndmask_b32_e64 v1, v2, v1, s0
	v_cmp_gt_i32_e64 s0, 32, v3
	v_lshlrev_b32_e32 v1, 2, v1
	v_cndmask_b32_e64 v3, v2, v3, s0
	ds_bpermute_b32 v10, v1, v4
	v_lshlrev_b32_e32 v3, 2, v3
	s_waitcnt lgkmcnt(0)
	v_add_f32_e32 v10, v4, v10
	v_xor_b32_e32 v4, 4, v2
	ds_bpermute_b32 v11, v3, v10
	v_cmp_gt_i32_e64 s0, 32, v4
	v_cndmask_b32_e64 v4, v2, v4, s0
	v_lshlrev_b32_e32 v4, 2, v4
	s_waitcnt lgkmcnt(0)
	v_add_f32_e32 v11, v10, v11
	v_xor_b32_e32 v10, 2, v2
	ds_bpermute_b32 v12, v4, v11
	v_cmp_gt_i32_e64 s0, 32, v10
	v_cndmask_b32_e64 v10, v2, v10, s0
	;; [unrolled: 7-line block ×3, first 2 shown]
	v_lshlrev_b32_e32 v11, 2, v2
	s_waitcnt lgkmcnt(0)
	v_add_f32_e32 v2, v12, v13
	v_lshrrev_b32_e32 v13, 3, v0
	ds_bpermute_b32 v12, v11, v2
	v_and_b32_e32 v13, 0x7c, v13
	v_add_nc_u32_e32 v9, 0, v13
	s_waitcnt lgkmcnt(0)
	v_add_f32_e32 v2, v2, v12
	v_cvt_f32_f16_e32 v12, v8
	v_add_f32_e32 v8, v15, v16
	ds_write_b32 v9, v2
	s_waitcnt lgkmcnt(0)
	s_barrier
	buffer_gl0_inv
	s_and_saveexec_b32 s0, vcc_lo
	s_cbranch_execz .LBB150_14
; %bb.13:
	ds_read_b32 v2, v5
	s_waitcnt lgkmcnt(0)
	ds_bpermute_b32 v13, v1, v2
	s_waitcnt lgkmcnt(0)
	v_add_f32_e32 v2, v2, v13
	ds_bpermute_b32 v13, v3, v2
	s_waitcnt lgkmcnt(0)
	v_add_f32_e32 v2, v2, v13
	;; [unrolled: 3-line block ×5, first 2 shown]
.LBB150_14:
	s_or_b32 exec_lo, exec_lo, s0
	ds_bpermute_b32 v13, v1, v8
	v_add_f32_e32 v12, v12, v14
	s_waitcnt lgkmcnt(0)
	s_barrier
	buffer_gl0_inv
	v_add_f32_e32 v8, v8, v13
	ds_bpermute_b32 v13, v3, v8
	s_waitcnt lgkmcnt(0)
	v_add_f32_e32 v8, v8, v13
	ds_bpermute_b32 v13, v4, v8
	s_waitcnt lgkmcnt(0)
	;; [unrolled: 3-line block ×3, first 2 shown]
	v_add_f32_e32 v15, v8, v13
	v_cvt_f32_f16_e32 v8, v7
	v_cvt_f32_f16_sdwa v13, v7 dst_sel:DWORD dst_unused:UNUSED_PAD src0_sel:WORD_1
	ds_bpermute_b32 v16, v11, v15
	s_waitcnt lgkmcnt(0)
	v_add_f32_e32 v7, v15, v16
	ds_write_b32 v9, v7
	s_waitcnt lgkmcnt(0)
	s_barrier
	buffer_gl0_inv
	s_and_saveexec_b32 s0, vcc_lo
	s_cbranch_execz .LBB150_16
; %bb.15:
	ds_read_b32 v7, v5
	s_waitcnt lgkmcnt(0)
	ds_bpermute_b32 v14, v1, v7
	s_waitcnt lgkmcnt(0)
	v_add_f32_e32 v7, v7, v14
	ds_bpermute_b32 v14, v3, v7
	s_waitcnt lgkmcnt(0)
	v_add_f32_e32 v7, v7, v14
	;; [unrolled: 3-line block ×5, first 2 shown]
.LBB150_16:
	s_or_b32 exec_lo, exec_lo, s0
	ds_bpermute_b32 v14, v1, v12
	v_add_f32_e32 v8, v8, v13
	s_waitcnt lgkmcnt(0)
	s_barrier
	buffer_gl0_inv
	v_add_f32_e32 v12, v12, v14
	ds_bpermute_b32 v14, v3, v12
	s_waitcnt lgkmcnt(0)
	v_add_f32_e32 v12, v12, v14
	ds_bpermute_b32 v14, v4, v12
	s_waitcnt lgkmcnt(0)
	;; [unrolled: 3-line block ×3, first 2 shown]
	v_add_f32_e32 v15, v12, v14
	v_cvt_f32_f16_e32 v12, v6
	v_cvt_f32_f16_sdwa v14, v6 dst_sel:DWORD dst_unused:UNUSED_PAD src0_sel:WORD_1
	ds_bpermute_b32 v16, v11, v15
	s_waitcnt lgkmcnt(0)
	v_add_f32_e32 v6, v15, v16
	ds_write_b32 v9, v6
	s_waitcnt lgkmcnt(0)
	s_barrier
	buffer_gl0_inv
	s_and_saveexec_b32 s0, vcc_lo
	s_cbranch_execz .LBB150_18
; %bb.17:
	ds_read_b32 v6, v5
	s_waitcnt lgkmcnt(0)
	ds_bpermute_b32 v13, v1, v6
	s_waitcnt lgkmcnt(0)
	v_add_f32_e32 v6, v6, v13
	ds_bpermute_b32 v13, v3, v6
	s_waitcnt lgkmcnt(0)
	v_add_f32_e32 v6, v6, v13
	;; [unrolled: 3-line block ×5, first 2 shown]
.LBB150_18:
	s_or_b32 exec_lo, exec_lo, s0
	ds_bpermute_b32 v13, v1, v8
	v_add_f32_e32 v12, v12, v14
	s_waitcnt lgkmcnt(0)
	s_barrier
	buffer_gl0_inv
	v_add_f32_e32 v8, v8, v13
	ds_bpermute_b32 v13, v3, v8
	s_waitcnt lgkmcnt(0)
	v_add_f32_e32 v8, v8, v13
	ds_bpermute_b32 v13, v4, v8
	s_waitcnt lgkmcnt(0)
	;; [unrolled: 3-line block ×4, first 2 shown]
	v_add_f32_e32 v8, v8, v13
	ds_write_b32 v9, v8
	s_waitcnt lgkmcnt(0)
	s_barrier
	buffer_gl0_inv
	s_and_saveexec_b32 s0, vcc_lo
	s_cbranch_execz .LBB150_20
; %bb.19:
	ds_read_b32 v8, v5
	s_waitcnt lgkmcnt(0)
	ds_bpermute_b32 v13, v1, v8
	s_waitcnt lgkmcnt(0)
	v_add_f32_e32 v8, v8, v13
	ds_bpermute_b32 v13, v3, v8
	s_waitcnt lgkmcnt(0)
	v_add_f32_e32 v8, v8, v13
	;; [unrolled: 3-line block ×5, first 2 shown]
.LBB150_20:
	s_or_b32 exec_lo, exec_lo, s0
	ds_bpermute_b32 v13, v1, v12
	s_waitcnt lgkmcnt(0)
	s_barrier
	buffer_gl0_inv
	v_add_f32_e32 v12, v12, v13
	ds_bpermute_b32 v13, v3, v12
	s_waitcnt lgkmcnt(0)
	v_add_f32_e32 v12, v12, v13
	ds_bpermute_b32 v13, v4, v12
	s_waitcnt lgkmcnt(0)
	v_add_f32_e32 v12, v12, v13
	ds_bpermute_b32 v13, v10, v12
	s_waitcnt lgkmcnt(0)
	v_add_f32_e32 v12, v12, v13
	ds_bpermute_b32 v13, v11, v12
	s_waitcnt lgkmcnt(0)
	v_add_f32_e32 v12, v12, v13
	ds_write_b32 v9, v12
	s_waitcnt lgkmcnt(0)
	s_barrier
	buffer_gl0_inv
	s_and_saveexec_b32 s0, vcc_lo
	s_cbranch_execz .LBB150_22
; %bb.21:
	ds_read_b32 v5, v5
	s_waitcnt lgkmcnt(0)
	ds_bpermute_b32 v1, v1, v5
	s_waitcnt lgkmcnt(0)
	v_add_f32_e32 v1, v5, v1
	ds_bpermute_b32 v3, v3, v1
	s_waitcnt lgkmcnt(0)
	v_add_f32_e32 v1, v1, v3
	;; [unrolled: 3-line block ×5, first 2 shown]
.LBB150_22:
	s_or_b32 exec_lo, exec_lo, s0
	s_barrier
	buffer_gl0_inv
	s_mov_b32 s0, exec_lo
	v_cmpx_gt_u32_e32 5, v0
	s_cbranch_execz .LBB150_24
; %bb.23:
	s_load_dwordx2 s[0:1], s[4:5], 0x38
	v_cmp_eq_u32_e32 vcc_lo, 1, v0
	v_mad_u64_u32 v[3:4], null, s18, v0, s[6:7]
	s_mul_hi_i32 s3, s22, s10
	s_mul_i32 s2, s22, s10
	v_cndmask_b32_e32 v1, v2, v7, vcc_lo
	v_cmp_eq_u32_e32 vcc_lo, 2, v0
	s_mul_i32 s4, s26, s7
	s_lshl_b64 s[2:3], s[2:3], 2
	v_ashrrev_i32_e32 v4, 31, v3
	s_ashr_i32 s5, s4, 31
	v_cndmask_b32_e32 v1, v1, v6, vcc_lo
	v_cmp_eq_u32_e32 vcc_lo, 3, v0
	v_cndmask_b32_e32 v5, v1, v8, vcc_lo
	v_lshlrev_b64 v[1:2], 2, v[3:4]
	s_waitcnt lgkmcnt(0)
	s_add_u32 s2, s0, s2
	v_cmp_eq_u32_e32 vcc_lo, 4, v0
	s_addc_u32 s3, s1, s3
	s_lshl_b64 s[0:1], s[4:5], 2
	s_add_u32 s0, s2, s0
	v_cndmask_b32_e32 v3, v5, v12, vcc_lo
	s_addc_u32 s1, s3, s1
	v_add_co_u32 v0, vcc_lo, s0, v1
	v_add_co_ci_u32_e64 v1, null, s1, v2, vcc_lo
	global_store_dword v[0:1], v3, off
.LBB150_24:
	s_endpgm
	.section	.rodata,"a",@progbits
	.p2align	6, 0x0
	.amdhsa_kernel _ZL13mul_mat_vec_fI6__halfS0_Li5ELi224ELb0ELb0EEvPKT_PKfPKi31ggml_cuda_mm_fusion_args_devicePfi15HIP_vector_typeIjLj3EEiiiSB_iiiSB_iiii
		.amdhsa_group_segment_fixed_size 0
		.amdhsa_private_segment_fixed_size 0
		.amdhsa_kernarg_size 144
		.amdhsa_user_sgpr_count 6
		.amdhsa_user_sgpr_private_segment_buffer 1
		.amdhsa_user_sgpr_dispatch_ptr 0
		.amdhsa_user_sgpr_queue_ptr 0
		.amdhsa_user_sgpr_kernarg_segment_ptr 1
		.amdhsa_user_sgpr_dispatch_id 0
		.amdhsa_user_sgpr_flat_scratch_init 0
		.amdhsa_user_sgpr_private_segment_size 0
		.amdhsa_wavefront_size32 1
		.amdhsa_uses_dynamic_stack 0
		.amdhsa_system_sgpr_private_segment_wavefront_offset 0
		.amdhsa_system_sgpr_workgroup_id_x 1
		.amdhsa_system_sgpr_workgroup_id_y 1
		.amdhsa_system_sgpr_workgroup_id_z 1
		.amdhsa_system_sgpr_workgroup_info 0
		.amdhsa_system_vgpr_workitem_id 0
		.amdhsa_next_free_vgpr 23
		.amdhsa_next_free_sgpr 36
		.amdhsa_reserve_vcc 1
		.amdhsa_reserve_flat_scratch 0
		.amdhsa_float_round_mode_32 0
		.amdhsa_float_round_mode_16_64 0
		.amdhsa_float_denorm_mode_32 3
		.amdhsa_float_denorm_mode_16_64 3
		.amdhsa_dx10_clamp 1
		.amdhsa_ieee_mode 1
		.amdhsa_fp16_overflow 0
		.amdhsa_workgroup_processor_mode 1
		.amdhsa_memory_ordered 1
		.amdhsa_forward_progress 1
		.amdhsa_shared_vgpr_count 0
		.amdhsa_exception_fp_ieee_invalid_op 0
		.amdhsa_exception_fp_denorm_src 0
		.amdhsa_exception_fp_ieee_div_zero 0
		.amdhsa_exception_fp_ieee_overflow 0
		.amdhsa_exception_fp_ieee_underflow 0
		.amdhsa_exception_fp_ieee_inexact 0
		.amdhsa_exception_int_div_zero 0
	.end_amdhsa_kernel
	.section	.text._ZL13mul_mat_vec_fI6__halfS0_Li5ELi224ELb0ELb0EEvPKT_PKfPKi31ggml_cuda_mm_fusion_args_devicePfi15HIP_vector_typeIjLj3EEiiiSB_iiiSB_iiii,"axG",@progbits,_ZL13mul_mat_vec_fI6__halfS0_Li5ELi224ELb0ELb0EEvPKT_PKfPKi31ggml_cuda_mm_fusion_args_devicePfi15HIP_vector_typeIjLj3EEiiiSB_iiiSB_iiii,comdat
.Lfunc_end150:
	.size	_ZL13mul_mat_vec_fI6__halfS0_Li5ELi224ELb0ELb0EEvPKT_PKfPKi31ggml_cuda_mm_fusion_args_devicePfi15HIP_vector_typeIjLj3EEiiiSB_iiiSB_iiii, .Lfunc_end150-_ZL13mul_mat_vec_fI6__halfS0_Li5ELi224ELb0ELb0EEvPKT_PKfPKi31ggml_cuda_mm_fusion_args_devicePfi15HIP_vector_typeIjLj3EEiiiSB_iiiSB_iiii
                                        ; -- End function
	.set _ZL13mul_mat_vec_fI6__halfS0_Li5ELi224ELb0ELb0EEvPKT_PKfPKi31ggml_cuda_mm_fusion_args_devicePfi15HIP_vector_typeIjLj3EEiiiSB_iiiSB_iiii.num_vgpr, 23
	.set _ZL13mul_mat_vec_fI6__halfS0_Li5ELi224ELb0ELb0EEvPKT_PKfPKi31ggml_cuda_mm_fusion_args_devicePfi15HIP_vector_typeIjLj3EEiiiSB_iiiSB_iiii.num_agpr, 0
	.set _ZL13mul_mat_vec_fI6__halfS0_Li5ELi224ELb0ELb0EEvPKT_PKfPKi31ggml_cuda_mm_fusion_args_devicePfi15HIP_vector_typeIjLj3EEiiiSB_iiiSB_iiii.numbered_sgpr, 36
	.set _ZL13mul_mat_vec_fI6__halfS0_Li5ELi224ELb0ELb0EEvPKT_PKfPKi31ggml_cuda_mm_fusion_args_devicePfi15HIP_vector_typeIjLj3EEiiiSB_iiiSB_iiii.num_named_barrier, 0
	.set _ZL13mul_mat_vec_fI6__halfS0_Li5ELi224ELb0ELb0EEvPKT_PKfPKi31ggml_cuda_mm_fusion_args_devicePfi15HIP_vector_typeIjLj3EEiiiSB_iiiSB_iiii.private_seg_size, 0
	.set _ZL13mul_mat_vec_fI6__halfS0_Li5ELi224ELb0ELb0EEvPKT_PKfPKi31ggml_cuda_mm_fusion_args_devicePfi15HIP_vector_typeIjLj3EEiiiSB_iiiSB_iiii.uses_vcc, 1
	.set _ZL13mul_mat_vec_fI6__halfS0_Li5ELi224ELb0ELb0EEvPKT_PKfPKi31ggml_cuda_mm_fusion_args_devicePfi15HIP_vector_typeIjLj3EEiiiSB_iiiSB_iiii.uses_flat_scratch, 0
	.set _ZL13mul_mat_vec_fI6__halfS0_Li5ELi224ELb0ELb0EEvPKT_PKfPKi31ggml_cuda_mm_fusion_args_devicePfi15HIP_vector_typeIjLj3EEiiiSB_iiiSB_iiii.has_dyn_sized_stack, 0
	.set _ZL13mul_mat_vec_fI6__halfS0_Li5ELi224ELb0ELb0EEvPKT_PKfPKi31ggml_cuda_mm_fusion_args_devicePfi15HIP_vector_typeIjLj3EEiiiSB_iiiSB_iiii.has_recursion, 0
	.set _ZL13mul_mat_vec_fI6__halfS0_Li5ELi224ELb0ELb0EEvPKT_PKfPKi31ggml_cuda_mm_fusion_args_devicePfi15HIP_vector_typeIjLj3EEiiiSB_iiiSB_iiii.has_indirect_call, 0
	.section	.AMDGPU.csdata,"",@progbits
; Kernel info:
; codeLenInByte = 2364
; TotalNumSgprs: 38
; NumVgprs: 23
; ScratchSize: 0
; MemoryBound: 0
; FloatMode: 240
; IeeeMode: 1
; LDSByteSize: 0 bytes/workgroup (compile time only)
; SGPRBlocks: 0
; VGPRBlocks: 2
; NumSGPRsForWavesPerEU: 38
; NumVGPRsForWavesPerEU: 23
; Occupancy: 16
; WaveLimiterHint : 0
; COMPUTE_PGM_RSRC2:SCRATCH_EN: 0
; COMPUTE_PGM_RSRC2:USER_SGPR: 6
; COMPUTE_PGM_RSRC2:TRAP_HANDLER: 0
; COMPUTE_PGM_RSRC2:TGID_X_EN: 1
; COMPUTE_PGM_RSRC2:TGID_Y_EN: 1
; COMPUTE_PGM_RSRC2:TGID_Z_EN: 1
; COMPUTE_PGM_RSRC2:TIDIG_COMP_CNT: 0
	.section	.text._ZL13mul_mat_vec_fI6__halfS0_Li5ELi256ELb0ELb0EEvPKT_PKfPKi31ggml_cuda_mm_fusion_args_devicePfi15HIP_vector_typeIjLj3EEiiiSB_iiiSB_iiii,"axG",@progbits,_ZL13mul_mat_vec_fI6__halfS0_Li5ELi256ELb0ELb0EEvPKT_PKfPKi31ggml_cuda_mm_fusion_args_devicePfi15HIP_vector_typeIjLj3EEiiiSB_iiiSB_iiii,comdat
	.globl	_ZL13mul_mat_vec_fI6__halfS0_Li5ELi256ELb0ELb0EEvPKT_PKfPKi31ggml_cuda_mm_fusion_args_devicePfi15HIP_vector_typeIjLj3EEiiiSB_iiiSB_iiii ; -- Begin function _ZL13mul_mat_vec_fI6__halfS0_Li5ELi256ELb0ELb0EEvPKT_PKfPKi31ggml_cuda_mm_fusion_args_devicePfi15HIP_vector_typeIjLj3EEiiiSB_iiiSB_iiii
	.p2align	8
	.type	_ZL13mul_mat_vec_fI6__halfS0_Li5ELi256ELb0ELb0EEvPKT_PKfPKi31ggml_cuda_mm_fusion_args_devicePfi15HIP_vector_typeIjLj3EEiiiSB_iiiSB_iiii,@function
_ZL13mul_mat_vec_fI6__halfS0_Li5ELi256ELb0ELb0EEvPKT_PKfPKi31ggml_cuda_mm_fusion_args_devicePfi15HIP_vector_typeIjLj3EEiiiSB_iiiSB_iiii: ; @_ZL13mul_mat_vec_fI6__halfS0_Li5ELi256ELb0ELb0EEvPKT_PKfPKi31ggml_cuda_mm_fusion_args_devicePfi15HIP_vector_typeIjLj3EEiiiSB_iiiSB_iiii
; %bb.0:
	s_clause 0x2
	s_load_dwordx2 s[0:1], s[4:5], 0x10
	s_load_dwordx8 s[12:19], s[4:5], 0x40
	s_load_dwordx4 s[20:23], s[4:5], 0x80
	s_waitcnt lgkmcnt(0)
	s_cmp_eq_u64 s[0:1], 0
	s_cselect_b32 s10, -1, 0
	s_cmp_lg_u64 s[0:1], 0
	s_cselect_b32 s11, -1, 0
	s_and_b32 vcc_lo, exec_lo, s10
	s_cbranch_vccnz .LBB151_2
; %bb.1:
	s_mul_i32 s2, s23, s8
	s_mov_b32 s3, 0
	s_add_i32 s2, s2, s7
	s_lshl_b64 s[24:25], s[2:3], 2
	s_add_u32 s0, s0, s24
	s_addc_u32 s1, s1, s25
	s_load_dword s9, s[0:1], 0x0
	s_cbranch_execz .LBB151_3
	s_branch .LBB151_4
.LBB151_2:
                                        ; implicit-def: $sgpr9
.LBB151_3:
	s_load_dwordx2 s[0:1], s[4:5], 0x5c
	s_waitcnt lgkmcnt(0)
	s_mul_hi_u32 s0, s0, s7
	s_add_i32 s0, s7, s0
	s_lshr_b32 s9, s0, s1
.LBB151_4:
	s_load_dwordx4 s[24:27], s[4:5], 0x68
	s_andn2_b32 vcc_lo, exec_lo, s11
	s_mov_b32 s19, s7
	s_cbranch_vccnz .LBB151_6
; %bb.5:
	s_mul_hi_u32 s0, s13, s7
	s_add_i32 s0, s7, s0
	s_lshr_b32 s0, s0, s14
	s_mul_i32 s0, s0, s15
	s_sub_i32 s19, s7, s0
.LBB151_6:
	s_load_dword s13, s[4:5], 0x78
	v_cmp_gt_u32_e32 vcc_lo, 32, v0
	v_lshl_add_u32 v5, v0, 2, 0
	s_and_saveexec_b32 s0, vcc_lo
; %bb.7:
	v_mov_b32_e32 v1, 0
	ds_write_b32 v5, v1
; %bb.8:
	s_or_b32 exec_lo, exec_lo, s0
	v_mov_b32_e32 v10, 0
	v_mov_b32_e32 v9, 0
	;; [unrolled: 1-line block ×5, first 2 shown]
	s_and_b32 s0, exec_lo, s10
	s_cselect_b32 s10, s8, 0
	s_mov_b32 s11, exec_lo
	s_waitcnt lgkmcnt(0)
	s_barrier
	buffer_gl0_inv
	v_cmpx_gt_i32_e64 s12, v0
	s_cbranch_execz .LBB151_12
; %bb.9:
	s_load_dwordx4 s[0:3], s[4:5], 0x0
	s_mul_hi_u32 s23, s27, s10
	s_mul_hi_i32 s15, s21, s10
	s_mul_i32 s14, s21, s10
	s_mul_i32 s8, s9, s24
	;; [unrolled: 1-line block ×4, first 2 shown]
	s_add_i32 s16, s10, s23
	s_lshl_b64 s[34:35], s[14:15], 2
	s_ashr_i32 s9, s8, 31
	s_ashr_i32 s25, s24, 31
	;; [unrolled: 1-line block ×3, first 2 shown]
	s_lshr_b32 s13, s16, s13
	s_mov_b32 s30, s17
	s_mul_hi_i32 s21, s13, s20
	s_mul_i32 s20, s13, s20
	v_lshlrev_b32_e32 v2, 3, v0
	v_lshlrev_b32_e32 v1, 2, v0
	v_mov_b32_e32 v6, 0
	v_mov_b32_e32 v7, 0
	s_waitcnt lgkmcnt(0)
	s_add_u32 s14, s2, s34
	s_addc_u32 s15, s3, s35
	s_lshl_b64 s[28:29], s[28:29], 2
	v_mov_b32_e32 v8, 0
	s_add_u32 s13, s14, s28
	s_addc_u32 s14, s15, s29
	s_lshl_b64 s[8:9], s[8:9], 1
	s_ashr_i32 s31, s17, 31
	s_add_i32 s15, s17, s17
	s_lshl_b32 s16, s17, 2
	s_lshl_b64 s[20:21], s[20:21], 1
	s_lshl_b64 s[24:25], s[24:25], 1
	s_add_u32 s0, s0, s8
	s_addc_u32 s1, s1, s9
	s_add_u32 s0, s0, s24
	s_addc_u32 s1, s1, s25
	;; [unrolled: 2-line block ×3, first 2 shown]
	s_lshl_b64 s[8:9], s[30:31], 3
	s_add_u32 s2, s2, s28
	s_addc_u32 s3, s3, s29
	s_add_u32 s2, s2, s34
	s_addc_u32 s3, s3, s35
	v_add_co_u32 v3, s2, s2, v2
	v_add_co_ci_u32_e64 v4, null, s3, 0, s2
	v_add_co_u32 v1, s0, s0, v1
	v_add_co_ci_u32_e64 v2, null, s1, 0, s0
	;; [unrolled: 2-line block ×3, first 2 shown]
	v_mov_b32_e32 v9, 0
	v_mov_b32_e32 v10, 0
	;; [unrolled: 1-line block ×3, first 2 shown]
	s_mul_i32 s2, s17, 3
	s_mov_b32 s1, 0
.LBB151_10:                             ; =>This Inner Loop Header: Depth=1
	v_add_nc_u32_e32 v14, s15, v11
	v_add_nc_u32_e32 v18, s2, v11
	;; [unrolled: 1-line block ×3, first 2 shown]
	v_add_co_u32 v16, s0, v3, s8
	v_ashrrev_i32_e32 v15, 31, v14
	v_ashrrev_i32_e32 v19, 31, v18
	;; [unrolled: 1-line block ×3, first 2 shown]
	v_add_co_ci_u32_e64 v17, null, s9, v4, s0
	v_lshlrev_b64 v[14:15], 3, v[14:15]
	v_lshlrev_b64 v[18:19], 3, v[18:19]
	;; [unrolled: 1-line block ×3, first 2 shown]
	s_clause 0x1
	global_load_dwordx2 v[12:13], v[3:4], off offset:-4
	global_load_dwordx2 v[16:17], v[16:17], off offset:-4
	v_add_nc_u32_e32 v11, 0x100, v11
	v_add_co_u32 v14, s0, s13, v14
	v_add_co_ci_u32_e64 v15, null, s14, v15, s0
	v_add_co_u32 v18, s0, s13, v18
	v_add_co_ci_u32_e64 v19, null, s14, v19, s0
	;; [unrolled: 2-line block ×3, first 2 shown]
	s_clause 0x2
	global_load_dwordx2 v[14:15], v[14:15], off
	global_load_dwordx2 v[18:19], v[18:19], off
	;; [unrolled: 1-line block ×3, first 2 shown]
	global_load_dword v22, v[1:2], off
	v_add_co_u32 v1, s0, 0x400, v1
	v_add_co_ci_u32_e64 v2, null, 0, v2, s0
	v_add_co_u32 v3, s0, 0x800, v3
	v_add_co_ci_u32_e64 v4, null, 0, v4, s0
	v_cmp_le_i32_e64 s0, s12, v11
	s_or_b32 s1, s0, s1
	s_waitcnt vmcnt(5)
	v_cvt_f16_f32_e32 v12, v12
	v_cvt_f16_f32_e32 v13, v13
	s_waitcnt vmcnt(4)
	v_cvt_f16_f32_e32 v16, v16
	v_cvt_f16_f32_e32 v17, v17
	v_pack_b32_f16 v12, v12, v13
	v_pack_b32_f16 v13, v16, v17
	s_waitcnt vmcnt(3)
	v_cvt_f16_f32_e32 v14, v14
	v_cvt_f16_f32_e32 v15, v15
	s_waitcnt vmcnt(2)
	v_cvt_f16_f32_e32 v18, v18
	v_cvt_f16_f32_e32 v19, v19
	;; [unrolled: 3-line block ×3, first 2 shown]
	v_pack_b32_f16 v14, v14, v15
	s_waitcnt vmcnt(0)
	v_pk_fma_f16 v10, v22, v12, v10
	v_pack_b32_f16 v15, v18, v19
	v_pk_fma_f16 v9, v22, v13, v9
	v_pack_b32_f16 v16, v20, v21
	v_pk_fma_f16 v8, v22, v14, v8
	v_pk_fma_f16 v7, v22, v15, v7
	;; [unrolled: 1-line block ×3, first 2 shown]
	s_andn2_b32 exec_lo, exec_lo, s1
	s_cbranch_execnz .LBB151_10
; %bb.11:
	s_or_b32 exec_lo, exec_lo, s1
.LBB151_12:
	s_or_b32 exec_lo, exec_lo, s11
	v_mbcnt_lo_u32_b32 v2, -1, 0
	v_cvt_f32_f16_e32 v3, v10
	v_cvt_f32_f16_sdwa v4, v10 dst_sel:DWORD dst_unused:UNUSED_PAD src0_sel:WORD_1
	v_cvt_f32_f16_e32 v15, v9
	v_cvt_f32_f16_sdwa v16, v9 dst_sel:DWORD dst_unused:UNUSED_PAD src0_sel:WORD_1
	v_xor_b32_e32 v1, 16, v2
	v_cvt_f32_f16_sdwa v14, v8 dst_sel:DWORD dst_unused:UNUSED_PAD src0_sel:WORD_1
	v_add_f32_e32 v4, v3, v4
	v_xor_b32_e32 v3, 8, v2
	v_cmp_gt_i32_e64 s0, 32, v1
	v_cndmask_b32_e64 v1, v2, v1, s0
	v_cmp_gt_i32_e64 s0, 32, v3
	v_lshlrev_b32_e32 v1, 2, v1
	v_cndmask_b32_e64 v3, v2, v3, s0
	ds_bpermute_b32 v10, v1, v4
	v_lshlrev_b32_e32 v3, 2, v3
	s_waitcnt lgkmcnt(0)
	v_add_f32_e32 v10, v4, v10
	v_xor_b32_e32 v4, 4, v2
	ds_bpermute_b32 v11, v3, v10
	v_cmp_gt_i32_e64 s0, 32, v4
	v_cndmask_b32_e64 v4, v2, v4, s0
	v_lshlrev_b32_e32 v4, 2, v4
	s_waitcnt lgkmcnt(0)
	v_add_f32_e32 v11, v10, v11
	v_xor_b32_e32 v10, 2, v2
	ds_bpermute_b32 v12, v4, v11
	v_cmp_gt_i32_e64 s0, 32, v10
	v_cndmask_b32_e64 v10, v2, v10, s0
	;; [unrolled: 7-line block ×3, first 2 shown]
	v_lshlrev_b32_e32 v11, 2, v2
	s_waitcnt lgkmcnt(0)
	v_add_f32_e32 v2, v12, v13
	v_lshrrev_b32_e32 v13, 3, v0
	ds_bpermute_b32 v12, v11, v2
	v_and_b32_e32 v13, 0x7c, v13
	v_add_nc_u32_e32 v9, 0, v13
	s_waitcnt lgkmcnt(0)
	v_add_f32_e32 v2, v2, v12
	v_cvt_f32_f16_e32 v12, v8
	v_add_f32_e32 v8, v15, v16
	ds_write_b32 v9, v2
	s_waitcnt lgkmcnt(0)
	s_barrier
	buffer_gl0_inv
	s_and_saveexec_b32 s0, vcc_lo
	s_cbranch_execz .LBB151_14
; %bb.13:
	ds_read_b32 v2, v5
	s_waitcnt lgkmcnt(0)
	ds_bpermute_b32 v13, v1, v2
	s_waitcnt lgkmcnt(0)
	v_add_f32_e32 v2, v2, v13
	ds_bpermute_b32 v13, v3, v2
	s_waitcnt lgkmcnt(0)
	v_add_f32_e32 v2, v2, v13
	ds_bpermute_b32 v13, v4, v2
	s_waitcnt lgkmcnt(0)
	v_add_f32_e32 v2, v2, v13
	ds_bpermute_b32 v13, v10, v2
	s_waitcnt lgkmcnt(0)
	v_add_f32_e32 v2, v2, v13
	ds_bpermute_b32 v13, v11, v2
	s_waitcnt lgkmcnt(0)
	v_add_f32_e32 v2, v2, v13
.LBB151_14:
	s_or_b32 exec_lo, exec_lo, s0
	ds_bpermute_b32 v13, v1, v8
	v_add_f32_e32 v12, v12, v14
	s_waitcnt lgkmcnt(0)
	s_barrier
	buffer_gl0_inv
	v_add_f32_e32 v8, v8, v13
	ds_bpermute_b32 v13, v3, v8
	s_waitcnt lgkmcnt(0)
	v_add_f32_e32 v8, v8, v13
	ds_bpermute_b32 v13, v4, v8
	s_waitcnt lgkmcnt(0)
	;; [unrolled: 3-line block ×3, first 2 shown]
	v_add_f32_e32 v15, v8, v13
	v_cvt_f32_f16_e32 v8, v7
	v_cvt_f32_f16_sdwa v13, v7 dst_sel:DWORD dst_unused:UNUSED_PAD src0_sel:WORD_1
	ds_bpermute_b32 v16, v11, v15
	s_waitcnt lgkmcnt(0)
	v_add_f32_e32 v7, v15, v16
	ds_write_b32 v9, v7
	s_waitcnt lgkmcnt(0)
	s_barrier
	buffer_gl0_inv
	s_and_saveexec_b32 s0, vcc_lo
	s_cbranch_execz .LBB151_16
; %bb.15:
	ds_read_b32 v7, v5
	s_waitcnt lgkmcnt(0)
	ds_bpermute_b32 v14, v1, v7
	s_waitcnt lgkmcnt(0)
	v_add_f32_e32 v7, v7, v14
	ds_bpermute_b32 v14, v3, v7
	s_waitcnt lgkmcnt(0)
	v_add_f32_e32 v7, v7, v14
	;; [unrolled: 3-line block ×5, first 2 shown]
.LBB151_16:
	s_or_b32 exec_lo, exec_lo, s0
	ds_bpermute_b32 v14, v1, v12
	v_add_f32_e32 v8, v8, v13
	s_waitcnt lgkmcnt(0)
	s_barrier
	buffer_gl0_inv
	v_add_f32_e32 v12, v12, v14
	ds_bpermute_b32 v14, v3, v12
	s_waitcnt lgkmcnt(0)
	v_add_f32_e32 v12, v12, v14
	ds_bpermute_b32 v14, v4, v12
	s_waitcnt lgkmcnt(0)
	;; [unrolled: 3-line block ×3, first 2 shown]
	v_add_f32_e32 v15, v12, v14
	v_cvt_f32_f16_e32 v12, v6
	v_cvt_f32_f16_sdwa v14, v6 dst_sel:DWORD dst_unused:UNUSED_PAD src0_sel:WORD_1
	ds_bpermute_b32 v16, v11, v15
	s_waitcnt lgkmcnt(0)
	v_add_f32_e32 v6, v15, v16
	ds_write_b32 v9, v6
	s_waitcnt lgkmcnt(0)
	s_barrier
	buffer_gl0_inv
	s_and_saveexec_b32 s0, vcc_lo
	s_cbranch_execz .LBB151_18
; %bb.17:
	ds_read_b32 v6, v5
	s_waitcnt lgkmcnt(0)
	ds_bpermute_b32 v13, v1, v6
	s_waitcnt lgkmcnt(0)
	v_add_f32_e32 v6, v6, v13
	ds_bpermute_b32 v13, v3, v6
	s_waitcnt lgkmcnt(0)
	v_add_f32_e32 v6, v6, v13
	;; [unrolled: 3-line block ×5, first 2 shown]
.LBB151_18:
	s_or_b32 exec_lo, exec_lo, s0
	ds_bpermute_b32 v13, v1, v8
	v_add_f32_e32 v12, v12, v14
	s_waitcnt lgkmcnt(0)
	s_barrier
	buffer_gl0_inv
	v_add_f32_e32 v8, v8, v13
	ds_bpermute_b32 v13, v3, v8
	s_waitcnt lgkmcnt(0)
	v_add_f32_e32 v8, v8, v13
	ds_bpermute_b32 v13, v4, v8
	s_waitcnt lgkmcnt(0)
	;; [unrolled: 3-line block ×4, first 2 shown]
	v_add_f32_e32 v8, v8, v13
	ds_write_b32 v9, v8
	s_waitcnt lgkmcnt(0)
	s_barrier
	buffer_gl0_inv
	s_and_saveexec_b32 s0, vcc_lo
	s_cbranch_execz .LBB151_20
; %bb.19:
	ds_read_b32 v8, v5
	s_waitcnt lgkmcnt(0)
	ds_bpermute_b32 v13, v1, v8
	s_waitcnt lgkmcnt(0)
	v_add_f32_e32 v8, v8, v13
	ds_bpermute_b32 v13, v3, v8
	s_waitcnt lgkmcnt(0)
	v_add_f32_e32 v8, v8, v13
	;; [unrolled: 3-line block ×5, first 2 shown]
.LBB151_20:
	s_or_b32 exec_lo, exec_lo, s0
	ds_bpermute_b32 v13, v1, v12
	s_waitcnt lgkmcnt(0)
	s_barrier
	buffer_gl0_inv
	v_add_f32_e32 v12, v12, v13
	ds_bpermute_b32 v13, v3, v12
	s_waitcnt lgkmcnt(0)
	v_add_f32_e32 v12, v12, v13
	ds_bpermute_b32 v13, v4, v12
	s_waitcnt lgkmcnt(0)
	;; [unrolled: 3-line block ×4, first 2 shown]
	v_add_f32_e32 v12, v12, v13
	ds_write_b32 v9, v12
	s_waitcnt lgkmcnt(0)
	s_barrier
	buffer_gl0_inv
	s_and_saveexec_b32 s0, vcc_lo
	s_cbranch_execz .LBB151_22
; %bb.21:
	ds_read_b32 v5, v5
	s_waitcnt lgkmcnt(0)
	ds_bpermute_b32 v1, v1, v5
	s_waitcnt lgkmcnt(0)
	v_add_f32_e32 v1, v5, v1
	ds_bpermute_b32 v3, v3, v1
	s_waitcnt lgkmcnt(0)
	v_add_f32_e32 v1, v1, v3
	;; [unrolled: 3-line block ×5, first 2 shown]
.LBB151_22:
	s_or_b32 exec_lo, exec_lo, s0
	s_barrier
	buffer_gl0_inv
	s_mov_b32 s0, exec_lo
	v_cmpx_gt_u32_e32 5, v0
	s_cbranch_execz .LBB151_24
; %bb.23:
	s_load_dwordx2 s[0:1], s[4:5], 0x38
	v_cmp_eq_u32_e32 vcc_lo, 1, v0
	v_mad_u64_u32 v[3:4], null, s18, v0, s[6:7]
	s_mul_hi_i32 s3, s22, s10
	s_mul_i32 s2, s22, s10
	v_cndmask_b32_e32 v1, v2, v7, vcc_lo
	v_cmp_eq_u32_e32 vcc_lo, 2, v0
	s_mul_i32 s4, s26, s7
	s_lshl_b64 s[2:3], s[2:3], 2
	v_ashrrev_i32_e32 v4, 31, v3
	s_ashr_i32 s5, s4, 31
	v_cndmask_b32_e32 v1, v1, v6, vcc_lo
	v_cmp_eq_u32_e32 vcc_lo, 3, v0
	v_cndmask_b32_e32 v5, v1, v8, vcc_lo
	v_lshlrev_b64 v[1:2], 2, v[3:4]
	s_waitcnt lgkmcnt(0)
	s_add_u32 s2, s0, s2
	v_cmp_eq_u32_e32 vcc_lo, 4, v0
	s_addc_u32 s3, s1, s3
	s_lshl_b64 s[0:1], s[4:5], 2
	s_add_u32 s0, s2, s0
	v_cndmask_b32_e32 v3, v5, v12, vcc_lo
	s_addc_u32 s1, s3, s1
	v_add_co_u32 v0, vcc_lo, s0, v1
	v_add_co_ci_u32_e64 v1, null, s1, v2, vcc_lo
	global_store_dword v[0:1], v3, off
.LBB151_24:
	s_endpgm
	.section	.rodata,"a",@progbits
	.p2align	6, 0x0
	.amdhsa_kernel _ZL13mul_mat_vec_fI6__halfS0_Li5ELi256ELb0ELb0EEvPKT_PKfPKi31ggml_cuda_mm_fusion_args_devicePfi15HIP_vector_typeIjLj3EEiiiSB_iiiSB_iiii
		.amdhsa_group_segment_fixed_size 0
		.amdhsa_private_segment_fixed_size 0
		.amdhsa_kernarg_size 144
		.amdhsa_user_sgpr_count 6
		.amdhsa_user_sgpr_private_segment_buffer 1
		.amdhsa_user_sgpr_dispatch_ptr 0
		.amdhsa_user_sgpr_queue_ptr 0
		.amdhsa_user_sgpr_kernarg_segment_ptr 1
		.amdhsa_user_sgpr_dispatch_id 0
		.amdhsa_user_sgpr_flat_scratch_init 0
		.amdhsa_user_sgpr_private_segment_size 0
		.amdhsa_wavefront_size32 1
		.amdhsa_uses_dynamic_stack 0
		.amdhsa_system_sgpr_private_segment_wavefront_offset 0
		.amdhsa_system_sgpr_workgroup_id_x 1
		.amdhsa_system_sgpr_workgroup_id_y 1
		.amdhsa_system_sgpr_workgroup_id_z 1
		.amdhsa_system_sgpr_workgroup_info 0
		.amdhsa_system_vgpr_workitem_id 0
		.amdhsa_next_free_vgpr 23
		.amdhsa_next_free_sgpr 36
		.amdhsa_reserve_vcc 1
		.amdhsa_reserve_flat_scratch 0
		.amdhsa_float_round_mode_32 0
		.amdhsa_float_round_mode_16_64 0
		.amdhsa_float_denorm_mode_32 3
		.amdhsa_float_denorm_mode_16_64 3
		.amdhsa_dx10_clamp 1
		.amdhsa_ieee_mode 1
		.amdhsa_fp16_overflow 0
		.amdhsa_workgroup_processor_mode 1
		.amdhsa_memory_ordered 1
		.amdhsa_forward_progress 1
		.amdhsa_shared_vgpr_count 0
		.amdhsa_exception_fp_ieee_invalid_op 0
		.amdhsa_exception_fp_denorm_src 0
		.amdhsa_exception_fp_ieee_div_zero 0
		.amdhsa_exception_fp_ieee_overflow 0
		.amdhsa_exception_fp_ieee_underflow 0
		.amdhsa_exception_fp_ieee_inexact 0
		.amdhsa_exception_int_div_zero 0
	.end_amdhsa_kernel
	.section	.text._ZL13mul_mat_vec_fI6__halfS0_Li5ELi256ELb0ELb0EEvPKT_PKfPKi31ggml_cuda_mm_fusion_args_devicePfi15HIP_vector_typeIjLj3EEiiiSB_iiiSB_iiii,"axG",@progbits,_ZL13mul_mat_vec_fI6__halfS0_Li5ELi256ELb0ELb0EEvPKT_PKfPKi31ggml_cuda_mm_fusion_args_devicePfi15HIP_vector_typeIjLj3EEiiiSB_iiiSB_iiii,comdat
.Lfunc_end151:
	.size	_ZL13mul_mat_vec_fI6__halfS0_Li5ELi256ELb0ELb0EEvPKT_PKfPKi31ggml_cuda_mm_fusion_args_devicePfi15HIP_vector_typeIjLj3EEiiiSB_iiiSB_iiii, .Lfunc_end151-_ZL13mul_mat_vec_fI6__halfS0_Li5ELi256ELb0ELb0EEvPKT_PKfPKi31ggml_cuda_mm_fusion_args_devicePfi15HIP_vector_typeIjLj3EEiiiSB_iiiSB_iiii
                                        ; -- End function
	.set _ZL13mul_mat_vec_fI6__halfS0_Li5ELi256ELb0ELb0EEvPKT_PKfPKi31ggml_cuda_mm_fusion_args_devicePfi15HIP_vector_typeIjLj3EEiiiSB_iiiSB_iiii.num_vgpr, 23
	.set _ZL13mul_mat_vec_fI6__halfS0_Li5ELi256ELb0ELb0EEvPKT_PKfPKi31ggml_cuda_mm_fusion_args_devicePfi15HIP_vector_typeIjLj3EEiiiSB_iiiSB_iiii.num_agpr, 0
	.set _ZL13mul_mat_vec_fI6__halfS0_Li5ELi256ELb0ELb0EEvPKT_PKfPKi31ggml_cuda_mm_fusion_args_devicePfi15HIP_vector_typeIjLj3EEiiiSB_iiiSB_iiii.numbered_sgpr, 36
	.set _ZL13mul_mat_vec_fI6__halfS0_Li5ELi256ELb0ELb0EEvPKT_PKfPKi31ggml_cuda_mm_fusion_args_devicePfi15HIP_vector_typeIjLj3EEiiiSB_iiiSB_iiii.num_named_barrier, 0
	.set _ZL13mul_mat_vec_fI6__halfS0_Li5ELi256ELb0ELb0EEvPKT_PKfPKi31ggml_cuda_mm_fusion_args_devicePfi15HIP_vector_typeIjLj3EEiiiSB_iiiSB_iiii.private_seg_size, 0
	.set _ZL13mul_mat_vec_fI6__halfS0_Li5ELi256ELb0ELb0EEvPKT_PKfPKi31ggml_cuda_mm_fusion_args_devicePfi15HIP_vector_typeIjLj3EEiiiSB_iiiSB_iiii.uses_vcc, 1
	.set _ZL13mul_mat_vec_fI6__halfS0_Li5ELi256ELb0ELb0EEvPKT_PKfPKi31ggml_cuda_mm_fusion_args_devicePfi15HIP_vector_typeIjLj3EEiiiSB_iiiSB_iiii.uses_flat_scratch, 0
	.set _ZL13mul_mat_vec_fI6__halfS0_Li5ELi256ELb0ELb0EEvPKT_PKfPKi31ggml_cuda_mm_fusion_args_devicePfi15HIP_vector_typeIjLj3EEiiiSB_iiiSB_iiii.has_dyn_sized_stack, 0
	.set _ZL13mul_mat_vec_fI6__halfS0_Li5ELi256ELb0ELb0EEvPKT_PKfPKi31ggml_cuda_mm_fusion_args_devicePfi15HIP_vector_typeIjLj3EEiiiSB_iiiSB_iiii.has_recursion, 0
	.set _ZL13mul_mat_vec_fI6__halfS0_Li5ELi256ELb0ELb0EEvPKT_PKfPKi31ggml_cuda_mm_fusion_args_devicePfi15HIP_vector_typeIjLj3EEiiiSB_iiiSB_iiii.has_indirect_call, 0
	.section	.AMDGPU.csdata,"",@progbits
; Kernel info:
; codeLenInByte = 2364
; TotalNumSgprs: 38
; NumVgprs: 23
; ScratchSize: 0
; MemoryBound: 0
; FloatMode: 240
; IeeeMode: 1
; LDSByteSize: 0 bytes/workgroup (compile time only)
; SGPRBlocks: 0
; VGPRBlocks: 2
; NumSGPRsForWavesPerEU: 38
; NumVGPRsForWavesPerEU: 23
; Occupancy: 16
; WaveLimiterHint : 0
; COMPUTE_PGM_RSRC2:SCRATCH_EN: 0
; COMPUTE_PGM_RSRC2:USER_SGPR: 6
; COMPUTE_PGM_RSRC2:TRAP_HANDLER: 0
; COMPUTE_PGM_RSRC2:TGID_X_EN: 1
; COMPUTE_PGM_RSRC2:TGID_Y_EN: 1
; COMPUTE_PGM_RSRC2:TGID_Z_EN: 1
; COMPUTE_PGM_RSRC2:TIDIG_COMP_CNT: 0
	.section	.text._ZL13mul_mat_vec_fI6__halfS0_Li6ELi32ELb0ELb0EEvPKT_PKfPKi31ggml_cuda_mm_fusion_args_devicePfi15HIP_vector_typeIjLj3EEiiiSB_iiiSB_iiii,"axG",@progbits,_ZL13mul_mat_vec_fI6__halfS0_Li6ELi32ELb0ELb0EEvPKT_PKfPKi31ggml_cuda_mm_fusion_args_devicePfi15HIP_vector_typeIjLj3EEiiiSB_iiiSB_iiii,comdat
	.globl	_ZL13mul_mat_vec_fI6__halfS0_Li6ELi32ELb0ELb0EEvPKT_PKfPKi31ggml_cuda_mm_fusion_args_devicePfi15HIP_vector_typeIjLj3EEiiiSB_iiiSB_iiii ; -- Begin function _ZL13mul_mat_vec_fI6__halfS0_Li6ELi32ELb0ELb0EEvPKT_PKfPKi31ggml_cuda_mm_fusion_args_devicePfi15HIP_vector_typeIjLj3EEiiiSB_iiiSB_iiii
	.p2align	8
	.type	_ZL13mul_mat_vec_fI6__halfS0_Li6ELi32ELb0ELb0EEvPKT_PKfPKi31ggml_cuda_mm_fusion_args_devicePfi15HIP_vector_typeIjLj3EEiiiSB_iiiSB_iiii,@function
_ZL13mul_mat_vec_fI6__halfS0_Li6ELi32ELb0ELb0EEvPKT_PKfPKi31ggml_cuda_mm_fusion_args_devicePfi15HIP_vector_typeIjLj3EEiiiSB_iiiSB_iiii: ; @_ZL13mul_mat_vec_fI6__halfS0_Li6ELi32ELb0ELb0EEvPKT_PKfPKi31ggml_cuda_mm_fusion_args_devicePfi15HIP_vector_typeIjLj3EEiiiSB_iiiSB_iiii
; %bb.0:
	s_clause 0x2
	s_load_dwordx2 s[20:21], s[4:5], 0x10
	s_load_dwordx8 s[12:19], s[4:5], 0x40
	s_load_dwordx4 s[0:3], s[4:5], 0x80
	s_waitcnt lgkmcnt(0)
	s_cmp_eq_u64 s[20:21], 0
	s_cselect_b32 s9, -1, 0
	s_cmp_lg_u64 s[20:21], 0
	s_cselect_b32 s25, -1, 0
	s_and_b32 vcc_lo, exec_lo, s9
	s_cbranch_vccnz .LBB152_2
; %bb.1:
	s_mul_i32 s3, s3, s8
	s_mov_b32 s11, 0
	s_add_i32 s10, s3, s7
	s_lshl_b64 s[22:23], s[10:11], 2
	s_add_u32 s20, s20, s22
	s_addc_u32 s21, s21, s23
	s_load_dword s24, s[20:21], 0x0
	s_load_dwordx4 s[20:23], s[4:5], 0x68
	s_cbranch_execz .LBB152_3
	s_branch .LBB152_4
.LBB152_2:
                                        ; implicit-def: $sgpr24
	s_load_dwordx4 s[20:23], s[4:5], 0x68
.LBB152_3:
	s_load_dwordx2 s[10:11], s[4:5], 0x5c
	s_waitcnt lgkmcnt(0)
	s_mul_hi_u32 s3, s10, s7
	s_add_i32 s3, s7, s3
	s_lshr_b32 s24, s3, s11
.LBB152_4:
	s_load_dword s19, s[4:5], 0x78
	s_andn2_b32 vcc_lo, exec_lo, s25
	s_mov_b32 s25, s7
	s_cbranch_vccnz .LBB152_6
; %bb.5:
	s_mul_hi_u32 s3, s13, s7
	s_add_i32 s3, s7, s3
	s_lshr_b32 s3, s3, s14
	s_mul_i32 s3, s3, s15
	s_sub_i32 s25, s7, s3
.LBB152_6:
	v_mov_b32_e32 v10, 0
	v_mov_b32_e32 v9, 0
	;; [unrolled: 1-line block ×6, first 2 shown]
	s_and_b32 s3, exec_lo, s9
	s_cselect_b32 s3, s8, 0
	s_mov_b32 s13, exec_lo
	v_cmpx_gt_i32_e64 s12, v0
	s_cbranch_execz .LBB152_10
; %bb.7:
	s_load_dwordx4 s[8:11], s[4:5], 0x0
	s_waitcnt lgkmcnt(0)
	s_mul_hi_u32 s23, s23, s3
	s_mul_hi_i32 s15, s1, s3
	s_mul_i32 s14, s1, s3
	s_mul_i32 s20, s24, s20
	s_add_i32 s1, s3, s23
	s_lshl_b64 s[30:31], s[14:15], 2
	s_mul_i32 s24, s16, s6
	s_mul_i32 s26, s25, s21
	s_ashr_i32 s21, s20, 31
	s_lshr_b32 s16, s1, s19
	s_mov_b32 s28, s17
	s_mul_hi_i32 s1, s16, s0
	s_mul_i32 s0, s16, s0
	v_lshlrev_b32_e32 v2, 3, v0
	v_lshlrev_b32_e32 v1, 2, v0
	v_mov_b32_e32 v5, 0
	v_mov_b32_e32 v6, 0
	v_mov_b32_e32 v7, 0
	v_mov_b32_e32 v8, 0
	s_add_u32 s14, s10, s30
	s_addc_u32 s15, s11, s31
	s_ashr_i32 s27, s26, 31
	s_ashr_i32 s25, s24, 31
	s_lshl_b64 s[26:27], s[26:27], 2
	v_mov_b32_e32 v9, 0
	s_add_u32 s14, s14, s26
	s_addc_u32 s15, s15, s27
	s_lshl_b64 s[20:21], s[20:21], 1
	s_ashr_i32 s29, s17, 31
	s_add_i32 s16, s17, s17
	s_lshl_b32 s19, s17, 2
	s_lshl_b64 s[0:1], s[0:1], 1
	s_lshl_b64 s[24:25], s[24:25], 1
	s_add_u32 s8, s8, s20
	s_addc_u32 s9, s9, s21
	s_add_u32 s8, s8, s24
	s_addc_u32 s9, s9, s25
	;; [unrolled: 2-line block ×3, first 2 shown]
	s_lshl_b64 s[0:1], s[28:29], 3
	s_add_u32 s10, s10, s26
	s_addc_u32 s11, s11, s27
	s_add_u32 s10, s10, s30
	s_addc_u32 s11, s11, s31
	v_add_co_u32 v3, s10, s10, v2
	v_add_co_ci_u32_e64 v4, null, s11, 0, s10
	v_add_co_u32 v1, s8, s8, v1
	v_add_co_u32 v3, vcc_lo, v3, 4
	v_add_co_ci_u32_e64 v2, null, s9, 0, s8
	v_add_co_ci_u32_e64 v4, null, 0, v4, vcc_lo
	v_mov_b32_e32 v10, 0
	v_mov_b32_e32 v11, v0
	s_mul_i32 s8, s17, 3
	s_mul_i32 s10, s17, 5
	s_mov_b32 s9, 0
.LBB152_8:                              ; =>This Inner Loop Header: Depth=1
	v_add_nc_u32_e32 v14, s16, v11
	v_add_nc_u32_e32 v18, s8, v11
	;; [unrolled: 1-line block ×4, first 2 shown]
	v_add_co_u32 v16, vcc_lo, v3, s0
	v_ashrrev_i32_e32 v15, 31, v14
	v_ashrrev_i32_e32 v19, 31, v18
	;; [unrolled: 1-line block ×4, first 2 shown]
	global_load_dwordx2 v[12:13], v[3:4], off offset:-4
	v_lshlrev_b64 v[14:15], 3, v[14:15]
	v_lshlrev_b64 v[18:19], 3, v[18:19]
	;; [unrolled: 1-line block ×3, first 2 shown]
	v_add_co_ci_u32_e64 v17, null, s1, v4, vcc_lo
	v_lshlrev_b64 v[22:23], 3, v[22:23]
	v_add_co_u32 v14, vcc_lo, s14, v14
	v_add_co_ci_u32_e64 v15, null, s15, v15, vcc_lo
	v_add_co_u32 v18, vcc_lo, s14, v18
	v_add_co_ci_u32_e64 v19, null, s15, v19, vcc_lo
	;; [unrolled: 2-line block ×4, first 2 shown]
	global_load_dwordx2 v[16:17], v[16:17], off offset:-4
	s_clause 0x3
	global_load_dwordx2 v[14:15], v[14:15], off
	global_load_dwordx2 v[18:19], v[18:19], off
	;; [unrolled: 1-line block ×4, first 2 shown]
	global_load_dword v24, v[1:2], off
	v_add_nc_u32_e32 v11, 32, v11
	v_add_co_u32 v1, vcc_lo, 0x80, v1
	v_add_co_ci_u32_e64 v2, null, 0, v2, vcc_lo
	v_add_co_u32 v3, vcc_lo, 0x100, v3
	v_add_co_ci_u32_e64 v4, null, 0, v4, vcc_lo
	v_cmp_le_i32_e32 vcc_lo, s12, v11
	s_or_b32 s9, vcc_lo, s9
	s_waitcnt vmcnt(6)
	v_cvt_f16_f32_e32 v12, v12
	v_cvt_f16_f32_e32 v13, v13
	v_pack_b32_f16 v12, v12, v13
	s_waitcnt vmcnt(5)
	v_cvt_f16_f32_e32 v13, v16
	v_cvt_f16_f32_e32 v16, v17
	s_waitcnt vmcnt(0)
	v_pk_fma_f16 v10, v24, v12, v10
	v_cvt_f16_f32_e32 v12, v14
	v_cvt_f16_f32_e32 v14, v15
	;; [unrolled: 1-line block ×8, first 2 shown]
	v_pack_b32_f16 v13, v13, v16
	v_pack_b32_f16 v12, v12, v14
	;; [unrolled: 1-line block ×5, first 2 shown]
	v_pk_fma_f16 v9, v24, v13, v9
	v_pk_fma_f16 v8, v24, v12, v8
	;; [unrolled: 1-line block ×5, first 2 shown]
	s_andn2_b32 exec_lo, exec_lo, s9
	s_cbranch_execnz .LBB152_8
; %bb.9:
	s_or_b32 exec_lo, exec_lo, s9
.LBB152_10:
	s_or_b32 exec_lo, exec_lo, s13
	v_cvt_f32_f16_e32 v1, v10
	v_cvt_f32_f16_sdwa v2, v10 dst_sel:DWORD dst_unused:UNUSED_PAD src0_sel:WORD_1
	v_cvt_f32_f16_e32 v3, v9
	v_cvt_f32_f16_sdwa v4, v9 dst_sel:DWORD dst_unused:UNUSED_PAD src0_sel:WORD_1
	v_mbcnt_lo_u32_b32 v9, -1, 0
	v_cvt_f32_f16_e32 v10, v7
	v_add_f32_e32 v1, v1, v2
	v_cvt_f32_f16_sdwa v7, v7 dst_sel:DWORD dst_unused:UNUSED_PAD src0_sel:WORD_1
	v_add_f32_e32 v2, v3, v4
	v_xor_b32_e32 v3, 16, v9
	v_cvt_f32_f16_e32 v4, v8
	v_cvt_f32_f16_sdwa v8, v8 dst_sel:DWORD dst_unused:UNUSED_PAD src0_sel:WORD_1
	v_cvt_f32_f16_e32 v11, v6
	v_cvt_f32_f16_sdwa v6, v6 dst_sel:DWORD dst_unused:UNUSED_PAD src0_sel:WORD_1
	v_cmp_gt_i32_e32 vcc_lo, 32, v3
	v_cvt_f32_f16_e32 v12, v5
	v_cvt_f32_f16_sdwa v5, v5 dst_sel:DWORD dst_unused:UNUSED_PAD src0_sel:WORD_1
	v_add_f32_e32 v4, v4, v8
	v_add_f32_e32 v7, v10, v7
	v_cndmask_b32_e32 v3, v9, v3, vcc_lo
	v_add_f32_e32 v6, v11, v6
	v_add_f32_e32 v5, v12, v5
	v_xor_b32_e32 v14, 8, v9
	s_mov_b32 s0, exec_lo
	v_lshlrev_b32_e32 v3, 2, v3
	v_cmp_gt_i32_e32 vcc_lo, 32, v14
	ds_bpermute_b32 v8, v3, v1
	ds_bpermute_b32 v10, v3, v2
	;; [unrolled: 1-line block ×6, first 2 shown]
	v_cndmask_b32_e32 v14, v9, v14, vcc_lo
	v_lshlrev_b32_e32 v14, 2, v14
	s_waitcnt lgkmcnt(0)
	v_add_f32_e32 v1, v1, v8
	v_add_f32_e32 v2, v2, v10
	v_add_f32_e32 v4, v4, v11
	v_add_f32_e32 v7, v7, v12
	v_add_f32_e32 v6, v6, v13
	v_add_f32_e32 v3, v5, v3
	ds_bpermute_b32 v5, v14, v1
	ds_bpermute_b32 v8, v14, v2
	;; [unrolled: 1-line block ×6, first 2 shown]
	v_xor_b32_e32 v14, 4, v9
	v_cmp_gt_i32_e32 vcc_lo, 32, v14
	v_cndmask_b32_e32 v14, v9, v14, vcc_lo
	s_waitcnt lgkmcnt(5)
	v_add_f32_e32 v1, v1, v5
	v_lshlrev_b32_e32 v14, 2, v14
	s_waitcnt lgkmcnt(4)
	v_add_f32_e32 v2, v2, v8
	s_waitcnt lgkmcnt(3)
	v_add_f32_e32 v4, v4, v10
	s_waitcnt lgkmcnt(2)
	v_add_f32_e32 v5, v7, v11
	s_waitcnt lgkmcnt(1)
	v_add_f32_e32 v6, v6, v12
	s_waitcnt lgkmcnt(0)
	v_add_f32_e32 v3, v3, v13
	ds_bpermute_b32 v7, v14, v1
	ds_bpermute_b32 v8, v14, v2
	;; [unrolled: 1-line block ×6, first 2 shown]
	v_xor_b32_e32 v14, 2, v9
	v_cmp_gt_i32_e32 vcc_lo, 32, v14
	v_cndmask_b32_e32 v14, v9, v14, vcc_lo
	s_waitcnt lgkmcnt(5)
	v_add_f32_e32 v1, v1, v7
	v_lshlrev_b32_e32 v14, 2, v14
	s_waitcnt lgkmcnt(4)
	v_add_f32_e32 v2, v2, v8
	s_waitcnt lgkmcnt(3)
	v_add_f32_e32 v4, v4, v10
	s_waitcnt lgkmcnt(2)
	v_add_f32_e32 v5, v5, v11
	s_waitcnt lgkmcnt(1)
	v_add_f32_e32 v6, v6, v12
	s_waitcnt lgkmcnt(0)
	v_add_f32_e32 v10, v3, v13
	ds_bpermute_b32 v3, v14, v1
	ds_bpermute_b32 v8, v14, v2
	;; [unrolled: 1-line block ×6, first 2 shown]
	v_xor_b32_e32 v7, 1, v9
	v_cmp_gt_i32_e32 vcc_lo, 32, v7
	v_cndmask_b32_e32 v7, v9, v7, vcc_lo
	v_lshlrev_b32_e32 v15, 2, v7
	s_waitcnt lgkmcnt(5)
	v_add_f32_e32 v7, v1, v3
	s_waitcnt lgkmcnt(4)
	v_add_f32_e32 v8, v2, v8
	;; [unrolled: 2-line block ×6, first 2 shown]
	ds_bpermute_b32 v10, v15, v7
	ds_bpermute_b32 v11, v15, v8
	;; [unrolled: 1-line block ×6, first 2 shown]
	v_cmpx_gt_u32_e32 6, v0
	s_cbranch_execz .LBB152_12
; %bb.11:
	s_load_dwordx2 s[0:1], s[4:5], 0x38
	s_waitcnt lgkmcnt(0)
	v_add_f32_e32 v10, v7, v10
	v_add_f32_e32 v11, v8, v11
	v_cmp_eq_u32_e32 vcc_lo, 1, v0
	v_mad_u64_u32 v[7:8], null, s18, v0, s[6:7]
	v_add_f32_e32 v9, v9, v12
	v_add_f32_e32 v4, v4, v6
	v_cndmask_b32_e32 v8, v10, v11, vcc_lo
	v_cmp_eq_u32_e32 vcc_lo, 2, v0
	s_mul_hi_i32 s5, s2, s3
	s_mul_i32 s4, s2, s3
	v_add_f32_e32 v3, v3, v5
	s_lshl_b64 s[4:5], s[4:5], 2
	v_cndmask_b32_e32 v6, v8, v9, vcc_lo
	v_cmp_eq_u32_e32 vcc_lo, 3, v0
	v_ashrrev_i32_e32 v8, 31, v7
	s_mul_i32 s2, s22, s7
	v_add_f32_e32 v5, v1, v2
	v_cndmask_b32_e32 v4, v6, v4, vcc_lo
	v_cmp_eq_u32_e32 vcc_lo, 4, v0
	s_add_u32 s4, s0, s4
	s_addc_u32 s5, s1, s5
	s_ashr_i32 s3, s2, 31
	v_lshlrev_b64 v[1:2], 2, v[7:8]
	v_cndmask_b32_e32 v3, v4, v3, vcc_lo
	v_cmp_eq_u32_e32 vcc_lo, 5, v0
	s_lshl_b64 s[0:1], s[2:3], 2
	s_add_u32 s0, s4, s0
	s_addc_u32 s1, s5, s1
	v_cndmask_b32_e32 v3, v3, v5, vcc_lo
	v_add_co_u32 v0, vcc_lo, s0, v1
	v_add_co_ci_u32_e64 v1, null, s1, v2, vcc_lo
	global_store_dword v[0:1], v3, off
.LBB152_12:
	s_endpgm
	.section	.rodata,"a",@progbits
	.p2align	6, 0x0
	.amdhsa_kernel _ZL13mul_mat_vec_fI6__halfS0_Li6ELi32ELb0ELb0EEvPKT_PKfPKi31ggml_cuda_mm_fusion_args_devicePfi15HIP_vector_typeIjLj3EEiiiSB_iiiSB_iiii
		.amdhsa_group_segment_fixed_size 0
		.amdhsa_private_segment_fixed_size 0
		.amdhsa_kernarg_size 144
		.amdhsa_user_sgpr_count 6
		.amdhsa_user_sgpr_private_segment_buffer 1
		.amdhsa_user_sgpr_dispatch_ptr 0
		.amdhsa_user_sgpr_queue_ptr 0
		.amdhsa_user_sgpr_kernarg_segment_ptr 1
		.amdhsa_user_sgpr_dispatch_id 0
		.amdhsa_user_sgpr_flat_scratch_init 0
		.amdhsa_user_sgpr_private_segment_size 0
		.amdhsa_wavefront_size32 1
		.amdhsa_uses_dynamic_stack 0
		.amdhsa_system_sgpr_private_segment_wavefront_offset 0
		.amdhsa_system_sgpr_workgroup_id_x 1
		.amdhsa_system_sgpr_workgroup_id_y 1
		.amdhsa_system_sgpr_workgroup_id_z 1
		.amdhsa_system_sgpr_workgroup_info 0
		.amdhsa_system_vgpr_workitem_id 0
		.amdhsa_next_free_vgpr 25
		.amdhsa_next_free_sgpr 32
		.amdhsa_reserve_vcc 1
		.amdhsa_reserve_flat_scratch 0
		.amdhsa_float_round_mode_32 0
		.amdhsa_float_round_mode_16_64 0
		.amdhsa_float_denorm_mode_32 3
		.amdhsa_float_denorm_mode_16_64 3
		.amdhsa_dx10_clamp 1
		.amdhsa_ieee_mode 1
		.amdhsa_fp16_overflow 0
		.amdhsa_workgroup_processor_mode 1
		.amdhsa_memory_ordered 1
		.amdhsa_forward_progress 1
		.amdhsa_shared_vgpr_count 0
		.amdhsa_exception_fp_ieee_invalid_op 0
		.amdhsa_exception_fp_denorm_src 0
		.amdhsa_exception_fp_ieee_div_zero 0
		.amdhsa_exception_fp_ieee_overflow 0
		.amdhsa_exception_fp_ieee_underflow 0
		.amdhsa_exception_fp_ieee_inexact 0
		.amdhsa_exception_int_div_zero 0
	.end_amdhsa_kernel
	.section	.text._ZL13mul_mat_vec_fI6__halfS0_Li6ELi32ELb0ELb0EEvPKT_PKfPKi31ggml_cuda_mm_fusion_args_devicePfi15HIP_vector_typeIjLj3EEiiiSB_iiiSB_iiii,"axG",@progbits,_ZL13mul_mat_vec_fI6__halfS0_Li6ELi32ELb0ELb0EEvPKT_PKfPKi31ggml_cuda_mm_fusion_args_devicePfi15HIP_vector_typeIjLj3EEiiiSB_iiiSB_iiii,comdat
.Lfunc_end152:
	.size	_ZL13mul_mat_vec_fI6__halfS0_Li6ELi32ELb0ELb0EEvPKT_PKfPKi31ggml_cuda_mm_fusion_args_devicePfi15HIP_vector_typeIjLj3EEiiiSB_iiiSB_iiii, .Lfunc_end152-_ZL13mul_mat_vec_fI6__halfS0_Li6ELi32ELb0ELb0EEvPKT_PKfPKi31ggml_cuda_mm_fusion_args_devicePfi15HIP_vector_typeIjLj3EEiiiSB_iiiSB_iiii
                                        ; -- End function
	.set _ZL13mul_mat_vec_fI6__halfS0_Li6ELi32ELb0ELb0EEvPKT_PKfPKi31ggml_cuda_mm_fusion_args_devicePfi15HIP_vector_typeIjLj3EEiiiSB_iiiSB_iiii.num_vgpr, 25
	.set _ZL13mul_mat_vec_fI6__halfS0_Li6ELi32ELb0ELb0EEvPKT_PKfPKi31ggml_cuda_mm_fusion_args_devicePfi15HIP_vector_typeIjLj3EEiiiSB_iiiSB_iiii.num_agpr, 0
	.set _ZL13mul_mat_vec_fI6__halfS0_Li6ELi32ELb0ELb0EEvPKT_PKfPKi31ggml_cuda_mm_fusion_args_devicePfi15HIP_vector_typeIjLj3EEiiiSB_iiiSB_iiii.numbered_sgpr, 32
	.set _ZL13mul_mat_vec_fI6__halfS0_Li6ELi32ELb0ELb0EEvPKT_PKfPKi31ggml_cuda_mm_fusion_args_devicePfi15HIP_vector_typeIjLj3EEiiiSB_iiiSB_iiii.num_named_barrier, 0
	.set _ZL13mul_mat_vec_fI6__halfS0_Li6ELi32ELb0ELb0EEvPKT_PKfPKi31ggml_cuda_mm_fusion_args_devicePfi15HIP_vector_typeIjLj3EEiiiSB_iiiSB_iiii.private_seg_size, 0
	.set _ZL13mul_mat_vec_fI6__halfS0_Li6ELi32ELb0ELb0EEvPKT_PKfPKi31ggml_cuda_mm_fusion_args_devicePfi15HIP_vector_typeIjLj3EEiiiSB_iiiSB_iiii.uses_vcc, 1
	.set _ZL13mul_mat_vec_fI6__halfS0_Li6ELi32ELb0ELb0EEvPKT_PKfPKi31ggml_cuda_mm_fusion_args_devicePfi15HIP_vector_typeIjLj3EEiiiSB_iiiSB_iiii.uses_flat_scratch, 0
	.set _ZL13mul_mat_vec_fI6__halfS0_Li6ELi32ELb0ELb0EEvPKT_PKfPKi31ggml_cuda_mm_fusion_args_devicePfi15HIP_vector_typeIjLj3EEiiiSB_iiiSB_iiii.has_dyn_sized_stack, 0
	.set _ZL13mul_mat_vec_fI6__halfS0_Li6ELi32ELb0ELb0EEvPKT_PKfPKi31ggml_cuda_mm_fusion_args_devicePfi15HIP_vector_typeIjLj3EEiiiSB_iiiSB_iiii.has_recursion, 0
	.set _ZL13mul_mat_vec_fI6__halfS0_Li6ELi32ELb0ELb0EEvPKT_PKfPKi31ggml_cuda_mm_fusion_args_devicePfi15HIP_vector_typeIjLj3EEiiiSB_iiiSB_iiii.has_indirect_call, 0
	.section	.AMDGPU.csdata,"",@progbits
; Kernel info:
; codeLenInByte = 1680
; TotalNumSgprs: 34
; NumVgprs: 25
; ScratchSize: 0
; MemoryBound: 0
; FloatMode: 240
; IeeeMode: 1
; LDSByteSize: 0 bytes/workgroup (compile time only)
; SGPRBlocks: 0
; VGPRBlocks: 3
; NumSGPRsForWavesPerEU: 34
; NumVGPRsForWavesPerEU: 25
; Occupancy: 16
; WaveLimiterHint : 0
; COMPUTE_PGM_RSRC2:SCRATCH_EN: 0
; COMPUTE_PGM_RSRC2:USER_SGPR: 6
; COMPUTE_PGM_RSRC2:TRAP_HANDLER: 0
; COMPUTE_PGM_RSRC2:TGID_X_EN: 1
; COMPUTE_PGM_RSRC2:TGID_Y_EN: 1
; COMPUTE_PGM_RSRC2:TGID_Z_EN: 1
; COMPUTE_PGM_RSRC2:TIDIG_COMP_CNT: 0
	.section	.text._ZL13mul_mat_vec_fI6__halfS0_Li6ELi64ELb0ELb0EEvPKT_PKfPKi31ggml_cuda_mm_fusion_args_devicePfi15HIP_vector_typeIjLj3EEiiiSB_iiiSB_iiii,"axG",@progbits,_ZL13mul_mat_vec_fI6__halfS0_Li6ELi64ELb0ELb0EEvPKT_PKfPKi31ggml_cuda_mm_fusion_args_devicePfi15HIP_vector_typeIjLj3EEiiiSB_iiiSB_iiii,comdat
	.globl	_ZL13mul_mat_vec_fI6__halfS0_Li6ELi64ELb0ELb0EEvPKT_PKfPKi31ggml_cuda_mm_fusion_args_devicePfi15HIP_vector_typeIjLj3EEiiiSB_iiiSB_iiii ; -- Begin function _ZL13mul_mat_vec_fI6__halfS0_Li6ELi64ELb0ELb0EEvPKT_PKfPKi31ggml_cuda_mm_fusion_args_devicePfi15HIP_vector_typeIjLj3EEiiiSB_iiiSB_iiii
	.p2align	8
	.type	_ZL13mul_mat_vec_fI6__halfS0_Li6ELi64ELb0ELb0EEvPKT_PKfPKi31ggml_cuda_mm_fusion_args_devicePfi15HIP_vector_typeIjLj3EEiiiSB_iiiSB_iiii,@function
_ZL13mul_mat_vec_fI6__halfS0_Li6ELi64ELb0ELb0EEvPKT_PKfPKi31ggml_cuda_mm_fusion_args_devicePfi15HIP_vector_typeIjLj3EEiiiSB_iiiSB_iiii: ; @_ZL13mul_mat_vec_fI6__halfS0_Li6ELi64ELb0ELb0EEvPKT_PKfPKi31ggml_cuda_mm_fusion_args_devicePfi15HIP_vector_typeIjLj3EEiiiSB_iiiSB_iiii
; %bb.0:
	s_clause 0x2
	s_load_dwordx2 s[0:1], s[4:5], 0x10
	s_load_dwordx8 s[12:19], s[4:5], 0x40
	s_load_dwordx4 s[20:23], s[4:5], 0x80
	s_waitcnt lgkmcnt(0)
	s_cmp_eq_u64 s[0:1], 0
	s_cselect_b32 s10, -1, 0
	s_cmp_lg_u64 s[0:1], 0
	s_cselect_b32 s11, -1, 0
	s_and_b32 vcc_lo, exec_lo, s10
	s_cbranch_vccnz .LBB153_2
; %bb.1:
	s_mul_i32 s2, s23, s8
	s_mov_b32 s3, 0
	s_add_i32 s2, s2, s7
	s_lshl_b64 s[24:25], s[2:3], 2
	s_add_u32 s0, s0, s24
	s_addc_u32 s1, s1, s25
	s_load_dword s9, s[0:1], 0x0
	s_cbranch_execz .LBB153_3
	s_branch .LBB153_4
.LBB153_2:
                                        ; implicit-def: $sgpr9
.LBB153_3:
	s_load_dwordx2 s[0:1], s[4:5], 0x5c
	s_waitcnt lgkmcnt(0)
	s_mul_hi_u32 s0, s0, s7
	s_add_i32 s0, s7, s0
	s_lshr_b32 s9, s0, s1
.LBB153_4:
	s_load_dwordx4 s[24:27], s[4:5], 0x68
	s_andn2_b32 vcc_lo, exec_lo, s11
	s_mov_b32 s19, s7
	s_cbranch_vccnz .LBB153_6
; %bb.5:
	s_mul_hi_u32 s0, s13, s7
	s_add_i32 s0, s7, s0
	s_lshr_b32 s0, s0, s14
	s_mul_i32 s0, s0, s15
	s_sub_i32 s19, s7, s0
.LBB153_6:
	s_load_dword s13, s[4:5], 0x78
	v_cmp_gt_u32_e32 vcc_lo, 32, v0
	v_lshl_add_u32 v5, v0, 2, 0
	s_and_saveexec_b32 s0, vcc_lo
; %bb.7:
	v_mov_b32_e32 v1, 0
	ds_write_b32 v5, v1
; %bb.8:
	s_or_b32 exec_lo, exec_lo, s0
	v_mov_b32_e32 v9, 0
	v_mov_b32_e32 v12, 0
	;; [unrolled: 1-line block ×6, first 2 shown]
	s_and_b32 s0, exec_lo, s10
	s_cselect_b32 s10, s8, 0
	s_mov_b32 s11, exec_lo
	s_waitcnt lgkmcnt(0)
	s_barrier
	buffer_gl0_inv
	v_cmpx_gt_i32_e64 s12, v0
	s_cbranch_execz .LBB153_12
; %bb.9:
	s_load_dwordx4 s[0:3], s[4:5], 0x0
	s_mul_hi_u32 s23, s27, s10
	s_mul_hi_i32 s15, s21, s10
	s_mul_i32 s14, s21, s10
	s_mul_i32 s8, s9, s24
	;; [unrolled: 1-line block ×4, first 2 shown]
	s_add_i32 s16, s10, s23
	s_lshl_b64 s[34:35], s[14:15], 2
	s_ashr_i32 s9, s8, 31
	s_ashr_i32 s25, s24, 31
	;; [unrolled: 1-line block ×3, first 2 shown]
	s_lshr_b32 s13, s16, s13
	s_mov_b32 s30, s17
	s_mul_hi_i32 s21, s13, s20
	s_mul_i32 s20, s13, s20
	v_lshlrev_b32_e32 v2, 3, v0
	v_lshlrev_b32_e32 v1, 2, v0
	v_mov_b32_e32 v6, 0
	v_mov_b32_e32 v7, 0
	s_waitcnt lgkmcnt(0)
	s_add_u32 s14, s2, s34
	s_addc_u32 s15, s3, s35
	s_lshl_b64 s[28:29], s[28:29], 2
	v_mov_b32_e32 v8, 0
	s_add_u32 s13, s14, s28
	s_addc_u32 s14, s15, s29
	s_lshl_b64 s[8:9], s[8:9], 1
	s_ashr_i32 s31, s17, 31
	s_add_i32 s15, s17, s17
	s_lshl_b32 s16, s17, 2
	s_lshl_b64 s[20:21], s[20:21], 1
	s_lshl_b64 s[24:25], s[24:25], 1
	s_add_u32 s0, s0, s8
	s_addc_u32 s1, s1, s9
	s_add_u32 s0, s0, s24
	s_addc_u32 s1, s1, s25
	;; [unrolled: 2-line block ×3, first 2 shown]
	s_lshl_b64 s[8:9], s[30:31], 3
	s_add_u32 s2, s2, s28
	s_addc_u32 s3, s3, s29
	s_add_u32 s2, s2, s34
	s_addc_u32 s3, s3, s35
	v_add_co_u32 v3, s2, s2, v2
	v_add_co_ci_u32_e64 v4, null, s3, 0, s2
	v_add_co_u32 v1, s0, s0, v1
	v_add_co_ci_u32_e64 v2, null, s1, 0, s0
	;; [unrolled: 2-line block ×3, first 2 shown]
	v_mov_b32_e32 v11, 0
	v_mov_b32_e32 v12, 0
	v_mov_b32_e32 v9, 0
	v_mov_b32_e32 v10, v0
	s_mul_i32 s1, s17, 3
	s_mul_i32 s3, s17, 5
	s_mov_b32 s2, 0
.LBB153_10:                             ; =>This Inner Loop Header: Depth=1
	v_add_nc_u32_e32 v15, s15, v10
	v_add_nc_u32_e32 v19, s1, v10
	v_add_nc_u32_e32 v21, s16, v10
	v_add_nc_u32_e32 v23, s3, v10
	v_add_co_u32 v17, s0, v3, s8
	v_ashrrev_i32_e32 v16, 31, v15
	v_ashrrev_i32_e32 v20, 31, v19
	;; [unrolled: 1-line block ×4, first 2 shown]
	global_load_dwordx2 v[13:14], v[3:4], off offset:-4
	v_lshlrev_b64 v[15:16], 3, v[15:16]
	v_lshlrev_b64 v[19:20], 3, v[19:20]
	;; [unrolled: 1-line block ×3, first 2 shown]
	v_add_co_ci_u32_e64 v18, null, s9, v4, s0
	v_lshlrev_b64 v[23:24], 3, v[23:24]
	v_add_co_u32 v15, s0, s13, v15
	v_add_co_ci_u32_e64 v16, null, s14, v16, s0
	v_add_co_u32 v19, s0, s13, v19
	v_add_co_ci_u32_e64 v20, null, s14, v20, s0
	;; [unrolled: 2-line block ×4, first 2 shown]
	global_load_dwordx2 v[17:18], v[17:18], off offset:-4
	s_clause 0x3
	global_load_dwordx2 v[15:16], v[15:16], off
	global_load_dwordx2 v[19:20], v[19:20], off
	;; [unrolled: 1-line block ×4, first 2 shown]
	global_load_dword v25, v[1:2], off
	v_add_nc_u32_e32 v10, 64, v10
	v_add_co_u32 v1, s0, 0x100, v1
	v_add_co_ci_u32_e64 v2, null, 0, v2, s0
	v_add_co_u32 v3, s0, 0x200, v3
	v_add_co_ci_u32_e64 v4, null, 0, v4, s0
	v_cmp_le_i32_e64 s0, s12, v10
	s_or_b32 s2, s0, s2
	s_waitcnt vmcnt(6)
	v_cvt_f16_f32_e32 v13, v13
	v_cvt_f16_f32_e32 v14, v14
	v_pack_b32_f16 v13, v13, v14
	s_waitcnt vmcnt(5)
	v_cvt_f16_f32_e32 v14, v17
	v_cvt_f16_f32_e32 v17, v18
	s_waitcnt vmcnt(0)
	v_pk_fma_f16 v9, v25, v13, v9
	v_cvt_f16_f32_e32 v13, v15
	v_cvt_f16_f32_e32 v15, v16
	;; [unrolled: 1-line block ×8, first 2 shown]
	v_pack_b32_f16 v14, v14, v17
	v_pack_b32_f16 v13, v13, v15
	;; [unrolled: 1-line block ×5, first 2 shown]
	v_pk_fma_f16 v12, v25, v14, v12
	v_pk_fma_f16 v11, v25, v13, v11
	;; [unrolled: 1-line block ×5, first 2 shown]
	s_andn2_b32 exec_lo, exec_lo, s2
	s_cbranch_execnz .LBB153_10
; %bb.11:
	s_or_b32 exec_lo, exec_lo, s2
.LBB153_12:
	s_or_b32 exec_lo, exec_lo, s11
	v_mbcnt_lo_u32_b32 v2, -1, 0
	v_cvt_f32_f16_e32 v3, v9
	v_cvt_f32_f16_sdwa v4, v9 dst_sel:DWORD dst_unused:UNUSED_PAD src0_sel:WORD_1
	v_cvt_f32_f16_e32 v16, v12
	v_cvt_f32_f16_sdwa v17, v12 dst_sel:DWORD dst_unused:UNUSED_PAD src0_sel:WORD_1
	v_xor_b32_e32 v1, 16, v2
	v_cvt_f32_f16_sdwa v15, v11 dst_sel:DWORD dst_unused:UNUSED_PAD src0_sel:WORD_1
	v_add_f32_e32 v4, v3, v4
	v_xor_b32_e32 v3, 8, v2
	v_cmp_gt_i32_e64 s0, 32, v1
	v_cndmask_b32_e64 v1, v2, v1, s0
	v_cmp_gt_i32_e64 s0, 32, v3
	v_lshlrev_b32_e32 v1, 2, v1
	v_cndmask_b32_e64 v3, v2, v3, s0
	ds_bpermute_b32 v9, v1, v4
	v_lshlrev_b32_e32 v3, 2, v3
	s_waitcnt lgkmcnt(0)
	v_add_f32_e32 v9, v4, v9
	v_xor_b32_e32 v4, 4, v2
	ds_bpermute_b32 v10, v3, v9
	v_cmp_gt_i32_e64 s0, 32, v4
	v_cndmask_b32_e64 v4, v2, v4, s0
	v_lshlrev_b32_e32 v4, 2, v4
	s_waitcnt lgkmcnt(0)
	v_add_f32_e32 v10, v9, v10
	v_xor_b32_e32 v9, 2, v2
	ds_bpermute_b32 v13, v4, v10
	v_cmp_gt_i32_e64 s0, 32, v9
	v_cndmask_b32_e64 v9, v2, v9, s0
	;; [unrolled: 7-line block ×3, first 2 shown]
	v_lshlrev_b32_e32 v10, 2, v2
	s_waitcnt lgkmcnt(0)
	v_add_f32_e32 v2, v13, v14
	v_lshrrev_b32_e32 v14, 3, v0
	ds_bpermute_b32 v13, v10, v2
	v_and_b32_e32 v14, 0x7c, v14
	v_add_nc_u32_e32 v12, 0, v14
	s_waitcnt lgkmcnt(0)
	v_add_f32_e32 v2, v2, v13
	v_cvt_f32_f16_e32 v13, v11
	v_add_f32_e32 v11, v16, v17
	ds_write_b32 v12, v2
	s_waitcnt lgkmcnt(0)
	s_barrier
	buffer_gl0_inv
	s_and_saveexec_b32 s0, vcc_lo
	s_cbranch_execz .LBB153_14
; %bb.13:
	ds_read_b32 v2, v5
	s_waitcnt lgkmcnt(0)
	ds_bpermute_b32 v14, v1, v2
	s_waitcnt lgkmcnt(0)
	v_add_f32_e32 v2, v2, v14
	ds_bpermute_b32 v14, v3, v2
	s_waitcnt lgkmcnt(0)
	v_add_f32_e32 v2, v2, v14
	ds_bpermute_b32 v14, v4, v2
	s_waitcnt lgkmcnt(0)
	v_add_f32_e32 v2, v2, v14
	ds_bpermute_b32 v14, v9, v2
	s_waitcnt lgkmcnt(0)
	v_add_f32_e32 v2, v2, v14
	ds_bpermute_b32 v14, v10, v2
	s_waitcnt lgkmcnt(0)
	v_add_f32_e32 v2, v2, v14
.LBB153_14:
	s_or_b32 exec_lo, exec_lo, s0
	ds_bpermute_b32 v14, v1, v11
	v_add_f32_e32 v13, v13, v15
	s_waitcnt lgkmcnt(0)
	s_barrier
	buffer_gl0_inv
	v_add_f32_e32 v11, v11, v14
	ds_bpermute_b32 v14, v3, v11
	s_waitcnt lgkmcnt(0)
	v_add_f32_e32 v11, v11, v14
	ds_bpermute_b32 v14, v4, v11
	s_waitcnt lgkmcnt(0)
	;; [unrolled: 3-line block ×3, first 2 shown]
	v_add_f32_e32 v16, v11, v14
	v_cvt_f32_f16_e32 v11, v8
	v_cvt_f32_f16_sdwa v14, v8 dst_sel:DWORD dst_unused:UNUSED_PAD src0_sel:WORD_1
	ds_bpermute_b32 v17, v10, v16
	s_waitcnt lgkmcnt(0)
	v_add_f32_e32 v8, v16, v17
	ds_write_b32 v12, v8
	s_waitcnt lgkmcnt(0)
	s_barrier
	buffer_gl0_inv
	s_and_saveexec_b32 s0, vcc_lo
	s_cbranch_execz .LBB153_16
; %bb.15:
	ds_read_b32 v8, v5
	s_waitcnt lgkmcnt(0)
	ds_bpermute_b32 v15, v1, v8
	s_waitcnt lgkmcnt(0)
	v_add_f32_e32 v8, v8, v15
	ds_bpermute_b32 v15, v3, v8
	s_waitcnt lgkmcnt(0)
	v_add_f32_e32 v8, v8, v15
	;; [unrolled: 3-line block ×5, first 2 shown]
.LBB153_16:
	s_or_b32 exec_lo, exec_lo, s0
	ds_bpermute_b32 v15, v1, v13
	v_add_f32_e32 v11, v11, v14
	s_waitcnt lgkmcnt(0)
	s_barrier
	buffer_gl0_inv
	v_add_f32_e32 v13, v13, v15
	ds_bpermute_b32 v15, v3, v13
	s_waitcnt lgkmcnt(0)
	v_add_f32_e32 v13, v13, v15
	ds_bpermute_b32 v15, v4, v13
	s_waitcnt lgkmcnt(0)
	;; [unrolled: 3-line block ×3, first 2 shown]
	v_add_f32_e32 v16, v13, v15
	v_cvt_f32_f16_e32 v13, v7
	v_cvt_f32_f16_sdwa v15, v7 dst_sel:DWORD dst_unused:UNUSED_PAD src0_sel:WORD_1
	ds_bpermute_b32 v17, v10, v16
	s_waitcnt lgkmcnt(0)
	v_add_f32_e32 v7, v16, v17
	ds_write_b32 v12, v7
	s_waitcnt lgkmcnt(0)
	s_barrier
	buffer_gl0_inv
	s_and_saveexec_b32 s0, vcc_lo
	s_cbranch_execz .LBB153_18
; %bb.17:
	ds_read_b32 v7, v5
	s_waitcnt lgkmcnt(0)
	ds_bpermute_b32 v14, v1, v7
	s_waitcnt lgkmcnt(0)
	v_add_f32_e32 v7, v7, v14
	ds_bpermute_b32 v14, v3, v7
	s_waitcnt lgkmcnt(0)
	v_add_f32_e32 v7, v7, v14
	;; [unrolled: 3-line block ×5, first 2 shown]
.LBB153_18:
	s_or_b32 exec_lo, exec_lo, s0
	ds_bpermute_b32 v14, v1, v11
	v_cvt_f32_f16_sdwa v16, v6 dst_sel:DWORD dst_unused:UNUSED_PAD src0_sel:WORD_1
	s_waitcnt lgkmcnt(0)
	s_barrier
	buffer_gl0_inv
	v_add_f32_e32 v11, v11, v14
	ds_bpermute_b32 v14, v3, v11
	s_waitcnt lgkmcnt(0)
	v_add_f32_e32 v11, v11, v14
	ds_bpermute_b32 v14, v4, v11
	s_waitcnt lgkmcnt(0)
	;; [unrolled: 3-line block ×3, first 2 shown]
	v_add_f32_e32 v11, v11, v14
	v_cvt_f32_f16_e32 v14, v6
	ds_bpermute_b32 v17, v10, v11
	s_waitcnt lgkmcnt(0)
	v_add_f32_e32 v6, v11, v17
	v_add_f32_e32 v11, v13, v15
	ds_write_b32 v12, v6
	s_waitcnt lgkmcnt(0)
	s_barrier
	buffer_gl0_inv
	s_and_saveexec_b32 s0, vcc_lo
	s_cbranch_execz .LBB153_20
; %bb.19:
	ds_read_b32 v6, v5
	s_waitcnt lgkmcnt(0)
	ds_bpermute_b32 v13, v1, v6
	s_waitcnt lgkmcnt(0)
	v_add_f32_e32 v6, v6, v13
	ds_bpermute_b32 v13, v3, v6
	s_waitcnt lgkmcnt(0)
	v_add_f32_e32 v6, v6, v13
	ds_bpermute_b32 v13, v4, v6
	s_waitcnt lgkmcnt(0)
	v_add_f32_e32 v6, v6, v13
	ds_bpermute_b32 v13, v9, v6
	s_waitcnt lgkmcnt(0)
	v_add_f32_e32 v6, v6, v13
	ds_bpermute_b32 v13, v10, v6
	s_waitcnt lgkmcnt(0)
	v_add_f32_e32 v6, v6, v13
.LBB153_20:
	s_or_b32 exec_lo, exec_lo, s0
	ds_bpermute_b32 v13, v1, v11
	s_waitcnt lgkmcnt(0)
	s_barrier
	buffer_gl0_inv
	v_add_f32_e32 v11, v11, v13
	ds_bpermute_b32 v13, v3, v11
	s_waitcnt lgkmcnt(0)
	v_add_f32_e32 v11, v11, v13
	ds_bpermute_b32 v13, v4, v11
	s_waitcnt lgkmcnt(0)
	;; [unrolled: 3-line block ×4, first 2 shown]
	v_add_f32_e32 v11, v11, v13
	v_add_f32_e32 v13, v14, v16
	ds_write_b32 v12, v11
	s_waitcnt lgkmcnt(0)
	s_barrier
	buffer_gl0_inv
	s_and_saveexec_b32 s0, vcc_lo
	s_cbranch_execz .LBB153_22
; %bb.21:
	ds_read_b32 v11, v5
	s_waitcnt lgkmcnt(0)
	ds_bpermute_b32 v14, v1, v11
	s_waitcnt lgkmcnt(0)
	v_add_f32_e32 v11, v11, v14
	ds_bpermute_b32 v14, v3, v11
	s_waitcnt lgkmcnt(0)
	v_add_f32_e32 v11, v11, v14
	;; [unrolled: 3-line block ×5, first 2 shown]
.LBB153_22:
	s_or_b32 exec_lo, exec_lo, s0
	ds_bpermute_b32 v14, v1, v13
	s_waitcnt lgkmcnt(0)
	s_barrier
	buffer_gl0_inv
	v_add_f32_e32 v13, v13, v14
	ds_bpermute_b32 v14, v3, v13
	s_waitcnt lgkmcnt(0)
	v_add_f32_e32 v13, v13, v14
	ds_bpermute_b32 v14, v4, v13
	s_waitcnt lgkmcnt(0)
	;; [unrolled: 3-line block ×4, first 2 shown]
	v_add_f32_e32 v13, v13, v14
	ds_write_b32 v12, v13
	s_waitcnt lgkmcnt(0)
	s_barrier
	buffer_gl0_inv
	s_and_saveexec_b32 s0, vcc_lo
	s_cbranch_execz .LBB153_24
; %bb.23:
	ds_read_b32 v5, v5
	s_waitcnt lgkmcnt(0)
	ds_bpermute_b32 v1, v1, v5
	s_waitcnt lgkmcnt(0)
	v_add_f32_e32 v1, v5, v1
	ds_bpermute_b32 v3, v3, v1
	s_waitcnt lgkmcnt(0)
	v_add_f32_e32 v1, v1, v3
	;; [unrolled: 3-line block ×5, first 2 shown]
.LBB153_24:
	s_or_b32 exec_lo, exec_lo, s0
	s_barrier
	buffer_gl0_inv
	s_mov_b32 s0, exec_lo
	v_cmpx_gt_u32_e32 6, v0
	s_cbranch_execz .LBB153_26
; %bb.25:
	s_load_dwordx2 s[0:1], s[4:5], 0x38
	v_cmp_eq_u32_e32 vcc_lo, 1, v0
	s_mul_hi_i32 s3, s22, s10
	s_mul_i32 s2, s22, s10
	s_mul_i32 s4, s26, s7
	s_lshl_b64 s[2:3], s[2:3], 2
	v_cndmask_b32_e32 v3, v2, v8, vcc_lo
	v_cmp_eq_u32_e32 vcc_lo, 2, v0
	v_mad_u64_u32 v[1:2], null, s18, v0, s[6:7]
	s_ashr_i32 s5, s4, 31
	v_cndmask_b32_e32 v3, v3, v7, vcc_lo
	v_cmp_eq_u32_e32 vcc_lo, 3, v0
	v_ashrrev_i32_e32 v2, 31, v1
	v_cndmask_b32_e32 v3, v3, v6, vcc_lo
	v_cmp_eq_u32_e32 vcc_lo, 4, v0
	s_waitcnt lgkmcnt(0)
	s_add_u32 s2, s0, s2
	v_lshlrev_b64 v[1:2], 2, v[1:2]
	s_addc_u32 s3, s1, s3
	s_lshl_b64 s[0:1], s[4:5], 2
	v_cndmask_b32_e32 v3, v3, v11, vcc_lo
	v_cmp_eq_u32_e32 vcc_lo, 5, v0
	s_add_u32 s0, s2, s0
	s_addc_u32 s1, s3, s1
	v_cndmask_b32_e32 v3, v3, v13, vcc_lo
	v_add_co_u32 v0, vcc_lo, s0, v1
	v_add_co_ci_u32_e64 v1, null, s1, v2, vcc_lo
	global_store_dword v[0:1], v3, off
.LBB153_26:
	s_endpgm
	.section	.rodata,"a",@progbits
	.p2align	6, 0x0
	.amdhsa_kernel _ZL13mul_mat_vec_fI6__halfS0_Li6ELi64ELb0ELb0EEvPKT_PKfPKi31ggml_cuda_mm_fusion_args_devicePfi15HIP_vector_typeIjLj3EEiiiSB_iiiSB_iiii
		.amdhsa_group_segment_fixed_size 0
		.amdhsa_private_segment_fixed_size 0
		.amdhsa_kernarg_size 144
		.amdhsa_user_sgpr_count 6
		.amdhsa_user_sgpr_private_segment_buffer 1
		.amdhsa_user_sgpr_dispatch_ptr 0
		.amdhsa_user_sgpr_queue_ptr 0
		.amdhsa_user_sgpr_kernarg_segment_ptr 1
		.amdhsa_user_sgpr_dispatch_id 0
		.amdhsa_user_sgpr_flat_scratch_init 0
		.amdhsa_user_sgpr_private_segment_size 0
		.amdhsa_wavefront_size32 1
		.amdhsa_uses_dynamic_stack 0
		.amdhsa_system_sgpr_private_segment_wavefront_offset 0
		.amdhsa_system_sgpr_workgroup_id_x 1
		.amdhsa_system_sgpr_workgroup_id_y 1
		.amdhsa_system_sgpr_workgroup_id_z 1
		.amdhsa_system_sgpr_workgroup_info 0
		.amdhsa_system_vgpr_workitem_id 0
		.amdhsa_next_free_vgpr 26
		.amdhsa_next_free_sgpr 36
		.amdhsa_reserve_vcc 1
		.amdhsa_reserve_flat_scratch 0
		.amdhsa_float_round_mode_32 0
		.amdhsa_float_round_mode_16_64 0
		.amdhsa_float_denorm_mode_32 3
		.amdhsa_float_denorm_mode_16_64 3
		.amdhsa_dx10_clamp 1
		.amdhsa_ieee_mode 1
		.amdhsa_fp16_overflow 0
		.amdhsa_workgroup_processor_mode 1
		.amdhsa_memory_ordered 1
		.amdhsa_forward_progress 1
		.amdhsa_shared_vgpr_count 0
		.amdhsa_exception_fp_ieee_invalid_op 0
		.amdhsa_exception_fp_denorm_src 0
		.amdhsa_exception_fp_ieee_div_zero 0
		.amdhsa_exception_fp_ieee_overflow 0
		.amdhsa_exception_fp_ieee_underflow 0
		.amdhsa_exception_fp_ieee_inexact 0
		.amdhsa_exception_int_div_zero 0
	.end_amdhsa_kernel
	.section	.text._ZL13mul_mat_vec_fI6__halfS0_Li6ELi64ELb0ELb0EEvPKT_PKfPKi31ggml_cuda_mm_fusion_args_devicePfi15HIP_vector_typeIjLj3EEiiiSB_iiiSB_iiii,"axG",@progbits,_ZL13mul_mat_vec_fI6__halfS0_Li6ELi64ELb0ELb0EEvPKT_PKfPKi31ggml_cuda_mm_fusion_args_devicePfi15HIP_vector_typeIjLj3EEiiiSB_iiiSB_iiii,comdat
.Lfunc_end153:
	.size	_ZL13mul_mat_vec_fI6__halfS0_Li6ELi64ELb0ELb0EEvPKT_PKfPKi31ggml_cuda_mm_fusion_args_devicePfi15HIP_vector_typeIjLj3EEiiiSB_iiiSB_iiii, .Lfunc_end153-_ZL13mul_mat_vec_fI6__halfS0_Li6ELi64ELb0ELb0EEvPKT_PKfPKi31ggml_cuda_mm_fusion_args_devicePfi15HIP_vector_typeIjLj3EEiiiSB_iiiSB_iiii
                                        ; -- End function
	.set _ZL13mul_mat_vec_fI6__halfS0_Li6ELi64ELb0ELb0EEvPKT_PKfPKi31ggml_cuda_mm_fusion_args_devicePfi15HIP_vector_typeIjLj3EEiiiSB_iiiSB_iiii.num_vgpr, 26
	.set _ZL13mul_mat_vec_fI6__halfS0_Li6ELi64ELb0ELb0EEvPKT_PKfPKi31ggml_cuda_mm_fusion_args_devicePfi15HIP_vector_typeIjLj3EEiiiSB_iiiSB_iiii.num_agpr, 0
	.set _ZL13mul_mat_vec_fI6__halfS0_Li6ELi64ELb0ELb0EEvPKT_PKfPKi31ggml_cuda_mm_fusion_args_devicePfi15HIP_vector_typeIjLj3EEiiiSB_iiiSB_iiii.numbered_sgpr, 36
	.set _ZL13mul_mat_vec_fI6__halfS0_Li6ELi64ELb0ELb0EEvPKT_PKfPKi31ggml_cuda_mm_fusion_args_devicePfi15HIP_vector_typeIjLj3EEiiiSB_iiiSB_iiii.num_named_barrier, 0
	.set _ZL13mul_mat_vec_fI6__halfS0_Li6ELi64ELb0ELb0EEvPKT_PKfPKi31ggml_cuda_mm_fusion_args_devicePfi15HIP_vector_typeIjLj3EEiiiSB_iiiSB_iiii.private_seg_size, 0
	.set _ZL13mul_mat_vec_fI6__halfS0_Li6ELi64ELb0ELb0EEvPKT_PKfPKi31ggml_cuda_mm_fusion_args_devicePfi15HIP_vector_typeIjLj3EEiiiSB_iiiSB_iiii.uses_vcc, 1
	.set _ZL13mul_mat_vec_fI6__halfS0_Li6ELi64ELb0ELb0EEvPKT_PKfPKi31ggml_cuda_mm_fusion_args_devicePfi15HIP_vector_typeIjLj3EEiiiSB_iiiSB_iiii.uses_flat_scratch, 0
	.set _ZL13mul_mat_vec_fI6__halfS0_Li6ELi64ELb0ELb0EEvPKT_PKfPKi31ggml_cuda_mm_fusion_args_devicePfi15HIP_vector_typeIjLj3EEiiiSB_iiiSB_iiii.has_dyn_sized_stack, 0
	.set _ZL13mul_mat_vec_fI6__halfS0_Li6ELi64ELb0ELb0EEvPKT_PKfPKi31ggml_cuda_mm_fusion_args_devicePfi15HIP_vector_typeIjLj3EEiiiSB_iiiSB_iiii.has_recursion, 0
	.set _ZL13mul_mat_vec_fI6__halfS0_Li6ELi64ELb0ELb0EEvPKT_PKfPKi31ggml_cuda_mm_fusion_args_devicePfi15HIP_vector_typeIjLj3EEiiiSB_iiiSB_iiii.has_indirect_call, 0
	.section	.AMDGPU.csdata,"",@progbits
; Kernel info:
; codeLenInByte = 2664
; TotalNumSgprs: 38
; NumVgprs: 26
; ScratchSize: 0
; MemoryBound: 0
; FloatMode: 240
; IeeeMode: 1
; LDSByteSize: 0 bytes/workgroup (compile time only)
; SGPRBlocks: 0
; VGPRBlocks: 3
; NumSGPRsForWavesPerEU: 38
; NumVGPRsForWavesPerEU: 26
; Occupancy: 16
; WaveLimiterHint : 0
; COMPUTE_PGM_RSRC2:SCRATCH_EN: 0
; COMPUTE_PGM_RSRC2:USER_SGPR: 6
; COMPUTE_PGM_RSRC2:TRAP_HANDLER: 0
; COMPUTE_PGM_RSRC2:TGID_X_EN: 1
; COMPUTE_PGM_RSRC2:TGID_Y_EN: 1
; COMPUTE_PGM_RSRC2:TGID_Z_EN: 1
; COMPUTE_PGM_RSRC2:TIDIG_COMP_CNT: 0
	.section	.text._ZL13mul_mat_vec_fI6__halfS0_Li6ELi96ELb0ELb0EEvPKT_PKfPKi31ggml_cuda_mm_fusion_args_devicePfi15HIP_vector_typeIjLj3EEiiiSB_iiiSB_iiii,"axG",@progbits,_ZL13mul_mat_vec_fI6__halfS0_Li6ELi96ELb0ELb0EEvPKT_PKfPKi31ggml_cuda_mm_fusion_args_devicePfi15HIP_vector_typeIjLj3EEiiiSB_iiiSB_iiii,comdat
	.globl	_ZL13mul_mat_vec_fI6__halfS0_Li6ELi96ELb0ELb0EEvPKT_PKfPKi31ggml_cuda_mm_fusion_args_devicePfi15HIP_vector_typeIjLj3EEiiiSB_iiiSB_iiii ; -- Begin function _ZL13mul_mat_vec_fI6__halfS0_Li6ELi96ELb0ELb0EEvPKT_PKfPKi31ggml_cuda_mm_fusion_args_devicePfi15HIP_vector_typeIjLj3EEiiiSB_iiiSB_iiii
	.p2align	8
	.type	_ZL13mul_mat_vec_fI6__halfS0_Li6ELi96ELb0ELb0EEvPKT_PKfPKi31ggml_cuda_mm_fusion_args_devicePfi15HIP_vector_typeIjLj3EEiiiSB_iiiSB_iiii,@function
_ZL13mul_mat_vec_fI6__halfS0_Li6ELi96ELb0ELb0EEvPKT_PKfPKi31ggml_cuda_mm_fusion_args_devicePfi15HIP_vector_typeIjLj3EEiiiSB_iiiSB_iiii: ; @_ZL13mul_mat_vec_fI6__halfS0_Li6ELi96ELb0ELb0EEvPKT_PKfPKi31ggml_cuda_mm_fusion_args_devicePfi15HIP_vector_typeIjLj3EEiiiSB_iiiSB_iiii
; %bb.0:
	s_clause 0x2
	s_load_dwordx2 s[0:1], s[4:5], 0x10
	s_load_dwordx8 s[12:19], s[4:5], 0x40
	s_load_dwordx4 s[20:23], s[4:5], 0x80
	s_waitcnt lgkmcnt(0)
	s_cmp_eq_u64 s[0:1], 0
	s_cselect_b32 s10, -1, 0
	s_cmp_lg_u64 s[0:1], 0
	s_cselect_b32 s11, -1, 0
	s_and_b32 vcc_lo, exec_lo, s10
	s_cbranch_vccnz .LBB154_2
; %bb.1:
	s_mul_i32 s2, s23, s8
	s_mov_b32 s3, 0
	s_add_i32 s2, s2, s7
	s_lshl_b64 s[24:25], s[2:3], 2
	s_add_u32 s0, s0, s24
	s_addc_u32 s1, s1, s25
	s_load_dword s9, s[0:1], 0x0
	s_cbranch_execz .LBB154_3
	s_branch .LBB154_4
.LBB154_2:
                                        ; implicit-def: $sgpr9
.LBB154_3:
	s_load_dwordx2 s[0:1], s[4:5], 0x5c
	s_waitcnt lgkmcnt(0)
	s_mul_hi_u32 s0, s0, s7
	s_add_i32 s0, s7, s0
	s_lshr_b32 s9, s0, s1
.LBB154_4:
	s_load_dwordx4 s[24:27], s[4:5], 0x68
	s_andn2_b32 vcc_lo, exec_lo, s11
	s_mov_b32 s19, s7
	s_cbranch_vccnz .LBB154_6
; %bb.5:
	s_mul_hi_u32 s0, s13, s7
	s_add_i32 s0, s7, s0
	s_lshr_b32 s0, s0, s14
	s_mul_i32 s0, s0, s15
	s_sub_i32 s19, s7, s0
.LBB154_6:
	s_load_dword s13, s[4:5], 0x78
	v_cmp_gt_u32_e32 vcc_lo, 32, v0
	v_lshl_add_u32 v5, v0, 2, 0
	s_and_saveexec_b32 s0, vcc_lo
; %bb.7:
	v_mov_b32_e32 v1, 0
	ds_write_b32 v5, v1
; %bb.8:
	s_or_b32 exec_lo, exec_lo, s0
	v_mov_b32_e32 v9, 0
	v_mov_b32_e32 v12, 0
	;; [unrolled: 1-line block ×6, first 2 shown]
	s_and_b32 s0, exec_lo, s10
	s_cselect_b32 s10, s8, 0
	s_mov_b32 s11, exec_lo
	s_waitcnt lgkmcnt(0)
	s_barrier
	buffer_gl0_inv
	v_cmpx_gt_i32_e64 s12, v0
	s_cbranch_execz .LBB154_12
; %bb.9:
	s_load_dwordx4 s[0:3], s[4:5], 0x0
	s_mul_hi_u32 s23, s27, s10
	s_mul_hi_i32 s15, s21, s10
	s_mul_i32 s14, s21, s10
	s_mul_i32 s8, s9, s24
	;; [unrolled: 1-line block ×4, first 2 shown]
	s_add_i32 s16, s10, s23
	s_lshl_b64 s[34:35], s[14:15], 2
	s_ashr_i32 s9, s8, 31
	s_ashr_i32 s25, s24, 31
	;; [unrolled: 1-line block ×3, first 2 shown]
	s_lshr_b32 s13, s16, s13
	s_mov_b32 s30, s17
	s_mul_hi_i32 s21, s13, s20
	s_mul_i32 s20, s13, s20
	v_lshlrev_b32_e32 v2, 3, v0
	v_lshlrev_b32_e32 v1, 2, v0
	v_mov_b32_e32 v6, 0
	v_mov_b32_e32 v7, 0
	s_waitcnt lgkmcnt(0)
	s_add_u32 s14, s2, s34
	s_addc_u32 s15, s3, s35
	s_lshl_b64 s[28:29], s[28:29], 2
	v_mov_b32_e32 v8, 0
	s_add_u32 s13, s14, s28
	s_addc_u32 s14, s15, s29
	s_lshl_b64 s[8:9], s[8:9], 1
	s_ashr_i32 s31, s17, 31
	s_add_i32 s15, s17, s17
	s_lshl_b32 s16, s17, 2
	s_lshl_b64 s[20:21], s[20:21], 1
	s_lshl_b64 s[24:25], s[24:25], 1
	s_add_u32 s0, s0, s8
	s_addc_u32 s1, s1, s9
	s_add_u32 s0, s0, s24
	s_addc_u32 s1, s1, s25
	;; [unrolled: 2-line block ×3, first 2 shown]
	s_lshl_b64 s[8:9], s[30:31], 3
	s_add_u32 s2, s2, s28
	s_addc_u32 s3, s3, s29
	s_add_u32 s2, s2, s34
	s_addc_u32 s3, s3, s35
	v_add_co_u32 v3, s2, s2, v2
	v_add_co_ci_u32_e64 v4, null, s3, 0, s2
	v_add_co_u32 v1, s0, s0, v1
	v_add_co_ci_u32_e64 v2, null, s1, 0, s0
	;; [unrolled: 2-line block ×3, first 2 shown]
	v_mov_b32_e32 v11, 0
	v_mov_b32_e32 v12, 0
	;; [unrolled: 1-line block ×4, first 2 shown]
	s_mul_i32 s1, s17, 3
	s_mul_i32 s3, s17, 5
	s_mov_b32 s2, 0
.LBB154_10:                             ; =>This Inner Loop Header: Depth=1
	v_add_nc_u32_e32 v15, s15, v10
	v_add_nc_u32_e32 v19, s1, v10
	;; [unrolled: 1-line block ×4, first 2 shown]
	v_add_co_u32 v17, s0, v3, s8
	v_ashrrev_i32_e32 v16, 31, v15
	v_ashrrev_i32_e32 v20, 31, v19
	;; [unrolled: 1-line block ×4, first 2 shown]
	global_load_dwordx2 v[13:14], v[3:4], off offset:-4
	v_lshlrev_b64 v[15:16], 3, v[15:16]
	v_lshlrev_b64 v[19:20], 3, v[19:20]
	;; [unrolled: 1-line block ×3, first 2 shown]
	v_add_co_ci_u32_e64 v18, null, s9, v4, s0
	v_lshlrev_b64 v[23:24], 3, v[23:24]
	v_add_co_u32 v15, s0, s13, v15
	v_add_co_ci_u32_e64 v16, null, s14, v16, s0
	v_add_co_u32 v19, s0, s13, v19
	v_add_co_ci_u32_e64 v20, null, s14, v20, s0
	;; [unrolled: 2-line block ×4, first 2 shown]
	global_load_dwordx2 v[17:18], v[17:18], off offset:-4
	s_clause 0x3
	global_load_dwordx2 v[15:16], v[15:16], off
	global_load_dwordx2 v[19:20], v[19:20], off
	;; [unrolled: 1-line block ×4, first 2 shown]
	global_load_dword v25, v[1:2], off
	v_add_nc_u32_e32 v10, 0x60, v10
	v_add_co_u32 v1, s0, 0x180, v1
	v_add_co_ci_u32_e64 v2, null, 0, v2, s0
	v_add_co_u32 v3, s0, 0x300, v3
	v_add_co_ci_u32_e64 v4, null, 0, v4, s0
	v_cmp_le_i32_e64 s0, s12, v10
	s_or_b32 s2, s0, s2
	s_waitcnt vmcnt(6)
	v_cvt_f16_f32_e32 v13, v13
	v_cvt_f16_f32_e32 v14, v14
	v_pack_b32_f16 v13, v13, v14
	s_waitcnt vmcnt(5)
	v_cvt_f16_f32_e32 v14, v17
	v_cvt_f16_f32_e32 v17, v18
	s_waitcnt vmcnt(0)
	v_pk_fma_f16 v9, v25, v13, v9
	v_cvt_f16_f32_e32 v13, v15
	v_cvt_f16_f32_e32 v15, v16
	;; [unrolled: 1-line block ×8, first 2 shown]
	v_pack_b32_f16 v14, v14, v17
	v_pack_b32_f16 v13, v13, v15
	;; [unrolled: 1-line block ×5, first 2 shown]
	v_pk_fma_f16 v12, v25, v14, v12
	v_pk_fma_f16 v11, v25, v13, v11
	;; [unrolled: 1-line block ×5, first 2 shown]
	s_andn2_b32 exec_lo, exec_lo, s2
	s_cbranch_execnz .LBB154_10
; %bb.11:
	s_or_b32 exec_lo, exec_lo, s2
.LBB154_12:
	s_or_b32 exec_lo, exec_lo, s11
	v_mbcnt_lo_u32_b32 v2, -1, 0
	v_cvt_f32_f16_e32 v3, v9
	v_cvt_f32_f16_sdwa v4, v9 dst_sel:DWORD dst_unused:UNUSED_PAD src0_sel:WORD_1
	v_cvt_f32_f16_e32 v16, v12
	v_cvt_f32_f16_sdwa v17, v12 dst_sel:DWORD dst_unused:UNUSED_PAD src0_sel:WORD_1
	v_xor_b32_e32 v1, 16, v2
	v_cvt_f32_f16_sdwa v15, v11 dst_sel:DWORD dst_unused:UNUSED_PAD src0_sel:WORD_1
	v_add_f32_e32 v4, v3, v4
	v_xor_b32_e32 v3, 8, v2
	v_cmp_gt_i32_e64 s0, 32, v1
	v_cndmask_b32_e64 v1, v2, v1, s0
	v_cmp_gt_i32_e64 s0, 32, v3
	v_lshlrev_b32_e32 v1, 2, v1
	v_cndmask_b32_e64 v3, v2, v3, s0
	ds_bpermute_b32 v9, v1, v4
	v_lshlrev_b32_e32 v3, 2, v3
	s_waitcnt lgkmcnt(0)
	v_add_f32_e32 v9, v4, v9
	v_xor_b32_e32 v4, 4, v2
	ds_bpermute_b32 v10, v3, v9
	v_cmp_gt_i32_e64 s0, 32, v4
	v_cndmask_b32_e64 v4, v2, v4, s0
	v_lshlrev_b32_e32 v4, 2, v4
	s_waitcnt lgkmcnt(0)
	v_add_f32_e32 v10, v9, v10
	v_xor_b32_e32 v9, 2, v2
	ds_bpermute_b32 v13, v4, v10
	v_cmp_gt_i32_e64 s0, 32, v9
	v_cndmask_b32_e64 v9, v2, v9, s0
	v_lshlrev_b32_e32 v9, 2, v9
	s_waitcnt lgkmcnt(0)
	v_add_f32_e32 v13, v10, v13
	v_xor_b32_e32 v10, 1, v2
	ds_bpermute_b32 v14, v9, v13
	v_cmp_gt_i32_e64 s0, 32, v10
	v_cndmask_b32_e64 v2, v2, v10, s0
	v_lshlrev_b32_e32 v10, 2, v2
	s_waitcnt lgkmcnt(0)
	v_add_f32_e32 v2, v13, v14
	v_lshrrev_b32_e32 v14, 3, v0
	ds_bpermute_b32 v13, v10, v2
	v_and_b32_e32 v14, 0x7c, v14
	v_add_nc_u32_e32 v12, 0, v14
	s_waitcnt lgkmcnt(0)
	v_add_f32_e32 v2, v2, v13
	v_cvt_f32_f16_e32 v13, v11
	v_add_f32_e32 v11, v16, v17
	ds_write_b32 v12, v2
	s_waitcnt lgkmcnt(0)
	s_barrier
	buffer_gl0_inv
	s_and_saveexec_b32 s0, vcc_lo
	s_cbranch_execz .LBB154_14
; %bb.13:
	ds_read_b32 v2, v5
	s_waitcnt lgkmcnt(0)
	ds_bpermute_b32 v14, v1, v2
	s_waitcnt lgkmcnt(0)
	v_add_f32_e32 v2, v2, v14
	ds_bpermute_b32 v14, v3, v2
	s_waitcnt lgkmcnt(0)
	v_add_f32_e32 v2, v2, v14
	;; [unrolled: 3-line block ×5, first 2 shown]
.LBB154_14:
	s_or_b32 exec_lo, exec_lo, s0
	ds_bpermute_b32 v14, v1, v11
	v_add_f32_e32 v13, v13, v15
	s_waitcnt lgkmcnt(0)
	s_barrier
	buffer_gl0_inv
	v_add_f32_e32 v11, v11, v14
	ds_bpermute_b32 v14, v3, v11
	s_waitcnt lgkmcnt(0)
	v_add_f32_e32 v11, v11, v14
	ds_bpermute_b32 v14, v4, v11
	s_waitcnt lgkmcnt(0)
	;; [unrolled: 3-line block ×3, first 2 shown]
	v_add_f32_e32 v16, v11, v14
	v_cvt_f32_f16_e32 v11, v8
	v_cvt_f32_f16_sdwa v14, v8 dst_sel:DWORD dst_unused:UNUSED_PAD src0_sel:WORD_1
	ds_bpermute_b32 v17, v10, v16
	s_waitcnt lgkmcnt(0)
	v_add_f32_e32 v8, v16, v17
	ds_write_b32 v12, v8
	s_waitcnt lgkmcnt(0)
	s_barrier
	buffer_gl0_inv
	s_and_saveexec_b32 s0, vcc_lo
	s_cbranch_execz .LBB154_16
; %bb.15:
	ds_read_b32 v8, v5
	s_waitcnt lgkmcnt(0)
	ds_bpermute_b32 v15, v1, v8
	s_waitcnt lgkmcnt(0)
	v_add_f32_e32 v8, v8, v15
	ds_bpermute_b32 v15, v3, v8
	s_waitcnt lgkmcnt(0)
	v_add_f32_e32 v8, v8, v15
	;; [unrolled: 3-line block ×5, first 2 shown]
.LBB154_16:
	s_or_b32 exec_lo, exec_lo, s0
	ds_bpermute_b32 v15, v1, v13
	v_add_f32_e32 v11, v11, v14
	s_waitcnt lgkmcnt(0)
	s_barrier
	buffer_gl0_inv
	v_add_f32_e32 v13, v13, v15
	ds_bpermute_b32 v15, v3, v13
	s_waitcnt lgkmcnt(0)
	v_add_f32_e32 v13, v13, v15
	ds_bpermute_b32 v15, v4, v13
	s_waitcnt lgkmcnt(0)
	;; [unrolled: 3-line block ×3, first 2 shown]
	v_add_f32_e32 v16, v13, v15
	v_cvt_f32_f16_e32 v13, v7
	v_cvt_f32_f16_sdwa v15, v7 dst_sel:DWORD dst_unused:UNUSED_PAD src0_sel:WORD_1
	ds_bpermute_b32 v17, v10, v16
	s_waitcnt lgkmcnt(0)
	v_add_f32_e32 v7, v16, v17
	ds_write_b32 v12, v7
	s_waitcnt lgkmcnt(0)
	s_barrier
	buffer_gl0_inv
	s_and_saveexec_b32 s0, vcc_lo
	s_cbranch_execz .LBB154_18
; %bb.17:
	ds_read_b32 v7, v5
	s_waitcnt lgkmcnt(0)
	ds_bpermute_b32 v14, v1, v7
	s_waitcnt lgkmcnt(0)
	v_add_f32_e32 v7, v7, v14
	ds_bpermute_b32 v14, v3, v7
	s_waitcnt lgkmcnt(0)
	v_add_f32_e32 v7, v7, v14
	;; [unrolled: 3-line block ×5, first 2 shown]
.LBB154_18:
	s_or_b32 exec_lo, exec_lo, s0
	ds_bpermute_b32 v14, v1, v11
	v_cvt_f32_f16_sdwa v16, v6 dst_sel:DWORD dst_unused:UNUSED_PAD src0_sel:WORD_1
	s_waitcnt lgkmcnt(0)
	s_barrier
	buffer_gl0_inv
	v_add_f32_e32 v11, v11, v14
	ds_bpermute_b32 v14, v3, v11
	s_waitcnt lgkmcnt(0)
	v_add_f32_e32 v11, v11, v14
	ds_bpermute_b32 v14, v4, v11
	s_waitcnt lgkmcnt(0)
	;; [unrolled: 3-line block ×3, first 2 shown]
	v_add_f32_e32 v11, v11, v14
	v_cvt_f32_f16_e32 v14, v6
	ds_bpermute_b32 v17, v10, v11
	s_waitcnt lgkmcnt(0)
	v_add_f32_e32 v6, v11, v17
	v_add_f32_e32 v11, v13, v15
	ds_write_b32 v12, v6
	s_waitcnt lgkmcnt(0)
	s_barrier
	buffer_gl0_inv
	s_and_saveexec_b32 s0, vcc_lo
	s_cbranch_execz .LBB154_20
; %bb.19:
	ds_read_b32 v6, v5
	s_waitcnt lgkmcnt(0)
	ds_bpermute_b32 v13, v1, v6
	s_waitcnt lgkmcnt(0)
	v_add_f32_e32 v6, v6, v13
	ds_bpermute_b32 v13, v3, v6
	s_waitcnt lgkmcnt(0)
	v_add_f32_e32 v6, v6, v13
	;; [unrolled: 3-line block ×5, first 2 shown]
.LBB154_20:
	s_or_b32 exec_lo, exec_lo, s0
	ds_bpermute_b32 v13, v1, v11
	s_waitcnt lgkmcnt(0)
	s_barrier
	buffer_gl0_inv
	v_add_f32_e32 v11, v11, v13
	ds_bpermute_b32 v13, v3, v11
	s_waitcnt lgkmcnt(0)
	v_add_f32_e32 v11, v11, v13
	ds_bpermute_b32 v13, v4, v11
	s_waitcnt lgkmcnt(0)
	;; [unrolled: 3-line block ×4, first 2 shown]
	v_add_f32_e32 v11, v11, v13
	v_add_f32_e32 v13, v14, v16
	ds_write_b32 v12, v11
	s_waitcnt lgkmcnt(0)
	s_barrier
	buffer_gl0_inv
	s_and_saveexec_b32 s0, vcc_lo
	s_cbranch_execz .LBB154_22
; %bb.21:
	ds_read_b32 v11, v5
	s_waitcnt lgkmcnt(0)
	ds_bpermute_b32 v14, v1, v11
	s_waitcnt lgkmcnt(0)
	v_add_f32_e32 v11, v11, v14
	ds_bpermute_b32 v14, v3, v11
	s_waitcnt lgkmcnt(0)
	v_add_f32_e32 v11, v11, v14
	;; [unrolled: 3-line block ×5, first 2 shown]
.LBB154_22:
	s_or_b32 exec_lo, exec_lo, s0
	ds_bpermute_b32 v14, v1, v13
	s_waitcnt lgkmcnt(0)
	s_barrier
	buffer_gl0_inv
	v_add_f32_e32 v13, v13, v14
	ds_bpermute_b32 v14, v3, v13
	s_waitcnt lgkmcnt(0)
	v_add_f32_e32 v13, v13, v14
	ds_bpermute_b32 v14, v4, v13
	s_waitcnt lgkmcnt(0)
	;; [unrolled: 3-line block ×4, first 2 shown]
	v_add_f32_e32 v13, v13, v14
	ds_write_b32 v12, v13
	s_waitcnt lgkmcnt(0)
	s_barrier
	buffer_gl0_inv
	s_and_saveexec_b32 s0, vcc_lo
	s_cbranch_execz .LBB154_24
; %bb.23:
	ds_read_b32 v5, v5
	s_waitcnt lgkmcnt(0)
	ds_bpermute_b32 v1, v1, v5
	s_waitcnt lgkmcnt(0)
	v_add_f32_e32 v1, v5, v1
	ds_bpermute_b32 v3, v3, v1
	s_waitcnt lgkmcnt(0)
	v_add_f32_e32 v1, v1, v3
	;; [unrolled: 3-line block ×5, first 2 shown]
.LBB154_24:
	s_or_b32 exec_lo, exec_lo, s0
	s_barrier
	buffer_gl0_inv
	s_mov_b32 s0, exec_lo
	v_cmpx_gt_u32_e32 6, v0
	s_cbranch_execz .LBB154_26
; %bb.25:
	s_load_dwordx2 s[0:1], s[4:5], 0x38
	v_cmp_eq_u32_e32 vcc_lo, 1, v0
	s_mul_hi_i32 s3, s22, s10
	s_mul_i32 s2, s22, s10
	s_mul_i32 s4, s26, s7
	s_lshl_b64 s[2:3], s[2:3], 2
	v_cndmask_b32_e32 v3, v2, v8, vcc_lo
	v_cmp_eq_u32_e32 vcc_lo, 2, v0
	v_mad_u64_u32 v[1:2], null, s18, v0, s[6:7]
	s_ashr_i32 s5, s4, 31
	v_cndmask_b32_e32 v3, v3, v7, vcc_lo
	v_cmp_eq_u32_e32 vcc_lo, 3, v0
	v_ashrrev_i32_e32 v2, 31, v1
	v_cndmask_b32_e32 v3, v3, v6, vcc_lo
	v_cmp_eq_u32_e32 vcc_lo, 4, v0
	s_waitcnt lgkmcnt(0)
	s_add_u32 s2, s0, s2
	v_lshlrev_b64 v[1:2], 2, v[1:2]
	s_addc_u32 s3, s1, s3
	s_lshl_b64 s[0:1], s[4:5], 2
	v_cndmask_b32_e32 v3, v3, v11, vcc_lo
	v_cmp_eq_u32_e32 vcc_lo, 5, v0
	s_add_u32 s0, s2, s0
	s_addc_u32 s1, s3, s1
	v_cndmask_b32_e32 v3, v3, v13, vcc_lo
	v_add_co_u32 v0, vcc_lo, s0, v1
	v_add_co_ci_u32_e64 v1, null, s1, v2, vcc_lo
	global_store_dword v[0:1], v3, off
.LBB154_26:
	s_endpgm
	.section	.rodata,"a",@progbits
	.p2align	6, 0x0
	.amdhsa_kernel _ZL13mul_mat_vec_fI6__halfS0_Li6ELi96ELb0ELb0EEvPKT_PKfPKi31ggml_cuda_mm_fusion_args_devicePfi15HIP_vector_typeIjLj3EEiiiSB_iiiSB_iiii
		.amdhsa_group_segment_fixed_size 0
		.amdhsa_private_segment_fixed_size 0
		.amdhsa_kernarg_size 144
		.amdhsa_user_sgpr_count 6
		.amdhsa_user_sgpr_private_segment_buffer 1
		.amdhsa_user_sgpr_dispatch_ptr 0
		.amdhsa_user_sgpr_queue_ptr 0
		.amdhsa_user_sgpr_kernarg_segment_ptr 1
		.amdhsa_user_sgpr_dispatch_id 0
		.amdhsa_user_sgpr_flat_scratch_init 0
		.amdhsa_user_sgpr_private_segment_size 0
		.amdhsa_wavefront_size32 1
		.amdhsa_uses_dynamic_stack 0
		.amdhsa_system_sgpr_private_segment_wavefront_offset 0
		.amdhsa_system_sgpr_workgroup_id_x 1
		.amdhsa_system_sgpr_workgroup_id_y 1
		.amdhsa_system_sgpr_workgroup_id_z 1
		.amdhsa_system_sgpr_workgroup_info 0
		.amdhsa_system_vgpr_workitem_id 0
		.amdhsa_next_free_vgpr 26
		.amdhsa_next_free_sgpr 36
		.amdhsa_reserve_vcc 1
		.amdhsa_reserve_flat_scratch 0
		.amdhsa_float_round_mode_32 0
		.amdhsa_float_round_mode_16_64 0
		.amdhsa_float_denorm_mode_32 3
		.amdhsa_float_denorm_mode_16_64 3
		.amdhsa_dx10_clamp 1
		.amdhsa_ieee_mode 1
		.amdhsa_fp16_overflow 0
		.amdhsa_workgroup_processor_mode 1
		.amdhsa_memory_ordered 1
		.amdhsa_forward_progress 1
		.amdhsa_shared_vgpr_count 0
		.amdhsa_exception_fp_ieee_invalid_op 0
		.amdhsa_exception_fp_denorm_src 0
		.amdhsa_exception_fp_ieee_div_zero 0
		.amdhsa_exception_fp_ieee_overflow 0
		.amdhsa_exception_fp_ieee_underflow 0
		.amdhsa_exception_fp_ieee_inexact 0
		.amdhsa_exception_int_div_zero 0
	.end_amdhsa_kernel
	.section	.text._ZL13mul_mat_vec_fI6__halfS0_Li6ELi96ELb0ELb0EEvPKT_PKfPKi31ggml_cuda_mm_fusion_args_devicePfi15HIP_vector_typeIjLj3EEiiiSB_iiiSB_iiii,"axG",@progbits,_ZL13mul_mat_vec_fI6__halfS0_Li6ELi96ELb0ELb0EEvPKT_PKfPKi31ggml_cuda_mm_fusion_args_devicePfi15HIP_vector_typeIjLj3EEiiiSB_iiiSB_iiii,comdat
.Lfunc_end154:
	.size	_ZL13mul_mat_vec_fI6__halfS0_Li6ELi96ELb0ELb0EEvPKT_PKfPKi31ggml_cuda_mm_fusion_args_devicePfi15HIP_vector_typeIjLj3EEiiiSB_iiiSB_iiii, .Lfunc_end154-_ZL13mul_mat_vec_fI6__halfS0_Li6ELi96ELb0ELb0EEvPKT_PKfPKi31ggml_cuda_mm_fusion_args_devicePfi15HIP_vector_typeIjLj3EEiiiSB_iiiSB_iiii
                                        ; -- End function
	.set _ZL13mul_mat_vec_fI6__halfS0_Li6ELi96ELb0ELb0EEvPKT_PKfPKi31ggml_cuda_mm_fusion_args_devicePfi15HIP_vector_typeIjLj3EEiiiSB_iiiSB_iiii.num_vgpr, 26
	.set _ZL13mul_mat_vec_fI6__halfS0_Li6ELi96ELb0ELb0EEvPKT_PKfPKi31ggml_cuda_mm_fusion_args_devicePfi15HIP_vector_typeIjLj3EEiiiSB_iiiSB_iiii.num_agpr, 0
	.set _ZL13mul_mat_vec_fI6__halfS0_Li6ELi96ELb0ELb0EEvPKT_PKfPKi31ggml_cuda_mm_fusion_args_devicePfi15HIP_vector_typeIjLj3EEiiiSB_iiiSB_iiii.numbered_sgpr, 36
	.set _ZL13mul_mat_vec_fI6__halfS0_Li6ELi96ELb0ELb0EEvPKT_PKfPKi31ggml_cuda_mm_fusion_args_devicePfi15HIP_vector_typeIjLj3EEiiiSB_iiiSB_iiii.num_named_barrier, 0
	.set _ZL13mul_mat_vec_fI6__halfS0_Li6ELi96ELb0ELb0EEvPKT_PKfPKi31ggml_cuda_mm_fusion_args_devicePfi15HIP_vector_typeIjLj3EEiiiSB_iiiSB_iiii.private_seg_size, 0
	.set _ZL13mul_mat_vec_fI6__halfS0_Li6ELi96ELb0ELb0EEvPKT_PKfPKi31ggml_cuda_mm_fusion_args_devicePfi15HIP_vector_typeIjLj3EEiiiSB_iiiSB_iiii.uses_vcc, 1
	.set _ZL13mul_mat_vec_fI6__halfS0_Li6ELi96ELb0ELb0EEvPKT_PKfPKi31ggml_cuda_mm_fusion_args_devicePfi15HIP_vector_typeIjLj3EEiiiSB_iiiSB_iiii.uses_flat_scratch, 0
	.set _ZL13mul_mat_vec_fI6__halfS0_Li6ELi96ELb0ELb0EEvPKT_PKfPKi31ggml_cuda_mm_fusion_args_devicePfi15HIP_vector_typeIjLj3EEiiiSB_iiiSB_iiii.has_dyn_sized_stack, 0
	.set _ZL13mul_mat_vec_fI6__halfS0_Li6ELi96ELb0ELb0EEvPKT_PKfPKi31ggml_cuda_mm_fusion_args_devicePfi15HIP_vector_typeIjLj3EEiiiSB_iiiSB_iiii.has_recursion, 0
	.set _ZL13mul_mat_vec_fI6__halfS0_Li6ELi96ELb0ELb0EEvPKT_PKfPKi31ggml_cuda_mm_fusion_args_devicePfi15HIP_vector_typeIjLj3EEiiiSB_iiiSB_iiii.has_indirect_call, 0
	.section	.AMDGPU.csdata,"",@progbits
; Kernel info:
; codeLenInByte = 2668
; TotalNumSgprs: 38
; NumVgprs: 26
; ScratchSize: 0
; MemoryBound: 0
; FloatMode: 240
; IeeeMode: 1
; LDSByteSize: 0 bytes/workgroup (compile time only)
; SGPRBlocks: 0
; VGPRBlocks: 3
; NumSGPRsForWavesPerEU: 38
; NumVGPRsForWavesPerEU: 26
; Occupancy: 16
; WaveLimiterHint : 0
; COMPUTE_PGM_RSRC2:SCRATCH_EN: 0
; COMPUTE_PGM_RSRC2:USER_SGPR: 6
; COMPUTE_PGM_RSRC2:TRAP_HANDLER: 0
; COMPUTE_PGM_RSRC2:TGID_X_EN: 1
; COMPUTE_PGM_RSRC2:TGID_Y_EN: 1
; COMPUTE_PGM_RSRC2:TGID_Z_EN: 1
; COMPUTE_PGM_RSRC2:TIDIG_COMP_CNT: 0
	.section	.text._ZL13mul_mat_vec_fI6__halfS0_Li6ELi128ELb0ELb0EEvPKT_PKfPKi31ggml_cuda_mm_fusion_args_devicePfi15HIP_vector_typeIjLj3EEiiiSB_iiiSB_iiii,"axG",@progbits,_ZL13mul_mat_vec_fI6__halfS0_Li6ELi128ELb0ELb0EEvPKT_PKfPKi31ggml_cuda_mm_fusion_args_devicePfi15HIP_vector_typeIjLj3EEiiiSB_iiiSB_iiii,comdat
	.globl	_ZL13mul_mat_vec_fI6__halfS0_Li6ELi128ELb0ELb0EEvPKT_PKfPKi31ggml_cuda_mm_fusion_args_devicePfi15HIP_vector_typeIjLj3EEiiiSB_iiiSB_iiii ; -- Begin function _ZL13mul_mat_vec_fI6__halfS0_Li6ELi128ELb0ELb0EEvPKT_PKfPKi31ggml_cuda_mm_fusion_args_devicePfi15HIP_vector_typeIjLj3EEiiiSB_iiiSB_iiii
	.p2align	8
	.type	_ZL13mul_mat_vec_fI6__halfS0_Li6ELi128ELb0ELb0EEvPKT_PKfPKi31ggml_cuda_mm_fusion_args_devicePfi15HIP_vector_typeIjLj3EEiiiSB_iiiSB_iiii,@function
_ZL13mul_mat_vec_fI6__halfS0_Li6ELi128ELb0ELb0EEvPKT_PKfPKi31ggml_cuda_mm_fusion_args_devicePfi15HIP_vector_typeIjLj3EEiiiSB_iiiSB_iiii: ; @_ZL13mul_mat_vec_fI6__halfS0_Li6ELi128ELb0ELb0EEvPKT_PKfPKi31ggml_cuda_mm_fusion_args_devicePfi15HIP_vector_typeIjLj3EEiiiSB_iiiSB_iiii
; %bb.0:
	s_clause 0x2
	s_load_dwordx2 s[0:1], s[4:5], 0x10
	s_load_dwordx8 s[12:19], s[4:5], 0x40
	s_load_dwordx4 s[20:23], s[4:5], 0x80
	s_waitcnt lgkmcnt(0)
	s_cmp_eq_u64 s[0:1], 0
	s_cselect_b32 s10, -1, 0
	s_cmp_lg_u64 s[0:1], 0
	s_cselect_b32 s11, -1, 0
	s_and_b32 vcc_lo, exec_lo, s10
	s_cbranch_vccnz .LBB155_2
; %bb.1:
	s_mul_i32 s2, s23, s8
	s_mov_b32 s3, 0
	s_add_i32 s2, s2, s7
	s_lshl_b64 s[24:25], s[2:3], 2
	s_add_u32 s0, s0, s24
	s_addc_u32 s1, s1, s25
	s_load_dword s9, s[0:1], 0x0
	s_cbranch_execz .LBB155_3
	s_branch .LBB155_4
.LBB155_2:
                                        ; implicit-def: $sgpr9
.LBB155_3:
	s_load_dwordx2 s[0:1], s[4:5], 0x5c
	s_waitcnt lgkmcnt(0)
	s_mul_hi_u32 s0, s0, s7
	s_add_i32 s0, s7, s0
	s_lshr_b32 s9, s0, s1
.LBB155_4:
	s_load_dwordx4 s[24:27], s[4:5], 0x68
	s_andn2_b32 vcc_lo, exec_lo, s11
	s_mov_b32 s19, s7
	s_cbranch_vccnz .LBB155_6
; %bb.5:
	s_mul_hi_u32 s0, s13, s7
	s_add_i32 s0, s7, s0
	s_lshr_b32 s0, s0, s14
	s_mul_i32 s0, s0, s15
	s_sub_i32 s19, s7, s0
.LBB155_6:
	s_load_dword s13, s[4:5], 0x78
	v_cmp_gt_u32_e32 vcc_lo, 32, v0
	v_lshl_add_u32 v5, v0, 2, 0
	s_and_saveexec_b32 s0, vcc_lo
; %bb.7:
	v_mov_b32_e32 v1, 0
	ds_write_b32 v5, v1
; %bb.8:
	s_or_b32 exec_lo, exec_lo, s0
	v_mov_b32_e32 v9, 0
	v_mov_b32_e32 v12, 0
	;; [unrolled: 1-line block ×6, first 2 shown]
	s_and_b32 s0, exec_lo, s10
	s_cselect_b32 s10, s8, 0
	s_mov_b32 s11, exec_lo
	s_waitcnt lgkmcnt(0)
	s_barrier
	buffer_gl0_inv
	v_cmpx_gt_i32_e64 s12, v0
	s_cbranch_execz .LBB155_12
; %bb.9:
	s_load_dwordx4 s[0:3], s[4:5], 0x0
	s_mul_hi_u32 s23, s27, s10
	s_mul_hi_i32 s15, s21, s10
	s_mul_i32 s14, s21, s10
	s_mul_i32 s8, s9, s24
	;; [unrolled: 1-line block ×4, first 2 shown]
	s_add_i32 s16, s10, s23
	s_lshl_b64 s[34:35], s[14:15], 2
	s_ashr_i32 s9, s8, 31
	s_ashr_i32 s25, s24, 31
	;; [unrolled: 1-line block ×3, first 2 shown]
	s_lshr_b32 s13, s16, s13
	s_mov_b32 s30, s17
	s_mul_hi_i32 s21, s13, s20
	s_mul_i32 s20, s13, s20
	v_lshlrev_b32_e32 v2, 3, v0
	v_lshlrev_b32_e32 v1, 2, v0
	v_mov_b32_e32 v6, 0
	v_mov_b32_e32 v7, 0
	s_waitcnt lgkmcnt(0)
	s_add_u32 s14, s2, s34
	s_addc_u32 s15, s3, s35
	s_lshl_b64 s[28:29], s[28:29], 2
	v_mov_b32_e32 v8, 0
	s_add_u32 s13, s14, s28
	s_addc_u32 s14, s15, s29
	s_lshl_b64 s[8:9], s[8:9], 1
	s_ashr_i32 s31, s17, 31
	s_add_i32 s15, s17, s17
	s_lshl_b32 s16, s17, 2
	s_lshl_b64 s[20:21], s[20:21], 1
	s_lshl_b64 s[24:25], s[24:25], 1
	s_add_u32 s0, s0, s8
	s_addc_u32 s1, s1, s9
	s_add_u32 s0, s0, s24
	s_addc_u32 s1, s1, s25
	;; [unrolled: 2-line block ×3, first 2 shown]
	s_lshl_b64 s[8:9], s[30:31], 3
	s_add_u32 s2, s2, s28
	s_addc_u32 s3, s3, s29
	s_add_u32 s2, s2, s34
	s_addc_u32 s3, s3, s35
	v_add_co_u32 v3, s2, s2, v2
	v_add_co_ci_u32_e64 v4, null, s3, 0, s2
	v_add_co_u32 v1, s0, s0, v1
	v_add_co_ci_u32_e64 v2, null, s1, 0, s0
	;; [unrolled: 2-line block ×3, first 2 shown]
	v_mov_b32_e32 v11, 0
	v_mov_b32_e32 v12, 0
	;; [unrolled: 1-line block ×4, first 2 shown]
	s_mul_i32 s1, s17, 3
	s_mul_i32 s3, s17, 5
	s_mov_b32 s2, 0
.LBB155_10:                             ; =>This Inner Loop Header: Depth=1
	v_add_nc_u32_e32 v15, s15, v10
	v_add_nc_u32_e32 v19, s1, v10
	;; [unrolled: 1-line block ×4, first 2 shown]
	v_add_co_u32 v17, s0, v3, s8
	v_ashrrev_i32_e32 v16, 31, v15
	v_ashrrev_i32_e32 v20, 31, v19
	;; [unrolled: 1-line block ×4, first 2 shown]
	global_load_dwordx2 v[13:14], v[3:4], off offset:-4
	v_lshlrev_b64 v[15:16], 3, v[15:16]
	v_lshlrev_b64 v[19:20], 3, v[19:20]
	;; [unrolled: 1-line block ×3, first 2 shown]
	v_add_co_ci_u32_e64 v18, null, s9, v4, s0
	v_lshlrev_b64 v[23:24], 3, v[23:24]
	v_add_co_u32 v15, s0, s13, v15
	v_add_co_ci_u32_e64 v16, null, s14, v16, s0
	v_add_co_u32 v19, s0, s13, v19
	v_add_co_ci_u32_e64 v20, null, s14, v20, s0
	;; [unrolled: 2-line block ×4, first 2 shown]
	global_load_dwordx2 v[17:18], v[17:18], off offset:-4
	s_clause 0x3
	global_load_dwordx2 v[15:16], v[15:16], off
	global_load_dwordx2 v[19:20], v[19:20], off
	;; [unrolled: 1-line block ×4, first 2 shown]
	global_load_dword v25, v[1:2], off
	v_add_nc_u32_e32 v10, 0x80, v10
	v_add_co_u32 v1, s0, 0x200, v1
	v_add_co_ci_u32_e64 v2, null, 0, v2, s0
	v_add_co_u32 v3, s0, 0x400, v3
	v_add_co_ci_u32_e64 v4, null, 0, v4, s0
	v_cmp_le_i32_e64 s0, s12, v10
	s_or_b32 s2, s0, s2
	s_waitcnt vmcnt(6)
	v_cvt_f16_f32_e32 v13, v13
	v_cvt_f16_f32_e32 v14, v14
	v_pack_b32_f16 v13, v13, v14
	s_waitcnt vmcnt(5)
	v_cvt_f16_f32_e32 v14, v17
	v_cvt_f16_f32_e32 v17, v18
	s_waitcnt vmcnt(0)
	v_pk_fma_f16 v9, v25, v13, v9
	v_cvt_f16_f32_e32 v13, v15
	v_cvt_f16_f32_e32 v15, v16
	;; [unrolled: 1-line block ×8, first 2 shown]
	v_pack_b32_f16 v14, v14, v17
	v_pack_b32_f16 v13, v13, v15
	;; [unrolled: 1-line block ×5, first 2 shown]
	v_pk_fma_f16 v12, v25, v14, v12
	v_pk_fma_f16 v11, v25, v13, v11
	;; [unrolled: 1-line block ×5, first 2 shown]
	s_andn2_b32 exec_lo, exec_lo, s2
	s_cbranch_execnz .LBB155_10
; %bb.11:
	s_or_b32 exec_lo, exec_lo, s2
.LBB155_12:
	s_or_b32 exec_lo, exec_lo, s11
	v_mbcnt_lo_u32_b32 v2, -1, 0
	v_cvt_f32_f16_e32 v3, v9
	v_cvt_f32_f16_sdwa v4, v9 dst_sel:DWORD dst_unused:UNUSED_PAD src0_sel:WORD_1
	v_cvt_f32_f16_e32 v16, v12
	v_cvt_f32_f16_sdwa v17, v12 dst_sel:DWORD dst_unused:UNUSED_PAD src0_sel:WORD_1
	v_xor_b32_e32 v1, 16, v2
	v_cvt_f32_f16_sdwa v15, v11 dst_sel:DWORD dst_unused:UNUSED_PAD src0_sel:WORD_1
	v_add_f32_e32 v4, v3, v4
	v_xor_b32_e32 v3, 8, v2
	v_cmp_gt_i32_e64 s0, 32, v1
	v_cndmask_b32_e64 v1, v2, v1, s0
	v_cmp_gt_i32_e64 s0, 32, v3
	v_lshlrev_b32_e32 v1, 2, v1
	v_cndmask_b32_e64 v3, v2, v3, s0
	ds_bpermute_b32 v9, v1, v4
	v_lshlrev_b32_e32 v3, 2, v3
	s_waitcnt lgkmcnt(0)
	v_add_f32_e32 v9, v4, v9
	v_xor_b32_e32 v4, 4, v2
	ds_bpermute_b32 v10, v3, v9
	v_cmp_gt_i32_e64 s0, 32, v4
	v_cndmask_b32_e64 v4, v2, v4, s0
	v_lshlrev_b32_e32 v4, 2, v4
	s_waitcnt lgkmcnt(0)
	v_add_f32_e32 v10, v9, v10
	v_xor_b32_e32 v9, 2, v2
	ds_bpermute_b32 v13, v4, v10
	v_cmp_gt_i32_e64 s0, 32, v9
	v_cndmask_b32_e64 v9, v2, v9, s0
	;; [unrolled: 7-line block ×3, first 2 shown]
	v_lshlrev_b32_e32 v10, 2, v2
	s_waitcnt lgkmcnt(0)
	v_add_f32_e32 v2, v13, v14
	v_lshrrev_b32_e32 v14, 3, v0
	ds_bpermute_b32 v13, v10, v2
	v_and_b32_e32 v14, 0x7c, v14
	v_add_nc_u32_e32 v12, 0, v14
	s_waitcnt lgkmcnt(0)
	v_add_f32_e32 v2, v2, v13
	v_cvt_f32_f16_e32 v13, v11
	v_add_f32_e32 v11, v16, v17
	ds_write_b32 v12, v2
	s_waitcnt lgkmcnt(0)
	s_barrier
	buffer_gl0_inv
	s_and_saveexec_b32 s0, vcc_lo
	s_cbranch_execz .LBB155_14
; %bb.13:
	ds_read_b32 v2, v5
	s_waitcnt lgkmcnt(0)
	ds_bpermute_b32 v14, v1, v2
	s_waitcnt lgkmcnt(0)
	v_add_f32_e32 v2, v2, v14
	ds_bpermute_b32 v14, v3, v2
	s_waitcnt lgkmcnt(0)
	v_add_f32_e32 v2, v2, v14
	ds_bpermute_b32 v14, v4, v2
	s_waitcnt lgkmcnt(0)
	v_add_f32_e32 v2, v2, v14
	ds_bpermute_b32 v14, v9, v2
	s_waitcnt lgkmcnt(0)
	v_add_f32_e32 v2, v2, v14
	ds_bpermute_b32 v14, v10, v2
	s_waitcnt lgkmcnt(0)
	v_add_f32_e32 v2, v2, v14
.LBB155_14:
	s_or_b32 exec_lo, exec_lo, s0
	ds_bpermute_b32 v14, v1, v11
	v_add_f32_e32 v13, v13, v15
	s_waitcnt lgkmcnt(0)
	s_barrier
	buffer_gl0_inv
	v_add_f32_e32 v11, v11, v14
	ds_bpermute_b32 v14, v3, v11
	s_waitcnt lgkmcnt(0)
	v_add_f32_e32 v11, v11, v14
	ds_bpermute_b32 v14, v4, v11
	s_waitcnt lgkmcnt(0)
	;; [unrolled: 3-line block ×3, first 2 shown]
	v_add_f32_e32 v16, v11, v14
	v_cvt_f32_f16_e32 v11, v8
	v_cvt_f32_f16_sdwa v14, v8 dst_sel:DWORD dst_unused:UNUSED_PAD src0_sel:WORD_1
	ds_bpermute_b32 v17, v10, v16
	s_waitcnt lgkmcnt(0)
	v_add_f32_e32 v8, v16, v17
	ds_write_b32 v12, v8
	s_waitcnt lgkmcnt(0)
	s_barrier
	buffer_gl0_inv
	s_and_saveexec_b32 s0, vcc_lo
	s_cbranch_execz .LBB155_16
; %bb.15:
	ds_read_b32 v8, v5
	s_waitcnt lgkmcnt(0)
	ds_bpermute_b32 v15, v1, v8
	s_waitcnt lgkmcnt(0)
	v_add_f32_e32 v8, v8, v15
	ds_bpermute_b32 v15, v3, v8
	s_waitcnt lgkmcnt(0)
	v_add_f32_e32 v8, v8, v15
	;; [unrolled: 3-line block ×5, first 2 shown]
.LBB155_16:
	s_or_b32 exec_lo, exec_lo, s0
	ds_bpermute_b32 v15, v1, v13
	v_add_f32_e32 v11, v11, v14
	s_waitcnt lgkmcnt(0)
	s_barrier
	buffer_gl0_inv
	v_add_f32_e32 v13, v13, v15
	ds_bpermute_b32 v15, v3, v13
	s_waitcnt lgkmcnt(0)
	v_add_f32_e32 v13, v13, v15
	ds_bpermute_b32 v15, v4, v13
	s_waitcnt lgkmcnt(0)
	;; [unrolled: 3-line block ×3, first 2 shown]
	v_add_f32_e32 v16, v13, v15
	v_cvt_f32_f16_e32 v13, v7
	v_cvt_f32_f16_sdwa v15, v7 dst_sel:DWORD dst_unused:UNUSED_PAD src0_sel:WORD_1
	ds_bpermute_b32 v17, v10, v16
	s_waitcnt lgkmcnt(0)
	v_add_f32_e32 v7, v16, v17
	ds_write_b32 v12, v7
	s_waitcnt lgkmcnt(0)
	s_barrier
	buffer_gl0_inv
	s_and_saveexec_b32 s0, vcc_lo
	s_cbranch_execz .LBB155_18
; %bb.17:
	ds_read_b32 v7, v5
	s_waitcnt lgkmcnt(0)
	ds_bpermute_b32 v14, v1, v7
	s_waitcnt lgkmcnt(0)
	v_add_f32_e32 v7, v7, v14
	ds_bpermute_b32 v14, v3, v7
	s_waitcnt lgkmcnt(0)
	v_add_f32_e32 v7, v7, v14
	ds_bpermute_b32 v14, v4, v7
	s_waitcnt lgkmcnt(0)
	v_add_f32_e32 v7, v7, v14
	ds_bpermute_b32 v14, v9, v7
	s_waitcnt lgkmcnt(0)
	v_add_f32_e32 v7, v7, v14
	ds_bpermute_b32 v14, v10, v7
	s_waitcnt lgkmcnt(0)
	v_add_f32_e32 v7, v7, v14
.LBB155_18:
	s_or_b32 exec_lo, exec_lo, s0
	ds_bpermute_b32 v14, v1, v11
	v_cvt_f32_f16_sdwa v16, v6 dst_sel:DWORD dst_unused:UNUSED_PAD src0_sel:WORD_1
	s_waitcnt lgkmcnt(0)
	s_barrier
	buffer_gl0_inv
	v_add_f32_e32 v11, v11, v14
	ds_bpermute_b32 v14, v3, v11
	s_waitcnt lgkmcnt(0)
	v_add_f32_e32 v11, v11, v14
	ds_bpermute_b32 v14, v4, v11
	s_waitcnt lgkmcnt(0)
	;; [unrolled: 3-line block ×3, first 2 shown]
	v_add_f32_e32 v11, v11, v14
	v_cvt_f32_f16_e32 v14, v6
	ds_bpermute_b32 v17, v10, v11
	s_waitcnt lgkmcnt(0)
	v_add_f32_e32 v6, v11, v17
	v_add_f32_e32 v11, v13, v15
	ds_write_b32 v12, v6
	s_waitcnt lgkmcnt(0)
	s_barrier
	buffer_gl0_inv
	s_and_saveexec_b32 s0, vcc_lo
	s_cbranch_execz .LBB155_20
; %bb.19:
	ds_read_b32 v6, v5
	s_waitcnt lgkmcnt(0)
	ds_bpermute_b32 v13, v1, v6
	s_waitcnt lgkmcnt(0)
	v_add_f32_e32 v6, v6, v13
	ds_bpermute_b32 v13, v3, v6
	s_waitcnt lgkmcnt(0)
	v_add_f32_e32 v6, v6, v13
	ds_bpermute_b32 v13, v4, v6
	s_waitcnt lgkmcnt(0)
	v_add_f32_e32 v6, v6, v13
	ds_bpermute_b32 v13, v9, v6
	s_waitcnt lgkmcnt(0)
	v_add_f32_e32 v6, v6, v13
	ds_bpermute_b32 v13, v10, v6
	s_waitcnt lgkmcnt(0)
	v_add_f32_e32 v6, v6, v13
.LBB155_20:
	s_or_b32 exec_lo, exec_lo, s0
	ds_bpermute_b32 v13, v1, v11
	s_waitcnt lgkmcnt(0)
	s_barrier
	buffer_gl0_inv
	v_add_f32_e32 v11, v11, v13
	ds_bpermute_b32 v13, v3, v11
	s_waitcnt lgkmcnt(0)
	v_add_f32_e32 v11, v11, v13
	ds_bpermute_b32 v13, v4, v11
	s_waitcnt lgkmcnt(0)
	v_add_f32_e32 v11, v11, v13
	ds_bpermute_b32 v13, v9, v11
	s_waitcnt lgkmcnt(0)
	v_add_f32_e32 v11, v11, v13
	ds_bpermute_b32 v13, v10, v11
	s_waitcnt lgkmcnt(0)
	v_add_f32_e32 v11, v11, v13
	v_add_f32_e32 v13, v14, v16
	ds_write_b32 v12, v11
	s_waitcnt lgkmcnt(0)
	s_barrier
	buffer_gl0_inv
	s_and_saveexec_b32 s0, vcc_lo
	s_cbranch_execz .LBB155_22
; %bb.21:
	ds_read_b32 v11, v5
	s_waitcnt lgkmcnt(0)
	ds_bpermute_b32 v14, v1, v11
	s_waitcnt lgkmcnt(0)
	v_add_f32_e32 v11, v11, v14
	ds_bpermute_b32 v14, v3, v11
	s_waitcnt lgkmcnt(0)
	v_add_f32_e32 v11, v11, v14
	;; [unrolled: 3-line block ×5, first 2 shown]
.LBB155_22:
	s_or_b32 exec_lo, exec_lo, s0
	ds_bpermute_b32 v14, v1, v13
	s_waitcnt lgkmcnt(0)
	s_barrier
	buffer_gl0_inv
	v_add_f32_e32 v13, v13, v14
	ds_bpermute_b32 v14, v3, v13
	s_waitcnt lgkmcnt(0)
	v_add_f32_e32 v13, v13, v14
	ds_bpermute_b32 v14, v4, v13
	s_waitcnt lgkmcnt(0)
	v_add_f32_e32 v13, v13, v14
	ds_bpermute_b32 v14, v9, v13
	s_waitcnt lgkmcnt(0)
	v_add_f32_e32 v13, v13, v14
	ds_bpermute_b32 v14, v10, v13
	s_waitcnt lgkmcnt(0)
	v_add_f32_e32 v13, v13, v14
	ds_write_b32 v12, v13
	s_waitcnt lgkmcnt(0)
	s_barrier
	buffer_gl0_inv
	s_and_saveexec_b32 s0, vcc_lo
	s_cbranch_execz .LBB155_24
; %bb.23:
	ds_read_b32 v5, v5
	s_waitcnt lgkmcnt(0)
	ds_bpermute_b32 v1, v1, v5
	s_waitcnt lgkmcnt(0)
	v_add_f32_e32 v1, v5, v1
	ds_bpermute_b32 v3, v3, v1
	s_waitcnt lgkmcnt(0)
	v_add_f32_e32 v1, v1, v3
	;; [unrolled: 3-line block ×5, first 2 shown]
.LBB155_24:
	s_or_b32 exec_lo, exec_lo, s0
	s_barrier
	buffer_gl0_inv
	s_mov_b32 s0, exec_lo
	v_cmpx_gt_u32_e32 6, v0
	s_cbranch_execz .LBB155_26
; %bb.25:
	s_load_dwordx2 s[0:1], s[4:5], 0x38
	v_cmp_eq_u32_e32 vcc_lo, 1, v0
	s_mul_hi_i32 s3, s22, s10
	s_mul_i32 s2, s22, s10
	s_mul_i32 s4, s26, s7
	s_lshl_b64 s[2:3], s[2:3], 2
	v_cndmask_b32_e32 v3, v2, v8, vcc_lo
	v_cmp_eq_u32_e32 vcc_lo, 2, v0
	v_mad_u64_u32 v[1:2], null, s18, v0, s[6:7]
	s_ashr_i32 s5, s4, 31
	v_cndmask_b32_e32 v3, v3, v7, vcc_lo
	v_cmp_eq_u32_e32 vcc_lo, 3, v0
	v_ashrrev_i32_e32 v2, 31, v1
	v_cndmask_b32_e32 v3, v3, v6, vcc_lo
	v_cmp_eq_u32_e32 vcc_lo, 4, v0
	s_waitcnt lgkmcnt(0)
	s_add_u32 s2, s0, s2
	v_lshlrev_b64 v[1:2], 2, v[1:2]
	s_addc_u32 s3, s1, s3
	s_lshl_b64 s[0:1], s[4:5], 2
	v_cndmask_b32_e32 v3, v3, v11, vcc_lo
	v_cmp_eq_u32_e32 vcc_lo, 5, v0
	s_add_u32 s0, s2, s0
	s_addc_u32 s1, s3, s1
	v_cndmask_b32_e32 v3, v3, v13, vcc_lo
	v_add_co_u32 v0, vcc_lo, s0, v1
	v_add_co_ci_u32_e64 v1, null, s1, v2, vcc_lo
	global_store_dword v[0:1], v3, off
.LBB155_26:
	s_endpgm
	.section	.rodata,"a",@progbits
	.p2align	6, 0x0
	.amdhsa_kernel _ZL13mul_mat_vec_fI6__halfS0_Li6ELi128ELb0ELb0EEvPKT_PKfPKi31ggml_cuda_mm_fusion_args_devicePfi15HIP_vector_typeIjLj3EEiiiSB_iiiSB_iiii
		.amdhsa_group_segment_fixed_size 0
		.amdhsa_private_segment_fixed_size 0
		.amdhsa_kernarg_size 144
		.amdhsa_user_sgpr_count 6
		.amdhsa_user_sgpr_private_segment_buffer 1
		.amdhsa_user_sgpr_dispatch_ptr 0
		.amdhsa_user_sgpr_queue_ptr 0
		.amdhsa_user_sgpr_kernarg_segment_ptr 1
		.amdhsa_user_sgpr_dispatch_id 0
		.amdhsa_user_sgpr_flat_scratch_init 0
		.amdhsa_user_sgpr_private_segment_size 0
		.amdhsa_wavefront_size32 1
		.amdhsa_uses_dynamic_stack 0
		.amdhsa_system_sgpr_private_segment_wavefront_offset 0
		.amdhsa_system_sgpr_workgroup_id_x 1
		.amdhsa_system_sgpr_workgroup_id_y 1
		.amdhsa_system_sgpr_workgroup_id_z 1
		.amdhsa_system_sgpr_workgroup_info 0
		.amdhsa_system_vgpr_workitem_id 0
		.amdhsa_next_free_vgpr 26
		.amdhsa_next_free_sgpr 36
		.amdhsa_reserve_vcc 1
		.amdhsa_reserve_flat_scratch 0
		.amdhsa_float_round_mode_32 0
		.amdhsa_float_round_mode_16_64 0
		.amdhsa_float_denorm_mode_32 3
		.amdhsa_float_denorm_mode_16_64 3
		.amdhsa_dx10_clamp 1
		.amdhsa_ieee_mode 1
		.amdhsa_fp16_overflow 0
		.amdhsa_workgroup_processor_mode 1
		.amdhsa_memory_ordered 1
		.amdhsa_forward_progress 1
		.amdhsa_shared_vgpr_count 0
		.amdhsa_exception_fp_ieee_invalid_op 0
		.amdhsa_exception_fp_denorm_src 0
		.amdhsa_exception_fp_ieee_div_zero 0
		.amdhsa_exception_fp_ieee_overflow 0
		.amdhsa_exception_fp_ieee_underflow 0
		.amdhsa_exception_fp_ieee_inexact 0
		.amdhsa_exception_int_div_zero 0
	.end_amdhsa_kernel
	.section	.text._ZL13mul_mat_vec_fI6__halfS0_Li6ELi128ELb0ELb0EEvPKT_PKfPKi31ggml_cuda_mm_fusion_args_devicePfi15HIP_vector_typeIjLj3EEiiiSB_iiiSB_iiii,"axG",@progbits,_ZL13mul_mat_vec_fI6__halfS0_Li6ELi128ELb0ELb0EEvPKT_PKfPKi31ggml_cuda_mm_fusion_args_devicePfi15HIP_vector_typeIjLj3EEiiiSB_iiiSB_iiii,comdat
.Lfunc_end155:
	.size	_ZL13mul_mat_vec_fI6__halfS0_Li6ELi128ELb0ELb0EEvPKT_PKfPKi31ggml_cuda_mm_fusion_args_devicePfi15HIP_vector_typeIjLj3EEiiiSB_iiiSB_iiii, .Lfunc_end155-_ZL13mul_mat_vec_fI6__halfS0_Li6ELi128ELb0ELb0EEvPKT_PKfPKi31ggml_cuda_mm_fusion_args_devicePfi15HIP_vector_typeIjLj3EEiiiSB_iiiSB_iiii
                                        ; -- End function
	.set _ZL13mul_mat_vec_fI6__halfS0_Li6ELi128ELb0ELb0EEvPKT_PKfPKi31ggml_cuda_mm_fusion_args_devicePfi15HIP_vector_typeIjLj3EEiiiSB_iiiSB_iiii.num_vgpr, 26
	.set _ZL13mul_mat_vec_fI6__halfS0_Li6ELi128ELb0ELb0EEvPKT_PKfPKi31ggml_cuda_mm_fusion_args_devicePfi15HIP_vector_typeIjLj3EEiiiSB_iiiSB_iiii.num_agpr, 0
	.set _ZL13mul_mat_vec_fI6__halfS0_Li6ELi128ELb0ELb0EEvPKT_PKfPKi31ggml_cuda_mm_fusion_args_devicePfi15HIP_vector_typeIjLj3EEiiiSB_iiiSB_iiii.numbered_sgpr, 36
	.set _ZL13mul_mat_vec_fI6__halfS0_Li6ELi128ELb0ELb0EEvPKT_PKfPKi31ggml_cuda_mm_fusion_args_devicePfi15HIP_vector_typeIjLj3EEiiiSB_iiiSB_iiii.num_named_barrier, 0
	.set _ZL13mul_mat_vec_fI6__halfS0_Li6ELi128ELb0ELb0EEvPKT_PKfPKi31ggml_cuda_mm_fusion_args_devicePfi15HIP_vector_typeIjLj3EEiiiSB_iiiSB_iiii.private_seg_size, 0
	.set _ZL13mul_mat_vec_fI6__halfS0_Li6ELi128ELb0ELb0EEvPKT_PKfPKi31ggml_cuda_mm_fusion_args_devicePfi15HIP_vector_typeIjLj3EEiiiSB_iiiSB_iiii.uses_vcc, 1
	.set _ZL13mul_mat_vec_fI6__halfS0_Li6ELi128ELb0ELb0EEvPKT_PKfPKi31ggml_cuda_mm_fusion_args_devicePfi15HIP_vector_typeIjLj3EEiiiSB_iiiSB_iiii.uses_flat_scratch, 0
	.set _ZL13mul_mat_vec_fI6__halfS0_Li6ELi128ELb0ELb0EEvPKT_PKfPKi31ggml_cuda_mm_fusion_args_devicePfi15HIP_vector_typeIjLj3EEiiiSB_iiiSB_iiii.has_dyn_sized_stack, 0
	.set _ZL13mul_mat_vec_fI6__halfS0_Li6ELi128ELb0ELb0EEvPKT_PKfPKi31ggml_cuda_mm_fusion_args_devicePfi15HIP_vector_typeIjLj3EEiiiSB_iiiSB_iiii.has_recursion, 0
	.set _ZL13mul_mat_vec_fI6__halfS0_Li6ELi128ELb0ELb0EEvPKT_PKfPKi31ggml_cuda_mm_fusion_args_devicePfi15HIP_vector_typeIjLj3EEiiiSB_iiiSB_iiii.has_indirect_call, 0
	.section	.AMDGPU.csdata,"",@progbits
; Kernel info:
; codeLenInByte = 2668
; TotalNumSgprs: 38
; NumVgprs: 26
; ScratchSize: 0
; MemoryBound: 0
; FloatMode: 240
; IeeeMode: 1
; LDSByteSize: 0 bytes/workgroup (compile time only)
; SGPRBlocks: 0
; VGPRBlocks: 3
; NumSGPRsForWavesPerEU: 38
; NumVGPRsForWavesPerEU: 26
; Occupancy: 16
; WaveLimiterHint : 0
; COMPUTE_PGM_RSRC2:SCRATCH_EN: 0
; COMPUTE_PGM_RSRC2:USER_SGPR: 6
; COMPUTE_PGM_RSRC2:TRAP_HANDLER: 0
; COMPUTE_PGM_RSRC2:TGID_X_EN: 1
; COMPUTE_PGM_RSRC2:TGID_Y_EN: 1
; COMPUTE_PGM_RSRC2:TGID_Z_EN: 1
; COMPUTE_PGM_RSRC2:TIDIG_COMP_CNT: 0
	.section	.text._ZL13mul_mat_vec_fI6__halfS0_Li6ELi160ELb0ELb0EEvPKT_PKfPKi31ggml_cuda_mm_fusion_args_devicePfi15HIP_vector_typeIjLj3EEiiiSB_iiiSB_iiii,"axG",@progbits,_ZL13mul_mat_vec_fI6__halfS0_Li6ELi160ELb0ELb0EEvPKT_PKfPKi31ggml_cuda_mm_fusion_args_devicePfi15HIP_vector_typeIjLj3EEiiiSB_iiiSB_iiii,comdat
	.globl	_ZL13mul_mat_vec_fI6__halfS0_Li6ELi160ELb0ELb0EEvPKT_PKfPKi31ggml_cuda_mm_fusion_args_devicePfi15HIP_vector_typeIjLj3EEiiiSB_iiiSB_iiii ; -- Begin function _ZL13mul_mat_vec_fI6__halfS0_Li6ELi160ELb0ELb0EEvPKT_PKfPKi31ggml_cuda_mm_fusion_args_devicePfi15HIP_vector_typeIjLj3EEiiiSB_iiiSB_iiii
	.p2align	8
	.type	_ZL13mul_mat_vec_fI6__halfS0_Li6ELi160ELb0ELb0EEvPKT_PKfPKi31ggml_cuda_mm_fusion_args_devicePfi15HIP_vector_typeIjLj3EEiiiSB_iiiSB_iiii,@function
_ZL13mul_mat_vec_fI6__halfS0_Li6ELi160ELb0ELb0EEvPKT_PKfPKi31ggml_cuda_mm_fusion_args_devicePfi15HIP_vector_typeIjLj3EEiiiSB_iiiSB_iiii: ; @_ZL13mul_mat_vec_fI6__halfS0_Li6ELi160ELb0ELb0EEvPKT_PKfPKi31ggml_cuda_mm_fusion_args_devicePfi15HIP_vector_typeIjLj3EEiiiSB_iiiSB_iiii
; %bb.0:
	s_clause 0x2
	s_load_dwordx2 s[0:1], s[4:5], 0x10
	s_load_dwordx8 s[12:19], s[4:5], 0x40
	s_load_dwordx4 s[20:23], s[4:5], 0x80
	s_waitcnt lgkmcnt(0)
	s_cmp_eq_u64 s[0:1], 0
	s_cselect_b32 s10, -1, 0
	s_cmp_lg_u64 s[0:1], 0
	s_cselect_b32 s11, -1, 0
	s_and_b32 vcc_lo, exec_lo, s10
	s_cbranch_vccnz .LBB156_2
; %bb.1:
	s_mul_i32 s2, s23, s8
	s_mov_b32 s3, 0
	s_add_i32 s2, s2, s7
	s_lshl_b64 s[24:25], s[2:3], 2
	s_add_u32 s0, s0, s24
	s_addc_u32 s1, s1, s25
	s_load_dword s9, s[0:1], 0x0
	s_cbranch_execz .LBB156_3
	s_branch .LBB156_4
.LBB156_2:
                                        ; implicit-def: $sgpr9
.LBB156_3:
	s_load_dwordx2 s[0:1], s[4:5], 0x5c
	s_waitcnt lgkmcnt(0)
	s_mul_hi_u32 s0, s0, s7
	s_add_i32 s0, s7, s0
	s_lshr_b32 s9, s0, s1
.LBB156_4:
	s_load_dwordx4 s[24:27], s[4:5], 0x68
	s_andn2_b32 vcc_lo, exec_lo, s11
	s_mov_b32 s19, s7
	s_cbranch_vccnz .LBB156_6
; %bb.5:
	s_mul_hi_u32 s0, s13, s7
	s_add_i32 s0, s7, s0
	s_lshr_b32 s0, s0, s14
	s_mul_i32 s0, s0, s15
	s_sub_i32 s19, s7, s0
.LBB156_6:
	s_load_dword s13, s[4:5], 0x78
	v_cmp_gt_u32_e32 vcc_lo, 32, v0
	v_lshl_add_u32 v5, v0, 2, 0
	s_and_saveexec_b32 s0, vcc_lo
; %bb.7:
	v_mov_b32_e32 v1, 0
	ds_write_b32 v5, v1
; %bb.8:
	s_or_b32 exec_lo, exec_lo, s0
	v_mov_b32_e32 v9, 0
	v_mov_b32_e32 v12, 0
	;; [unrolled: 1-line block ×6, first 2 shown]
	s_and_b32 s0, exec_lo, s10
	s_cselect_b32 s10, s8, 0
	s_mov_b32 s11, exec_lo
	s_waitcnt lgkmcnt(0)
	s_barrier
	buffer_gl0_inv
	v_cmpx_gt_i32_e64 s12, v0
	s_cbranch_execz .LBB156_12
; %bb.9:
	s_load_dwordx4 s[0:3], s[4:5], 0x0
	s_mul_hi_u32 s23, s27, s10
	s_mul_hi_i32 s15, s21, s10
	s_mul_i32 s14, s21, s10
	s_mul_i32 s8, s9, s24
	;; [unrolled: 1-line block ×4, first 2 shown]
	s_add_i32 s16, s10, s23
	s_lshl_b64 s[34:35], s[14:15], 2
	s_ashr_i32 s9, s8, 31
	s_ashr_i32 s25, s24, 31
	;; [unrolled: 1-line block ×3, first 2 shown]
	s_lshr_b32 s13, s16, s13
	s_mov_b32 s30, s17
	s_mul_hi_i32 s21, s13, s20
	s_mul_i32 s20, s13, s20
	v_lshlrev_b32_e32 v2, 3, v0
	v_lshlrev_b32_e32 v1, 2, v0
	v_mov_b32_e32 v6, 0
	v_mov_b32_e32 v7, 0
	s_waitcnt lgkmcnt(0)
	s_add_u32 s14, s2, s34
	s_addc_u32 s15, s3, s35
	s_lshl_b64 s[28:29], s[28:29], 2
	v_mov_b32_e32 v8, 0
	s_add_u32 s13, s14, s28
	s_addc_u32 s14, s15, s29
	s_lshl_b64 s[8:9], s[8:9], 1
	s_ashr_i32 s31, s17, 31
	s_add_i32 s15, s17, s17
	s_lshl_b32 s16, s17, 2
	s_lshl_b64 s[20:21], s[20:21], 1
	s_lshl_b64 s[24:25], s[24:25], 1
	s_add_u32 s0, s0, s8
	s_addc_u32 s1, s1, s9
	s_add_u32 s0, s0, s24
	s_addc_u32 s1, s1, s25
	;; [unrolled: 2-line block ×3, first 2 shown]
	s_lshl_b64 s[8:9], s[30:31], 3
	s_add_u32 s2, s2, s28
	s_addc_u32 s3, s3, s29
	s_add_u32 s2, s2, s34
	s_addc_u32 s3, s3, s35
	v_add_co_u32 v3, s2, s2, v2
	v_add_co_ci_u32_e64 v4, null, s3, 0, s2
	v_add_co_u32 v1, s0, s0, v1
	v_add_co_ci_u32_e64 v2, null, s1, 0, s0
	v_add_co_u32 v3, s0, v3, 4
	v_add_co_ci_u32_e64 v4, null, 0, v4, s0
	v_mov_b32_e32 v11, 0
	v_mov_b32_e32 v12, 0
	;; [unrolled: 1-line block ×4, first 2 shown]
	s_mul_i32 s1, s17, 3
	s_mul_i32 s3, s17, 5
	s_mov_b32 s2, 0
.LBB156_10:                             ; =>This Inner Loop Header: Depth=1
	v_add_nc_u32_e32 v15, s15, v10
	v_add_nc_u32_e32 v19, s1, v10
	;; [unrolled: 1-line block ×4, first 2 shown]
	v_add_co_u32 v17, s0, v3, s8
	v_ashrrev_i32_e32 v16, 31, v15
	v_ashrrev_i32_e32 v20, 31, v19
	;; [unrolled: 1-line block ×4, first 2 shown]
	global_load_dwordx2 v[13:14], v[3:4], off offset:-4
	v_lshlrev_b64 v[15:16], 3, v[15:16]
	v_lshlrev_b64 v[19:20], 3, v[19:20]
	v_lshlrev_b64 v[21:22], 3, v[21:22]
	v_add_co_ci_u32_e64 v18, null, s9, v4, s0
	v_lshlrev_b64 v[23:24], 3, v[23:24]
	v_add_co_u32 v15, s0, s13, v15
	v_add_co_ci_u32_e64 v16, null, s14, v16, s0
	v_add_co_u32 v19, s0, s13, v19
	v_add_co_ci_u32_e64 v20, null, s14, v20, s0
	;; [unrolled: 2-line block ×4, first 2 shown]
	global_load_dwordx2 v[17:18], v[17:18], off offset:-4
	s_clause 0x3
	global_load_dwordx2 v[15:16], v[15:16], off
	global_load_dwordx2 v[19:20], v[19:20], off
	;; [unrolled: 1-line block ×4, first 2 shown]
	global_load_dword v25, v[1:2], off
	v_add_nc_u32_e32 v10, 0xa0, v10
	v_add_co_u32 v1, s0, 0x280, v1
	v_add_co_ci_u32_e64 v2, null, 0, v2, s0
	v_add_co_u32 v3, s0, 0x500, v3
	v_add_co_ci_u32_e64 v4, null, 0, v4, s0
	v_cmp_le_i32_e64 s0, s12, v10
	s_or_b32 s2, s0, s2
	s_waitcnt vmcnt(6)
	v_cvt_f16_f32_e32 v13, v13
	v_cvt_f16_f32_e32 v14, v14
	v_pack_b32_f16 v13, v13, v14
	s_waitcnt vmcnt(5)
	v_cvt_f16_f32_e32 v14, v17
	v_cvt_f16_f32_e32 v17, v18
	s_waitcnt vmcnt(0)
	v_pk_fma_f16 v9, v25, v13, v9
	v_cvt_f16_f32_e32 v13, v15
	v_cvt_f16_f32_e32 v15, v16
	;; [unrolled: 1-line block ×8, first 2 shown]
	v_pack_b32_f16 v14, v14, v17
	v_pack_b32_f16 v13, v13, v15
	;; [unrolled: 1-line block ×5, first 2 shown]
	v_pk_fma_f16 v12, v25, v14, v12
	v_pk_fma_f16 v11, v25, v13, v11
	;; [unrolled: 1-line block ×5, first 2 shown]
	s_andn2_b32 exec_lo, exec_lo, s2
	s_cbranch_execnz .LBB156_10
; %bb.11:
	s_or_b32 exec_lo, exec_lo, s2
.LBB156_12:
	s_or_b32 exec_lo, exec_lo, s11
	v_mbcnt_lo_u32_b32 v2, -1, 0
	v_cvt_f32_f16_e32 v3, v9
	v_cvt_f32_f16_sdwa v4, v9 dst_sel:DWORD dst_unused:UNUSED_PAD src0_sel:WORD_1
	v_cvt_f32_f16_e32 v16, v12
	v_cvt_f32_f16_sdwa v17, v12 dst_sel:DWORD dst_unused:UNUSED_PAD src0_sel:WORD_1
	v_xor_b32_e32 v1, 16, v2
	v_cvt_f32_f16_sdwa v15, v11 dst_sel:DWORD dst_unused:UNUSED_PAD src0_sel:WORD_1
	v_add_f32_e32 v4, v3, v4
	v_xor_b32_e32 v3, 8, v2
	v_cmp_gt_i32_e64 s0, 32, v1
	v_cndmask_b32_e64 v1, v2, v1, s0
	v_cmp_gt_i32_e64 s0, 32, v3
	v_lshlrev_b32_e32 v1, 2, v1
	v_cndmask_b32_e64 v3, v2, v3, s0
	ds_bpermute_b32 v9, v1, v4
	v_lshlrev_b32_e32 v3, 2, v3
	s_waitcnt lgkmcnt(0)
	v_add_f32_e32 v9, v4, v9
	v_xor_b32_e32 v4, 4, v2
	ds_bpermute_b32 v10, v3, v9
	v_cmp_gt_i32_e64 s0, 32, v4
	v_cndmask_b32_e64 v4, v2, v4, s0
	v_lshlrev_b32_e32 v4, 2, v4
	s_waitcnt lgkmcnt(0)
	v_add_f32_e32 v10, v9, v10
	v_xor_b32_e32 v9, 2, v2
	ds_bpermute_b32 v13, v4, v10
	v_cmp_gt_i32_e64 s0, 32, v9
	v_cndmask_b32_e64 v9, v2, v9, s0
	;; [unrolled: 7-line block ×3, first 2 shown]
	v_lshlrev_b32_e32 v10, 2, v2
	s_waitcnt lgkmcnt(0)
	v_add_f32_e32 v2, v13, v14
	v_lshrrev_b32_e32 v14, 3, v0
	ds_bpermute_b32 v13, v10, v2
	v_and_b32_e32 v14, 0x7c, v14
	v_add_nc_u32_e32 v12, 0, v14
	s_waitcnt lgkmcnt(0)
	v_add_f32_e32 v2, v2, v13
	v_cvt_f32_f16_e32 v13, v11
	v_add_f32_e32 v11, v16, v17
	ds_write_b32 v12, v2
	s_waitcnt lgkmcnt(0)
	s_barrier
	buffer_gl0_inv
	s_and_saveexec_b32 s0, vcc_lo
	s_cbranch_execz .LBB156_14
; %bb.13:
	ds_read_b32 v2, v5
	s_waitcnt lgkmcnt(0)
	ds_bpermute_b32 v14, v1, v2
	s_waitcnt lgkmcnt(0)
	v_add_f32_e32 v2, v2, v14
	ds_bpermute_b32 v14, v3, v2
	s_waitcnt lgkmcnt(0)
	v_add_f32_e32 v2, v2, v14
	;; [unrolled: 3-line block ×5, first 2 shown]
.LBB156_14:
	s_or_b32 exec_lo, exec_lo, s0
	ds_bpermute_b32 v14, v1, v11
	v_add_f32_e32 v13, v13, v15
	s_waitcnt lgkmcnt(0)
	s_barrier
	buffer_gl0_inv
	v_add_f32_e32 v11, v11, v14
	ds_bpermute_b32 v14, v3, v11
	s_waitcnt lgkmcnt(0)
	v_add_f32_e32 v11, v11, v14
	ds_bpermute_b32 v14, v4, v11
	s_waitcnt lgkmcnt(0)
	;; [unrolled: 3-line block ×3, first 2 shown]
	v_add_f32_e32 v16, v11, v14
	v_cvt_f32_f16_e32 v11, v8
	v_cvt_f32_f16_sdwa v14, v8 dst_sel:DWORD dst_unused:UNUSED_PAD src0_sel:WORD_1
	ds_bpermute_b32 v17, v10, v16
	s_waitcnt lgkmcnt(0)
	v_add_f32_e32 v8, v16, v17
	ds_write_b32 v12, v8
	s_waitcnt lgkmcnt(0)
	s_barrier
	buffer_gl0_inv
	s_and_saveexec_b32 s0, vcc_lo
	s_cbranch_execz .LBB156_16
; %bb.15:
	ds_read_b32 v8, v5
	s_waitcnt lgkmcnt(0)
	ds_bpermute_b32 v15, v1, v8
	s_waitcnt lgkmcnt(0)
	v_add_f32_e32 v8, v8, v15
	ds_bpermute_b32 v15, v3, v8
	s_waitcnt lgkmcnt(0)
	v_add_f32_e32 v8, v8, v15
	;; [unrolled: 3-line block ×5, first 2 shown]
.LBB156_16:
	s_or_b32 exec_lo, exec_lo, s0
	ds_bpermute_b32 v15, v1, v13
	v_add_f32_e32 v11, v11, v14
	s_waitcnt lgkmcnt(0)
	s_barrier
	buffer_gl0_inv
	v_add_f32_e32 v13, v13, v15
	ds_bpermute_b32 v15, v3, v13
	s_waitcnt lgkmcnt(0)
	v_add_f32_e32 v13, v13, v15
	ds_bpermute_b32 v15, v4, v13
	s_waitcnt lgkmcnt(0)
	;; [unrolled: 3-line block ×3, first 2 shown]
	v_add_f32_e32 v16, v13, v15
	v_cvt_f32_f16_e32 v13, v7
	v_cvt_f32_f16_sdwa v15, v7 dst_sel:DWORD dst_unused:UNUSED_PAD src0_sel:WORD_1
	ds_bpermute_b32 v17, v10, v16
	s_waitcnt lgkmcnt(0)
	v_add_f32_e32 v7, v16, v17
	ds_write_b32 v12, v7
	s_waitcnt lgkmcnt(0)
	s_barrier
	buffer_gl0_inv
	s_and_saveexec_b32 s0, vcc_lo
	s_cbranch_execz .LBB156_18
; %bb.17:
	ds_read_b32 v7, v5
	s_waitcnt lgkmcnt(0)
	ds_bpermute_b32 v14, v1, v7
	s_waitcnt lgkmcnt(0)
	v_add_f32_e32 v7, v7, v14
	ds_bpermute_b32 v14, v3, v7
	s_waitcnt lgkmcnt(0)
	v_add_f32_e32 v7, v7, v14
	;; [unrolled: 3-line block ×5, first 2 shown]
.LBB156_18:
	s_or_b32 exec_lo, exec_lo, s0
	ds_bpermute_b32 v14, v1, v11
	v_cvt_f32_f16_sdwa v16, v6 dst_sel:DWORD dst_unused:UNUSED_PAD src0_sel:WORD_1
	s_waitcnt lgkmcnt(0)
	s_barrier
	buffer_gl0_inv
	v_add_f32_e32 v11, v11, v14
	ds_bpermute_b32 v14, v3, v11
	s_waitcnt lgkmcnt(0)
	v_add_f32_e32 v11, v11, v14
	ds_bpermute_b32 v14, v4, v11
	s_waitcnt lgkmcnt(0)
	;; [unrolled: 3-line block ×3, first 2 shown]
	v_add_f32_e32 v11, v11, v14
	v_cvt_f32_f16_e32 v14, v6
	ds_bpermute_b32 v17, v10, v11
	s_waitcnt lgkmcnt(0)
	v_add_f32_e32 v6, v11, v17
	v_add_f32_e32 v11, v13, v15
	ds_write_b32 v12, v6
	s_waitcnt lgkmcnt(0)
	s_barrier
	buffer_gl0_inv
	s_and_saveexec_b32 s0, vcc_lo
	s_cbranch_execz .LBB156_20
; %bb.19:
	ds_read_b32 v6, v5
	s_waitcnt lgkmcnt(0)
	ds_bpermute_b32 v13, v1, v6
	s_waitcnt lgkmcnt(0)
	v_add_f32_e32 v6, v6, v13
	ds_bpermute_b32 v13, v3, v6
	s_waitcnt lgkmcnt(0)
	v_add_f32_e32 v6, v6, v13
	;; [unrolled: 3-line block ×5, first 2 shown]
.LBB156_20:
	s_or_b32 exec_lo, exec_lo, s0
	ds_bpermute_b32 v13, v1, v11
	s_waitcnt lgkmcnt(0)
	s_barrier
	buffer_gl0_inv
	v_add_f32_e32 v11, v11, v13
	ds_bpermute_b32 v13, v3, v11
	s_waitcnt lgkmcnt(0)
	v_add_f32_e32 v11, v11, v13
	ds_bpermute_b32 v13, v4, v11
	s_waitcnt lgkmcnt(0)
	;; [unrolled: 3-line block ×4, first 2 shown]
	v_add_f32_e32 v11, v11, v13
	v_add_f32_e32 v13, v14, v16
	ds_write_b32 v12, v11
	s_waitcnt lgkmcnt(0)
	s_barrier
	buffer_gl0_inv
	s_and_saveexec_b32 s0, vcc_lo
	s_cbranch_execz .LBB156_22
; %bb.21:
	ds_read_b32 v11, v5
	s_waitcnt lgkmcnt(0)
	ds_bpermute_b32 v14, v1, v11
	s_waitcnt lgkmcnt(0)
	v_add_f32_e32 v11, v11, v14
	ds_bpermute_b32 v14, v3, v11
	s_waitcnt lgkmcnt(0)
	v_add_f32_e32 v11, v11, v14
	ds_bpermute_b32 v14, v4, v11
	s_waitcnt lgkmcnt(0)
	v_add_f32_e32 v11, v11, v14
	ds_bpermute_b32 v14, v9, v11
	s_waitcnt lgkmcnt(0)
	v_add_f32_e32 v11, v11, v14
	ds_bpermute_b32 v14, v10, v11
	s_waitcnt lgkmcnt(0)
	v_add_f32_e32 v11, v11, v14
.LBB156_22:
	s_or_b32 exec_lo, exec_lo, s0
	ds_bpermute_b32 v14, v1, v13
	s_waitcnt lgkmcnt(0)
	s_barrier
	buffer_gl0_inv
	v_add_f32_e32 v13, v13, v14
	ds_bpermute_b32 v14, v3, v13
	s_waitcnt lgkmcnt(0)
	v_add_f32_e32 v13, v13, v14
	ds_bpermute_b32 v14, v4, v13
	s_waitcnt lgkmcnt(0)
	;; [unrolled: 3-line block ×4, first 2 shown]
	v_add_f32_e32 v13, v13, v14
	ds_write_b32 v12, v13
	s_waitcnt lgkmcnt(0)
	s_barrier
	buffer_gl0_inv
	s_and_saveexec_b32 s0, vcc_lo
	s_cbranch_execz .LBB156_24
; %bb.23:
	ds_read_b32 v5, v5
	s_waitcnt lgkmcnt(0)
	ds_bpermute_b32 v1, v1, v5
	s_waitcnt lgkmcnt(0)
	v_add_f32_e32 v1, v5, v1
	ds_bpermute_b32 v3, v3, v1
	s_waitcnt lgkmcnt(0)
	v_add_f32_e32 v1, v1, v3
	;; [unrolled: 3-line block ×5, first 2 shown]
.LBB156_24:
	s_or_b32 exec_lo, exec_lo, s0
	s_barrier
	buffer_gl0_inv
	s_mov_b32 s0, exec_lo
	v_cmpx_gt_u32_e32 6, v0
	s_cbranch_execz .LBB156_26
; %bb.25:
	s_load_dwordx2 s[0:1], s[4:5], 0x38
	v_cmp_eq_u32_e32 vcc_lo, 1, v0
	s_mul_hi_i32 s3, s22, s10
	s_mul_i32 s2, s22, s10
	s_mul_i32 s4, s26, s7
	s_lshl_b64 s[2:3], s[2:3], 2
	v_cndmask_b32_e32 v3, v2, v8, vcc_lo
	v_cmp_eq_u32_e32 vcc_lo, 2, v0
	v_mad_u64_u32 v[1:2], null, s18, v0, s[6:7]
	s_ashr_i32 s5, s4, 31
	v_cndmask_b32_e32 v3, v3, v7, vcc_lo
	v_cmp_eq_u32_e32 vcc_lo, 3, v0
	v_ashrrev_i32_e32 v2, 31, v1
	v_cndmask_b32_e32 v3, v3, v6, vcc_lo
	v_cmp_eq_u32_e32 vcc_lo, 4, v0
	s_waitcnt lgkmcnt(0)
	s_add_u32 s2, s0, s2
	v_lshlrev_b64 v[1:2], 2, v[1:2]
	s_addc_u32 s3, s1, s3
	s_lshl_b64 s[0:1], s[4:5], 2
	v_cndmask_b32_e32 v3, v3, v11, vcc_lo
	v_cmp_eq_u32_e32 vcc_lo, 5, v0
	s_add_u32 s0, s2, s0
	s_addc_u32 s1, s3, s1
	v_cndmask_b32_e32 v3, v3, v13, vcc_lo
	v_add_co_u32 v0, vcc_lo, s0, v1
	v_add_co_ci_u32_e64 v1, null, s1, v2, vcc_lo
	global_store_dword v[0:1], v3, off
.LBB156_26:
	s_endpgm
	.section	.rodata,"a",@progbits
	.p2align	6, 0x0
	.amdhsa_kernel _ZL13mul_mat_vec_fI6__halfS0_Li6ELi160ELb0ELb0EEvPKT_PKfPKi31ggml_cuda_mm_fusion_args_devicePfi15HIP_vector_typeIjLj3EEiiiSB_iiiSB_iiii
		.amdhsa_group_segment_fixed_size 0
		.amdhsa_private_segment_fixed_size 0
		.amdhsa_kernarg_size 144
		.amdhsa_user_sgpr_count 6
		.amdhsa_user_sgpr_private_segment_buffer 1
		.amdhsa_user_sgpr_dispatch_ptr 0
		.amdhsa_user_sgpr_queue_ptr 0
		.amdhsa_user_sgpr_kernarg_segment_ptr 1
		.amdhsa_user_sgpr_dispatch_id 0
		.amdhsa_user_sgpr_flat_scratch_init 0
		.amdhsa_user_sgpr_private_segment_size 0
		.amdhsa_wavefront_size32 1
		.amdhsa_uses_dynamic_stack 0
		.amdhsa_system_sgpr_private_segment_wavefront_offset 0
		.amdhsa_system_sgpr_workgroup_id_x 1
		.amdhsa_system_sgpr_workgroup_id_y 1
		.amdhsa_system_sgpr_workgroup_id_z 1
		.amdhsa_system_sgpr_workgroup_info 0
		.amdhsa_system_vgpr_workitem_id 0
		.amdhsa_next_free_vgpr 26
		.amdhsa_next_free_sgpr 36
		.amdhsa_reserve_vcc 1
		.amdhsa_reserve_flat_scratch 0
		.amdhsa_float_round_mode_32 0
		.amdhsa_float_round_mode_16_64 0
		.amdhsa_float_denorm_mode_32 3
		.amdhsa_float_denorm_mode_16_64 3
		.amdhsa_dx10_clamp 1
		.amdhsa_ieee_mode 1
		.amdhsa_fp16_overflow 0
		.amdhsa_workgroup_processor_mode 1
		.amdhsa_memory_ordered 1
		.amdhsa_forward_progress 1
		.amdhsa_shared_vgpr_count 0
		.amdhsa_exception_fp_ieee_invalid_op 0
		.amdhsa_exception_fp_denorm_src 0
		.amdhsa_exception_fp_ieee_div_zero 0
		.amdhsa_exception_fp_ieee_overflow 0
		.amdhsa_exception_fp_ieee_underflow 0
		.amdhsa_exception_fp_ieee_inexact 0
		.amdhsa_exception_int_div_zero 0
	.end_amdhsa_kernel
	.section	.text._ZL13mul_mat_vec_fI6__halfS0_Li6ELi160ELb0ELb0EEvPKT_PKfPKi31ggml_cuda_mm_fusion_args_devicePfi15HIP_vector_typeIjLj3EEiiiSB_iiiSB_iiii,"axG",@progbits,_ZL13mul_mat_vec_fI6__halfS0_Li6ELi160ELb0ELb0EEvPKT_PKfPKi31ggml_cuda_mm_fusion_args_devicePfi15HIP_vector_typeIjLj3EEiiiSB_iiiSB_iiii,comdat
.Lfunc_end156:
	.size	_ZL13mul_mat_vec_fI6__halfS0_Li6ELi160ELb0ELb0EEvPKT_PKfPKi31ggml_cuda_mm_fusion_args_devicePfi15HIP_vector_typeIjLj3EEiiiSB_iiiSB_iiii, .Lfunc_end156-_ZL13mul_mat_vec_fI6__halfS0_Li6ELi160ELb0ELb0EEvPKT_PKfPKi31ggml_cuda_mm_fusion_args_devicePfi15HIP_vector_typeIjLj3EEiiiSB_iiiSB_iiii
                                        ; -- End function
	.set _ZL13mul_mat_vec_fI6__halfS0_Li6ELi160ELb0ELb0EEvPKT_PKfPKi31ggml_cuda_mm_fusion_args_devicePfi15HIP_vector_typeIjLj3EEiiiSB_iiiSB_iiii.num_vgpr, 26
	.set _ZL13mul_mat_vec_fI6__halfS0_Li6ELi160ELb0ELb0EEvPKT_PKfPKi31ggml_cuda_mm_fusion_args_devicePfi15HIP_vector_typeIjLj3EEiiiSB_iiiSB_iiii.num_agpr, 0
	.set _ZL13mul_mat_vec_fI6__halfS0_Li6ELi160ELb0ELb0EEvPKT_PKfPKi31ggml_cuda_mm_fusion_args_devicePfi15HIP_vector_typeIjLj3EEiiiSB_iiiSB_iiii.numbered_sgpr, 36
	.set _ZL13mul_mat_vec_fI6__halfS0_Li6ELi160ELb0ELb0EEvPKT_PKfPKi31ggml_cuda_mm_fusion_args_devicePfi15HIP_vector_typeIjLj3EEiiiSB_iiiSB_iiii.num_named_barrier, 0
	.set _ZL13mul_mat_vec_fI6__halfS0_Li6ELi160ELb0ELb0EEvPKT_PKfPKi31ggml_cuda_mm_fusion_args_devicePfi15HIP_vector_typeIjLj3EEiiiSB_iiiSB_iiii.private_seg_size, 0
	.set _ZL13mul_mat_vec_fI6__halfS0_Li6ELi160ELb0ELb0EEvPKT_PKfPKi31ggml_cuda_mm_fusion_args_devicePfi15HIP_vector_typeIjLj3EEiiiSB_iiiSB_iiii.uses_vcc, 1
	.set _ZL13mul_mat_vec_fI6__halfS0_Li6ELi160ELb0ELb0EEvPKT_PKfPKi31ggml_cuda_mm_fusion_args_devicePfi15HIP_vector_typeIjLj3EEiiiSB_iiiSB_iiii.uses_flat_scratch, 0
	.set _ZL13mul_mat_vec_fI6__halfS0_Li6ELi160ELb0ELb0EEvPKT_PKfPKi31ggml_cuda_mm_fusion_args_devicePfi15HIP_vector_typeIjLj3EEiiiSB_iiiSB_iiii.has_dyn_sized_stack, 0
	.set _ZL13mul_mat_vec_fI6__halfS0_Li6ELi160ELb0ELb0EEvPKT_PKfPKi31ggml_cuda_mm_fusion_args_devicePfi15HIP_vector_typeIjLj3EEiiiSB_iiiSB_iiii.has_recursion, 0
	.set _ZL13mul_mat_vec_fI6__halfS0_Li6ELi160ELb0ELb0EEvPKT_PKfPKi31ggml_cuda_mm_fusion_args_devicePfi15HIP_vector_typeIjLj3EEiiiSB_iiiSB_iiii.has_indirect_call, 0
	.section	.AMDGPU.csdata,"",@progbits
; Kernel info:
; codeLenInByte = 2668
; TotalNumSgprs: 38
; NumVgprs: 26
; ScratchSize: 0
; MemoryBound: 0
; FloatMode: 240
; IeeeMode: 1
; LDSByteSize: 0 bytes/workgroup (compile time only)
; SGPRBlocks: 0
; VGPRBlocks: 3
; NumSGPRsForWavesPerEU: 38
; NumVGPRsForWavesPerEU: 26
; Occupancy: 16
; WaveLimiterHint : 0
; COMPUTE_PGM_RSRC2:SCRATCH_EN: 0
; COMPUTE_PGM_RSRC2:USER_SGPR: 6
; COMPUTE_PGM_RSRC2:TRAP_HANDLER: 0
; COMPUTE_PGM_RSRC2:TGID_X_EN: 1
; COMPUTE_PGM_RSRC2:TGID_Y_EN: 1
; COMPUTE_PGM_RSRC2:TGID_Z_EN: 1
; COMPUTE_PGM_RSRC2:TIDIG_COMP_CNT: 0
	.section	.text._ZL13mul_mat_vec_fI6__halfS0_Li6ELi192ELb0ELb0EEvPKT_PKfPKi31ggml_cuda_mm_fusion_args_devicePfi15HIP_vector_typeIjLj3EEiiiSB_iiiSB_iiii,"axG",@progbits,_ZL13mul_mat_vec_fI6__halfS0_Li6ELi192ELb0ELb0EEvPKT_PKfPKi31ggml_cuda_mm_fusion_args_devicePfi15HIP_vector_typeIjLj3EEiiiSB_iiiSB_iiii,comdat
	.globl	_ZL13mul_mat_vec_fI6__halfS0_Li6ELi192ELb0ELb0EEvPKT_PKfPKi31ggml_cuda_mm_fusion_args_devicePfi15HIP_vector_typeIjLj3EEiiiSB_iiiSB_iiii ; -- Begin function _ZL13mul_mat_vec_fI6__halfS0_Li6ELi192ELb0ELb0EEvPKT_PKfPKi31ggml_cuda_mm_fusion_args_devicePfi15HIP_vector_typeIjLj3EEiiiSB_iiiSB_iiii
	.p2align	8
	.type	_ZL13mul_mat_vec_fI6__halfS0_Li6ELi192ELb0ELb0EEvPKT_PKfPKi31ggml_cuda_mm_fusion_args_devicePfi15HIP_vector_typeIjLj3EEiiiSB_iiiSB_iiii,@function
_ZL13mul_mat_vec_fI6__halfS0_Li6ELi192ELb0ELb0EEvPKT_PKfPKi31ggml_cuda_mm_fusion_args_devicePfi15HIP_vector_typeIjLj3EEiiiSB_iiiSB_iiii: ; @_ZL13mul_mat_vec_fI6__halfS0_Li6ELi192ELb0ELb0EEvPKT_PKfPKi31ggml_cuda_mm_fusion_args_devicePfi15HIP_vector_typeIjLj3EEiiiSB_iiiSB_iiii
; %bb.0:
	s_clause 0x2
	s_load_dwordx2 s[0:1], s[4:5], 0x10
	s_load_dwordx8 s[12:19], s[4:5], 0x40
	s_load_dwordx4 s[20:23], s[4:5], 0x80
	s_waitcnt lgkmcnt(0)
	s_cmp_eq_u64 s[0:1], 0
	s_cselect_b32 s10, -1, 0
	s_cmp_lg_u64 s[0:1], 0
	s_cselect_b32 s11, -1, 0
	s_and_b32 vcc_lo, exec_lo, s10
	s_cbranch_vccnz .LBB157_2
; %bb.1:
	s_mul_i32 s2, s23, s8
	s_mov_b32 s3, 0
	s_add_i32 s2, s2, s7
	s_lshl_b64 s[24:25], s[2:3], 2
	s_add_u32 s0, s0, s24
	s_addc_u32 s1, s1, s25
	s_load_dword s9, s[0:1], 0x0
	s_cbranch_execz .LBB157_3
	s_branch .LBB157_4
.LBB157_2:
                                        ; implicit-def: $sgpr9
.LBB157_3:
	s_load_dwordx2 s[0:1], s[4:5], 0x5c
	s_waitcnt lgkmcnt(0)
	s_mul_hi_u32 s0, s0, s7
	s_add_i32 s0, s7, s0
	s_lshr_b32 s9, s0, s1
.LBB157_4:
	s_load_dwordx4 s[24:27], s[4:5], 0x68
	s_andn2_b32 vcc_lo, exec_lo, s11
	s_mov_b32 s19, s7
	s_cbranch_vccnz .LBB157_6
; %bb.5:
	s_mul_hi_u32 s0, s13, s7
	s_add_i32 s0, s7, s0
	s_lshr_b32 s0, s0, s14
	s_mul_i32 s0, s0, s15
	s_sub_i32 s19, s7, s0
.LBB157_6:
	s_load_dword s13, s[4:5], 0x78
	v_cmp_gt_u32_e32 vcc_lo, 32, v0
	v_lshl_add_u32 v5, v0, 2, 0
	s_and_saveexec_b32 s0, vcc_lo
; %bb.7:
	v_mov_b32_e32 v1, 0
	ds_write_b32 v5, v1
; %bb.8:
	s_or_b32 exec_lo, exec_lo, s0
	v_mov_b32_e32 v9, 0
	v_mov_b32_e32 v12, 0
	;; [unrolled: 1-line block ×6, first 2 shown]
	s_and_b32 s0, exec_lo, s10
	s_cselect_b32 s10, s8, 0
	s_mov_b32 s11, exec_lo
	s_waitcnt lgkmcnt(0)
	s_barrier
	buffer_gl0_inv
	v_cmpx_gt_i32_e64 s12, v0
	s_cbranch_execz .LBB157_12
; %bb.9:
	s_load_dwordx4 s[0:3], s[4:5], 0x0
	s_mul_hi_u32 s23, s27, s10
	s_mul_hi_i32 s15, s21, s10
	s_mul_i32 s14, s21, s10
	s_mul_i32 s8, s9, s24
	;; [unrolled: 1-line block ×4, first 2 shown]
	s_add_i32 s16, s10, s23
	s_lshl_b64 s[34:35], s[14:15], 2
	s_ashr_i32 s9, s8, 31
	s_ashr_i32 s25, s24, 31
	;; [unrolled: 1-line block ×3, first 2 shown]
	s_lshr_b32 s13, s16, s13
	s_mov_b32 s30, s17
	s_mul_hi_i32 s21, s13, s20
	s_mul_i32 s20, s13, s20
	v_lshlrev_b32_e32 v2, 3, v0
	v_lshlrev_b32_e32 v1, 2, v0
	v_mov_b32_e32 v6, 0
	v_mov_b32_e32 v7, 0
	s_waitcnt lgkmcnt(0)
	s_add_u32 s14, s2, s34
	s_addc_u32 s15, s3, s35
	s_lshl_b64 s[28:29], s[28:29], 2
	v_mov_b32_e32 v8, 0
	s_add_u32 s13, s14, s28
	s_addc_u32 s14, s15, s29
	s_lshl_b64 s[8:9], s[8:9], 1
	s_ashr_i32 s31, s17, 31
	s_add_i32 s15, s17, s17
	s_lshl_b32 s16, s17, 2
	s_lshl_b64 s[20:21], s[20:21], 1
	s_lshl_b64 s[24:25], s[24:25], 1
	s_add_u32 s0, s0, s8
	s_addc_u32 s1, s1, s9
	s_add_u32 s0, s0, s24
	s_addc_u32 s1, s1, s25
	;; [unrolled: 2-line block ×3, first 2 shown]
	s_lshl_b64 s[8:9], s[30:31], 3
	s_add_u32 s2, s2, s28
	s_addc_u32 s3, s3, s29
	s_add_u32 s2, s2, s34
	s_addc_u32 s3, s3, s35
	v_add_co_u32 v3, s2, s2, v2
	v_add_co_ci_u32_e64 v4, null, s3, 0, s2
	v_add_co_u32 v1, s0, s0, v1
	v_add_co_ci_u32_e64 v2, null, s1, 0, s0
	v_add_co_u32 v3, s0, v3, 4
	v_add_co_ci_u32_e64 v4, null, 0, v4, s0
	v_mov_b32_e32 v11, 0
	v_mov_b32_e32 v12, 0
	;; [unrolled: 1-line block ×4, first 2 shown]
	s_mul_i32 s1, s17, 3
	s_mul_i32 s3, s17, 5
	s_mov_b32 s2, 0
.LBB157_10:                             ; =>This Inner Loop Header: Depth=1
	v_add_nc_u32_e32 v15, s15, v10
	v_add_nc_u32_e32 v19, s1, v10
	;; [unrolled: 1-line block ×4, first 2 shown]
	v_add_co_u32 v17, s0, v3, s8
	v_ashrrev_i32_e32 v16, 31, v15
	v_ashrrev_i32_e32 v20, 31, v19
	;; [unrolled: 1-line block ×4, first 2 shown]
	global_load_dwordx2 v[13:14], v[3:4], off offset:-4
	v_lshlrev_b64 v[15:16], 3, v[15:16]
	v_lshlrev_b64 v[19:20], 3, v[19:20]
	;; [unrolled: 1-line block ×3, first 2 shown]
	v_add_co_ci_u32_e64 v18, null, s9, v4, s0
	v_lshlrev_b64 v[23:24], 3, v[23:24]
	v_add_co_u32 v15, s0, s13, v15
	v_add_co_ci_u32_e64 v16, null, s14, v16, s0
	v_add_co_u32 v19, s0, s13, v19
	v_add_co_ci_u32_e64 v20, null, s14, v20, s0
	;; [unrolled: 2-line block ×4, first 2 shown]
	global_load_dwordx2 v[17:18], v[17:18], off offset:-4
	s_clause 0x3
	global_load_dwordx2 v[15:16], v[15:16], off
	global_load_dwordx2 v[19:20], v[19:20], off
	;; [unrolled: 1-line block ×4, first 2 shown]
	global_load_dword v25, v[1:2], off
	v_add_nc_u32_e32 v10, 0xc0, v10
	v_add_co_u32 v1, s0, 0x300, v1
	v_add_co_ci_u32_e64 v2, null, 0, v2, s0
	v_add_co_u32 v3, s0, 0x600, v3
	v_add_co_ci_u32_e64 v4, null, 0, v4, s0
	v_cmp_le_i32_e64 s0, s12, v10
	s_or_b32 s2, s0, s2
	s_waitcnt vmcnt(6)
	v_cvt_f16_f32_e32 v13, v13
	v_cvt_f16_f32_e32 v14, v14
	v_pack_b32_f16 v13, v13, v14
	s_waitcnt vmcnt(5)
	v_cvt_f16_f32_e32 v14, v17
	v_cvt_f16_f32_e32 v17, v18
	s_waitcnt vmcnt(0)
	v_pk_fma_f16 v9, v25, v13, v9
	v_cvt_f16_f32_e32 v13, v15
	v_cvt_f16_f32_e32 v15, v16
	;; [unrolled: 1-line block ×8, first 2 shown]
	v_pack_b32_f16 v14, v14, v17
	v_pack_b32_f16 v13, v13, v15
	;; [unrolled: 1-line block ×5, first 2 shown]
	v_pk_fma_f16 v12, v25, v14, v12
	v_pk_fma_f16 v11, v25, v13, v11
	;; [unrolled: 1-line block ×5, first 2 shown]
	s_andn2_b32 exec_lo, exec_lo, s2
	s_cbranch_execnz .LBB157_10
; %bb.11:
	s_or_b32 exec_lo, exec_lo, s2
.LBB157_12:
	s_or_b32 exec_lo, exec_lo, s11
	v_mbcnt_lo_u32_b32 v2, -1, 0
	v_cvt_f32_f16_e32 v3, v9
	v_cvt_f32_f16_sdwa v4, v9 dst_sel:DWORD dst_unused:UNUSED_PAD src0_sel:WORD_1
	v_cvt_f32_f16_e32 v16, v12
	v_cvt_f32_f16_sdwa v17, v12 dst_sel:DWORD dst_unused:UNUSED_PAD src0_sel:WORD_1
	v_xor_b32_e32 v1, 16, v2
	v_cvt_f32_f16_sdwa v15, v11 dst_sel:DWORD dst_unused:UNUSED_PAD src0_sel:WORD_1
	v_add_f32_e32 v4, v3, v4
	v_xor_b32_e32 v3, 8, v2
	v_cmp_gt_i32_e64 s0, 32, v1
	v_cndmask_b32_e64 v1, v2, v1, s0
	v_cmp_gt_i32_e64 s0, 32, v3
	v_lshlrev_b32_e32 v1, 2, v1
	v_cndmask_b32_e64 v3, v2, v3, s0
	ds_bpermute_b32 v9, v1, v4
	v_lshlrev_b32_e32 v3, 2, v3
	s_waitcnt lgkmcnt(0)
	v_add_f32_e32 v9, v4, v9
	v_xor_b32_e32 v4, 4, v2
	ds_bpermute_b32 v10, v3, v9
	v_cmp_gt_i32_e64 s0, 32, v4
	v_cndmask_b32_e64 v4, v2, v4, s0
	v_lshlrev_b32_e32 v4, 2, v4
	s_waitcnt lgkmcnt(0)
	v_add_f32_e32 v10, v9, v10
	v_xor_b32_e32 v9, 2, v2
	ds_bpermute_b32 v13, v4, v10
	v_cmp_gt_i32_e64 s0, 32, v9
	v_cndmask_b32_e64 v9, v2, v9, s0
	;; [unrolled: 7-line block ×3, first 2 shown]
	v_lshlrev_b32_e32 v10, 2, v2
	s_waitcnt lgkmcnt(0)
	v_add_f32_e32 v2, v13, v14
	v_lshrrev_b32_e32 v14, 3, v0
	ds_bpermute_b32 v13, v10, v2
	v_and_b32_e32 v14, 0x7c, v14
	v_add_nc_u32_e32 v12, 0, v14
	s_waitcnt lgkmcnt(0)
	v_add_f32_e32 v2, v2, v13
	v_cvt_f32_f16_e32 v13, v11
	v_add_f32_e32 v11, v16, v17
	ds_write_b32 v12, v2
	s_waitcnt lgkmcnt(0)
	s_barrier
	buffer_gl0_inv
	s_and_saveexec_b32 s0, vcc_lo
	s_cbranch_execz .LBB157_14
; %bb.13:
	ds_read_b32 v2, v5
	s_waitcnt lgkmcnt(0)
	ds_bpermute_b32 v14, v1, v2
	s_waitcnt lgkmcnt(0)
	v_add_f32_e32 v2, v2, v14
	ds_bpermute_b32 v14, v3, v2
	s_waitcnt lgkmcnt(0)
	v_add_f32_e32 v2, v2, v14
	;; [unrolled: 3-line block ×5, first 2 shown]
.LBB157_14:
	s_or_b32 exec_lo, exec_lo, s0
	ds_bpermute_b32 v14, v1, v11
	v_add_f32_e32 v13, v13, v15
	s_waitcnt lgkmcnt(0)
	s_barrier
	buffer_gl0_inv
	v_add_f32_e32 v11, v11, v14
	ds_bpermute_b32 v14, v3, v11
	s_waitcnt lgkmcnt(0)
	v_add_f32_e32 v11, v11, v14
	ds_bpermute_b32 v14, v4, v11
	s_waitcnt lgkmcnt(0)
	v_add_f32_e32 v11, v11, v14
	ds_bpermute_b32 v14, v9, v11
	s_waitcnt lgkmcnt(0)
	v_add_f32_e32 v16, v11, v14
	v_cvt_f32_f16_e32 v11, v8
	v_cvt_f32_f16_sdwa v14, v8 dst_sel:DWORD dst_unused:UNUSED_PAD src0_sel:WORD_1
	ds_bpermute_b32 v17, v10, v16
	s_waitcnt lgkmcnt(0)
	v_add_f32_e32 v8, v16, v17
	ds_write_b32 v12, v8
	s_waitcnt lgkmcnt(0)
	s_barrier
	buffer_gl0_inv
	s_and_saveexec_b32 s0, vcc_lo
	s_cbranch_execz .LBB157_16
; %bb.15:
	ds_read_b32 v8, v5
	s_waitcnt lgkmcnt(0)
	ds_bpermute_b32 v15, v1, v8
	s_waitcnt lgkmcnt(0)
	v_add_f32_e32 v8, v8, v15
	ds_bpermute_b32 v15, v3, v8
	s_waitcnt lgkmcnt(0)
	v_add_f32_e32 v8, v8, v15
	;; [unrolled: 3-line block ×5, first 2 shown]
.LBB157_16:
	s_or_b32 exec_lo, exec_lo, s0
	ds_bpermute_b32 v15, v1, v13
	v_add_f32_e32 v11, v11, v14
	s_waitcnt lgkmcnt(0)
	s_barrier
	buffer_gl0_inv
	v_add_f32_e32 v13, v13, v15
	ds_bpermute_b32 v15, v3, v13
	s_waitcnt lgkmcnt(0)
	v_add_f32_e32 v13, v13, v15
	ds_bpermute_b32 v15, v4, v13
	s_waitcnt lgkmcnt(0)
	;; [unrolled: 3-line block ×3, first 2 shown]
	v_add_f32_e32 v16, v13, v15
	v_cvt_f32_f16_e32 v13, v7
	v_cvt_f32_f16_sdwa v15, v7 dst_sel:DWORD dst_unused:UNUSED_PAD src0_sel:WORD_1
	ds_bpermute_b32 v17, v10, v16
	s_waitcnt lgkmcnt(0)
	v_add_f32_e32 v7, v16, v17
	ds_write_b32 v12, v7
	s_waitcnt lgkmcnt(0)
	s_barrier
	buffer_gl0_inv
	s_and_saveexec_b32 s0, vcc_lo
	s_cbranch_execz .LBB157_18
; %bb.17:
	ds_read_b32 v7, v5
	s_waitcnt lgkmcnt(0)
	ds_bpermute_b32 v14, v1, v7
	s_waitcnt lgkmcnt(0)
	v_add_f32_e32 v7, v7, v14
	ds_bpermute_b32 v14, v3, v7
	s_waitcnt lgkmcnt(0)
	v_add_f32_e32 v7, v7, v14
	;; [unrolled: 3-line block ×5, first 2 shown]
.LBB157_18:
	s_or_b32 exec_lo, exec_lo, s0
	ds_bpermute_b32 v14, v1, v11
	v_cvt_f32_f16_sdwa v16, v6 dst_sel:DWORD dst_unused:UNUSED_PAD src0_sel:WORD_1
	s_waitcnt lgkmcnt(0)
	s_barrier
	buffer_gl0_inv
	v_add_f32_e32 v11, v11, v14
	ds_bpermute_b32 v14, v3, v11
	s_waitcnt lgkmcnt(0)
	v_add_f32_e32 v11, v11, v14
	ds_bpermute_b32 v14, v4, v11
	s_waitcnt lgkmcnt(0)
	;; [unrolled: 3-line block ×3, first 2 shown]
	v_add_f32_e32 v11, v11, v14
	v_cvt_f32_f16_e32 v14, v6
	ds_bpermute_b32 v17, v10, v11
	s_waitcnt lgkmcnt(0)
	v_add_f32_e32 v6, v11, v17
	v_add_f32_e32 v11, v13, v15
	ds_write_b32 v12, v6
	s_waitcnt lgkmcnt(0)
	s_barrier
	buffer_gl0_inv
	s_and_saveexec_b32 s0, vcc_lo
	s_cbranch_execz .LBB157_20
; %bb.19:
	ds_read_b32 v6, v5
	s_waitcnt lgkmcnt(0)
	ds_bpermute_b32 v13, v1, v6
	s_waitcnt lgkmcnt(0)
	v_add_f32_e32 v6, v6, v13
	ds_bpermute_b32 v13, v3, v6
	s_waitcnt lgkmcnt(0)
	v_add_f32_e32 v6, v6, v13
	;; [unrolled: 3-line block ×5, first 2 shown]
.LBB157_20:
	s_or_b32 exec_lo, exec_lo, s0
	ds_bpermute_b32 v13, v1, v11
	s_waitcnt lgkmcnt(0)
	s_barrier
	buffer_gl0_inv
	v_add_f32_e32 v11, v11, v13
	ds_bpermute_b32 v13, v3, v11
	s_waitcnt lgkmcnt(0)
	v_add_f32_e32 v11, v11, v13
	ds_bpermute_b32 v13, v4, v11
	s_waitcnt lgkmcnt(0)
	;; [unrolled: 3-line block ×4, first 2 shown]
	v_add_f32_e32 v11, v11, v13
	v_add_f32_e32 v13, v14, v16
	ds_write_b32 v12, v11
	s_waitcnt lgkmcnt(0)
	s_barrier
	buffer_gl0_inv
	s_and_saveexec_b32 s0, vcc_lo
	s_cbranch_execz .LBB157_22
; %bb.21:
	ds_read_b32 v11, v5
	s_waitcnt lgkmcnt(0)
	ds_bpermute_b32 v14, v1, v11
	s_waitcnt lgkmcnt(0)
	v_add_f32_e32 v11, v11, v14
	ds_bpermute_b32 v14, v3, v11
	s_waitcnt lgkmcnt(0)
	v_add_f32_e32 v11, v11, v14
	;; [unrolled: 3-line block ×5, first 2 shown]
.LBB157_22:
	s_or_b32 exec_lo, exec_lo, s0
	ds_bpermute_b32 v14, v1, v13
	s_waitcnt lgkmcnt(0)
	s_barrier
	buffer_gl0_inv
	v_add_f32_e32 v13, v13, v14
	ds_bpermute_b32 v14, v3, v13
	s_waitcnt lgkmcnt(0)
	v_add_f32_e32 v13, v13, v14
	ds_bpermute_b32 v14, v4, v13
	s_waitcnt lgkmcnt(0)
	;; [unrolled: 3-line block ×4, first 2 shown]
	v_add_f32_e32 v13, v13, v14
	ds_write_b32 v12, v13
	s_waitcnt lgkmcnt(0)
	s_barrier
	buffer_gl0_inv
	s_and_saveexec_b32 s0, vcc_lo
	s_cbranch_execz .LBB157_24
; %bb.23:
	ds_read_b32 v5, v5
	s_waitcnt lgkmcnt(0)
	ds_bpermute_b32 v1, v1, v5
	s_waitcnt lgkmcnt(0)
	v_add_f32_e32 v1, v5, v1
	ds_bpermute_b32 v3, v3, v1
	s_waitcnt lgkmcnt(0)
	v_add_f32_e32 v1, v1, v3
	;; [unrolled: 3-line block ×5, first 2 shown]
.LBB157_24:
	s_or_b32 exec_lo, exec_lo, s0
	s_barrier
	buffer_gl0_inv
	s_mov_b32 s0, exec_lo
	v_cmpx_gt_u32_e32 6, v0
	s_cbranch_execz .LBB157_26
; %bb.25:
	s_load_dwordx2 s[0:1], s[4:5], 0x38
	v_cmp_eq_u32_e32 vcc_lo, 1, v0
	s_mul_hi_i32 s3, s22, s10
	s_mul_i32 s2, s22, s10
	s_mul_i32 s4, s26, s7
	s_lshl_b64 s[2:3], s[2:3], 2
	v_cndmask_b32_e32 v3, v2, v8, vcc_lo
	v_cmp_eq_u32_e32 vcc_lo, 2, v0
	v_mad_u64_u32 v[1:2], null, s18, v0, s[6:7]
	s_ashr_i32 s5, s4, 31
	v_cndmask_b32_e32 v3, v3, v7, vcc_lo
	v_cmp_eq_u32_e32 vcc_lo, 3, v0
	v_ashrrev_i32_e32 v2, 31, v1
	v_cndmask_b32_e32 v3, v3, v6, vcc_lo
	v_cmp_eq_u32_e32 vcc_lo, 4, v0
	s_waitcnt lgkmcnt(0)
	s_add_u32 s2, s0, s2
	v_lshlrev_b64 v[1:2], 2, v[1:2]
	s_addc_u32 s3, s1, s3
	s_lshl_b64 s[0:1], s[4:5], 2
	v_cndmask_b32_e32 v3, v3, v11, vcc_lo
	v_cmp_eq_u32_e32 vcc_lo, 5, v0
	s_add_u32 s0, s2, s0
	s_addc_u32 s1, s3, s1
	v_cndmask_b32_e32 v3, v3, v13, vcc_lo
	v_add_co_u32 v0, vcc_lo, s0, v1
	v_add_co_ci_u32_e64 v1, null, s1, v2, vcc_lo
	global_store_dword v[0:1], v3, off
.LBB157_26:
	s_endpgm
	.section	.rodata,"a",@progbits
	.p2align	6, 0x0
	.amdhsa_kernel _ZL13mul_mat_vec_fI6__halfS0_Li6ELi192ELb0ELb0EEvPKT_PKfPKi31ggml_cuda_mm_fusion_args_devicePfi15HIP_vector_typeIjLj3EEiiiSB_iiiSB_iiii
		.amdhsa_group_segment_fixed_size 0
		.amdhsa_private_segment_fixed_size 0
		.amdhsa_kernarg_size 144
		.amdhsa_user_sgpr_count 6
		.amdhsa_user_sgpr_private_segment_buffer 1
		.amdhsa_user_sgpr_dispatch_ptr 0
		.amdhsa_user_sgpr_queue_ptr 0
		.amdhsa_user_sgpr_kernarg_segment_ptr 1
		.amdhsa_user_sgpr_dispatch_id 0
		.amdhsa_user_sgpr_flat_scratch_init 0
		.amdhsa_user_sgpr_private_segment_size 0
		.amdhsa_wavefront_size32 1
		.amdhsa_uses_dynamic_stack 0
		.amdhsa_system_sgpr_private_segment_wavefront_offset 0
		.amdhsa_system_sgpr_workgroup_id_x 1
		.amdhsa_system_sgpr_workgroup_id_y 1
		.amdhsa_system_sgpr_workgroup_id_z 1
		.amdhsa_system_sgpr_workgroup_info 0
		.amdhsa_system_vgpr_workitem_id 0
		.amdhsa_next_free_vgpr 26
		.amdhsa_next_free_sgpr 36
		.amdhsa_reserve_vcc 1
		.amdhsa_reserve_flat_scratch 0
		.amdhsa_float_round_mode_32 0
		.amdhsa_float_round_mode_16_64 0
		.amdhsa_float_denorm_mode_32 3
		.amdhsa_float_denorm_mode_16_64 3
		.amdhsa_dx10_clamp 1
		.amdhsa_ieee_mode 1
		.amdhsa_fp16_overflow 0
		.amdhsa_workgroup_processor_mode 1
		.amdhsa_memory_ordered 1
		.amdhsa_forward_progress 1
		.amdhsa_shared_vgpr_count 0
		.amdhsa_exception_fp_ieee_invalid_op 0
		.amdhsa_exception_fp_denorm_src 0
		.amdhsa_exception_fp_ieee_div_zero 0
		.amdhsa_exception_fp_ieee_overflow 0
		.amdhsa_exception_fp_ieee_underflow 0
		.amdhsa_exception_fp_ieee_inexact 0
		.amdhsa_exception_int_div_zero 0
	.end_amdhsa_kernel
	.section	.text._ZL13mul_mat_vec_fI6__halfS0_Li6ELi192ELb0ELb0EEvPKT_PKfPKi31ggml_cuda_mm_fusion_args_devicePfi15HIP_vector_typeIjLj3EEiiiSB_iiiSB_iiii,"axG",@progbits,_ZL13mul_mat_vec_fI6__halfS0_Li6ELi192ELb0ELb0EEvPKT_PKfPKi31ggml_cuda_mm_fusion_args_devicePfi15HIP_vector_typeIjLj3EEiiiSB_iiiSB_iiii,comdat
.Lfunc_end157:
	.size	_ZL13mul_mat_vec_fI6__halfS0_Li6ELi192ELb0ELb0EEvPKT_PKfPKi31ggml_cuda_mm_fusion_args_devicePfi15HIP_vector_typeIjLj3EEiiiSB_iiiSB_iiii, .Lfunc_end157-_ZL13mul_mat_vec_fI6__halfS0_Li6ELi192ELb0ELb0EEvPKT_PKfPKi31ggml_cuda_mm_fusion_args_devicePfi15HIP_vector_typeIjLj3EEiiiSB_iiiSB_iiii
                                        ; -- End function
	.set _ZL13mul_mat_vec_fI6__halfS0_Li6ELi192ELb0ELb0EEvPKT_PKfPKi31ggml_cuda_mm_fusion_args_devicePfi15HIP_vector_typeIjLj3EEiiiSB_iiiSB_iiii.num_vgpr, 26
	.set _ZL13mul_mat_vec_fI6__halfS0_Li6ELi192ELb0ELb0EEvPKT_PKfPKi31ggml_cuda_mm_fusion_args_devicePfi15HIP_vector_typeIjLj3EEiiiSB_iiiSB_iiii.num_agpr, 0
	.set _ZL13mul_mat_vec_fI6__halfS0_Li6ELi192ELb0ELb0EEvPKT_PKfPKi31ggml_cuda_mm_fusion_args_devicePfi15HIP_vector_typeIjLj3EEiiiSB_iiiSB_iiii.numbered_sgpr, 36
	.set _ZL13mul_mat_vec_fI6__halfS0_Li6ELi192ELb0ELb0EEvPKT_PKfPKi31ggml_cuda_mm_fusion_args_devicePfi15HIP_vector_typeIjLj3EEiiiSB_iiiSB_iiii.num_named_barrier, 0
	.set _ZL13mul_mat_vec_fI6__halfS0_Li6ELi192ELb0ELb0EEvPKT_PKfPKi31ggml_cuda_mm_fusion_args_devicePfi15HIP_vector_typeIjLj3EEiiiSB_iiiSB_iiii.private_seg_size, 0
	.set _ZL13mul_mat_vec_fI6__halfS0_Li6ELi192ELb0ELb0EEvPKT_PKfPKi31ggml_cuda_mm_fusion_args_devicePfi15HIP_vector_typeIjLj3EEiiiSB_iiiSB_iiii.uses_vcc, 1
	.set _ZL13mul_mat_vec_fI6__halfS0_Li6ELi192ELb0ELb0EEvPKT_PKfPKi31ggml_cuda_mm_fusion_args_devicePfi15HIP_vector_typeIjLj3EEiiiSB_iiiSB_iiii.uses_flat_scratch, 0
	.set _ZL13mul_mat_vec_fI6__halfS0_Li6ELi192ELb0ELb0EEvPKT_PKfPKi31ggml_cuda_mm_fusion_args_devicePfi15HIP_vector_typeIjLj3EEiiiSB_iiiSB_iiii.has_dyn_sized_stack, 0
	.set _ZL13mul_mat_vec_fI6__halfS0_Li6ELi192ELb0ELb0EEvPKT_PKfPKi31ggml_cuda_mm_fusion_args_devicePfi15HIP_vector_typeIjLj3EEiiiSB_iiiSB_iiii.has_recursion, 0
	.set _ZL13mul_mat_vec_fI6__halfS0_Li6ELi192ELb0ELb0EEvPKT_PKfPKi31ggml_cuda_mm_fusion_args_devicePfi15HIP_vector_typeIjLj3EEiiiSB_iiiSB_iiii.has_indirect_call, 0
	.section	.AMDGPU.csdata,"",@progbits
; Kernel info:
; codeLenInByte = 2668
; TotalNumSgprs: 38
; NumVgprs: 26
; ScratchSize: 0
; MemoryBound: 0
; FloatMode: 240
; IeeeMode: 1
; LDSByteSize: 0 bytes/workgroup (compile time only)
; SGPRBlocks: 0
; VGPRBlocks: 3
; NumSGPRsForWavesPerEU: 38
; NumVGPRsForWavesPerEU: 26
; Occupancy: 16
; WaveLimiterHint : 0
; COMPUTE_PGM_RSRC2:SCRATCH_EN: 0
; COMPUTE_PGM_RSRC2:USER_SGPR: 6
; COMPUTE_PGM_RSRC2:TRAP_HANDLER: 0
; COMPUTE_PGM_RSRC2:TGID_X_EN: 1
; COMPUTE_PGM_RSRC2:TGID_Y_EN: 1
; COMPUTE_PGM_RSRC2:TGID_Z_EN: 1
; COMPUTE_PGM_RSRC2:TIDIG_COMP_CNT: 0
	.section	.text._ZL13mul_mat_vec_fI6__halfS0_Li6ELi224ELb0ELb0EEvPKT_PKfPKi31ggml_cuda_mm_fusion_args_devicePfi15HIP_vector_typeIjLj3EEiiiSB_iiiSB_iiii,"axG",@progbits,_ZL13mul_mat_vec_fI6__halfS0_Li6ELi224ELb0ELb0EEvPKT_PKfPKi31ggml_cuda_mm_fusion_args_devicePfi15HIP_vector_typeIjLj3EEiiiSB_iiiSB_iiii,comdat
	.globl	_ZL13mul_mat_vec_fI6__halfS0_Li6ELi224ELb0ELb0EEvPKT_PKfPKi31ggml_cuda_mm_fusion_args_devicePfi15HIP_vector_typeIjLj3EEiiiSB_iiiSB_iiii ; -- Begin function _ZL13mul_mat_vec_fI6__halfS0_Li6ELi224ELb0ELb0EEvPKT_PKfPKi31ggml_cuda_mm_fusion_args_devicePfi15HIP_vector_typeIjLj3EEiiiSB_iiiSB_iiii
	.p2align	8
	.type	_ZL13mul_mat_vec_fI6__halfS0_Li6ELi224ELb0ELb0EEvPKT_PKfPKi31ggml_cuda_mm_fusion_args_devicePfi15HIP_vector_typeIjLj3EEiiiSB_iiiSB_iiii,@function
_ZL13mul_mat_vec_fI6__halfS0_Li6ELi224ELb0ELb0EEvPKT_PKfPKi31ggml_cuda_mm_fusion_args_devicePfi15HIP_vector_typeIjLj3EEiiiSB_iiiSB_iiii: ; @_ZL13mul_mat_vec_fI6__halfS0_Li6ELi224ELb0ELb0EEvPKT_PKfPKi31ggml_cuda_mm_fusion_args_devicePfi15HIP_vector_typeIjLj3EEiiiSB_iiiSB_iiii
; %bb.0:
	s_clause 0x2
	s_load_dwordx2 s[0:1], s[4:5], 0x10
	s_load_dwordx8 s[12:19], s[4:5], 0x40
	s_load_dwordx4 s[20:23], s[4:5], 0x80
	s_waitcnt lgkmcnt(0)
	s_cmp_eq_u64 s[0:1], 0
	s_cselect_b32 s10, -1, 0
	s_cmp_lg_u64 s[0:1], 0
	s_cselect_b32 s11, -1, 0
	s_and_b32 vcc_lo, exec_lo, s10
	s_cbranch_vccnz .LBB158_2
; %bb.1:
	s_mul_i32 s2, s23, s8
	s_mov_b32 s3, 0
	s_add_i32 s2, s2, s7
	s_lshl_b64 s[24:25], s[2:3], 2
	s_add_u32 s0, s0, s24
	s_addc_u32 s1, s1, s25
	s_load_dword s9, s[0:1], 0x0
	s_cbranch_execz .LBB158_3
	s_branch .LBB158_4
.LBB158_2:
                                        ; implicit-def: $sgpr9
.LBB158_3:
	s_load_dwordx2 s[0:1], s[4:5], 0x5c
	s_waitcnt lgkmcnt(0)
	s_mul_hi_u32 s0, s0, s7
	s_add_i32 s0, s7, s0
	s_lshr_b32 s9, s0, s1
.LBB158_4:
	s_load_dwordx4 s[24:27], s[4:5], 0x68
	s_andn2_b32 vcc_lo, exec_lo, s11
	s_mov_b32 s19, s7
	s_cbranch_vccnz .LBB158_6
; %bb.5:
	s_mul_hi_u32 s0, s13, s7
	s_add_i32 s0, s7, s0
	s_lshr_b32 s0, s0, s14
	s_mul_i32 s0, s0, s15
	s_sub_i32 s19, s7, s0
.LBB158_6:
	s_load_dword s13, s[4:5], 0x78
	v_cmp_gt_u32_e32 vcc_lo, 32, v0
	v_lshl_add_u32 v5, v0, 2, 0
	s_and_saveexec_b32 s0, vcc_lo
; %bb.7:
	v_mov_b32_e32 v1, 0
	ds_write_b32 v5, v1
; %bb.8:
	s_or_b32 exec_lo, exec_lo, s0
	v_mov_b32_e32 v9, 0
	v_mov_b32_e32 v12, 0
	;; [unrolled: 1-line block ×6, first 2 shown]
	s_and_b32 s0, exec_lo, s10
	s_cselect_b32 s10, s8, 0
	s_mov_b32 s11, exec_lo
	s_waitcnt lgkmcnt(0)
	s_barrier
	buffer_gl0_inv
	v_cmpx_gt_i32_e64 s12, v0
	s_cbranch_execz .LBB158_12
; %bb.9:
	s_load_dwordx4 s[0:3], s[4:5], 0x0
	s_mul_hi_u32 s23, s27, s10
	s_mul_hi_i32 s15, s21, s10
	s_mul_i32 s14, s21, s10
	s_mul_i32 s8, s9, s24
	;; [unrolled: 1-line block ×4, first 2 shown]
	s_add_i32 s16, s10, s23
	s_lshl_b64 s[34:35], s[14:15], 2
	s_ashr_i32 s9, s8, 31
	s_ashr_i32 s25, s24, 31
	;; [unrolled: 1-line block ×3, first 2 shown]
	s_lshr_b32 s13, s16, s13
	s_mov_b32 s30, s17
	s_mul_hi_i32 s21, s13, s20
	s_mul_i32 s20, s13, s20
	v_lshlrev_b32_e32 v2, 3, v0
	v_lshlrev_b32_e32 v1, 2, v0
	v_mov_b32_e32 v6, 0
	v_mov_b32_e32 v7, 0
	s_waitcnt lgkmcnt(0)
	s_add_u32 s14, s2, s34
	s_addc_u32 s15, s3, s35
	s_lshl_b64 s[28:29], s[28:29], 2
	v_mov_b32_e32 v8, 0
	s_add_u32 s13, s14, s28
	s_addc_u32 s14, s15, s29
	s_lshl_b64 s[8:9], s[8:9], 1
	s_ashr_i32 s31, s17, 31
	s_add_i32 s15, s17, s17
	s_lshl_b32 s16, s17, 2
	s_lshl_b64 s[20:21], s[20:21], 1
	s_lshl_b64 s[24:25], s[24:25], 1
	s_add_u32 s0, s0, s8
	s_addc_u32 s1, s1, s9
	s_add_u32 s0, s0, s24
	s_addc_u32 s1, s1, s25
	;; [unrolled: 2-line block ×3, first 2 shown]
	s_lshl_b64 s[8:9], s[30:31], 3
	s_add_u32 s2, s2, s28
	s_addc_u32 s3, s3, s29
	s_add_u32 s2, s2, s34
	s_addc_u32 s3, s3, s35
	v_add_co_u32 v3, s2, s2, v2
	v_add_co_ci_u32_e64 v4, null, s3, 0, s2
	v_add_co_u32 v1, s0, s0, v1
	v_add_co_ci_u32_e64 v2, null, s1, 0, s0
	;; [unrolled: 2-line block ×3, first 2 shown]
	v_mov_b32_e32 v11, 0
	v_mov_b32_e32 v12, 0
	;; [unrolled: 1-line block ×4, first 2 shown]
	s_mul_i32 s1, s17, 3
	s_mul_i32 s3, s17, 5
	s_mov_b32 s2, 0
.LBB158_10:                             ; =>This Inner Loop Header: Depth=1
	v_add_nc_u32_e32 v15, s15, v10
	v_add_nc_u32_e32 v19, s1, v10
	;; [unrolled: 1-line block ×4, first 2 shown]
	v_add_co_u32 v17, s0, v3, s8
	v_ashrrev_i32_e32 v16, 31, v15
	v_ashrrev_i32_e32 v20, 31, v19
	;; [unrolled: 1-line block ×4, first 2 shown]
	global_load_dwordx2 v[13:14], v[3:4], off offset:-4
	v_lshlrev_b64 v[15:16], 3, v[15:16]
	v_lshlrev_b64 v[19:20], 3, v[19:20]
	;; [unrolled: 1-line block ×3, first 2 shown]
	v_add_co_ci_u32_e64 v18, null, s9, v4, s0
	v_lshlrev_b64 v[23:24], 3, v[23:24]
	v_add_co_u32 v15, s0, s13, v15
	v_add_co_ci_u32_e64 v16, null, s14, v16, s0
	v_add_co_u32 v19, s0, s13, v19
	v_add_co_ci_u32_e64 v20, null, s14, v20, s0
	;; [unrolled: 2-line block ×4, first 2 shown]
	global_load_dwordx2 v[17:18], v[17:18], off offset:-4
	s_clause 0x3
	global_load_dwordx2 v[15:16], v[15:16], off
	global_load_dwordx2 v[19:20], v[19:20], off
	;; [unrolled: 1-line block ×4, first 2 shown]
	global_load_dword v25, v[1:2], off
	v_add_nc_u32_e32 v10, 0xe0, v10
	v_add_co_u32 v1, s0, 0x380, v1
	v_add_co_ci_u32_e64 v2, null, 0, v2, s0
	v_add_co_u32 v3, s0, 0x700, v3
	v_add_co_ci_u32_e64 v4, null, 0, v4, s0
	v_cmp_le_i32_e64 s0, s12, v10
	s_or_b32 s2, s0, s2
	s_waitcnt vmcnt(6)
	v_cvt_f16_f32_e32 v13, v13
	v_cvt_f16_f32_e32 v14, v14
	v_pack_b32_f16 v13, v13, v14
	s_waitcnt vmcnt(5)
	v_cvt_f16_f32_e32 v14, v17
	v_cvt_f16_f32_e32 v17, v18
	s_waitcnt vmcnt(0)
	v_pk_fma_f16 v9, v25, v13, v9
	v_cvt_f16_f32_e32 v13, v15
	v_cvt_f16_f32_e32 v15, v16
	;; [unrolled: 1-line block ×8, first 2 shown]
	v_pack_b32_f16 v14, v14, v17
	v_pack_b32_f16 v13, v13, v15
	;; [unrolled: 1-line block ×5, first 2 shown]
	v_pk_fma_f16 v12, v25, v14, v12
	v_pk_fma_f16 v11, v25, v13, v11
	;; [unrolled: 1-line block ×5, first 2 shown]
	s_andn2_b32 exec_lo, exec_lo, s2
	s_cbranch_execnz .LBB158_10
; %bb.11:
	s_or_b32 exec_lo, exec_lo, s2
.LBB158_12:
	s_or_b32 exec_lo, exec_lo, s11
	v_mbcnt_lo_u32_b32 v2, -1, 0
	v_cvt_f32_f16_e32 v3, v9
	v_cvt_f32_f16_sdwa v4, v9 dst_sel:DWORD dst_unused:UNUSED_PAD src0_sel:WORD_1
	v_cvt_f32_f16_e32 v16, v12
	v_cvt_f32_f16_sdwa v17, v12 dst_sel:DWORD dst_unused:UNUSED_PAD src0_sel:WORD_1
	v_xor_b32_e32 v1, 16, v2
	v_cvt_f32_f16_sdwa v15, v11 dst_sel:DWORD dst_unused:UNUSED_PAD src0_sel:WORD_1
	v_add_f32_e32 v4, v3, v4
	v_xor_b32_e32 v3, 8, v2
	v_cmp_gt_i32_e64 s0, 32, v1
	v_cndmask_b32_e64 v1, v2, v1, s0
	v_cmp_gt_i32_e64 s0, 32, v3
	v_lshlrev_b32_e32 v1, 2, v1
	v_cndmask_b32_e64 v3, v2, v3, s0
	ds_bpermute_b32 v9, v1, v4
	v_lshlrev_b32_e32 v3, 2, v3
	s_waitcnt lgkmcnt(0)
	v_add_f32_e32 v9, v4, v9
	v_xor_b32_e32 v4, 4, v2
	ds_bpermute_b32 v10, v3, v9
	v_cmp_gt_i32_e64 s0, 32, v4
	v_cndmask_b32_e64 v4, v2, v4, s0
	v_lshlrev_b32_e32 v4, 2, v4
	s_waitcnt lgkmcnt(0)
	v_add_f32_e32 v10, v9, v10
	v_xor_b32_e32 v9, 2, v2
	ds_bpermute_b32 v13, v4, v10
	v_cmp_gt_i32_e64 s0, 32, v9
	v_cndmask_b32_e64 v9, v2, v9, s0
	;; [unrolled: 7-line block ×3, first 2 shown]
	v_lshlrev_b32_e32 v10, 2, v2
	s_waitcnt lgkmcnt(0)
	v_add_f32_e32 v2, v13, v14
	v_lshrrev_b32_e32 v14, 3, v0
	ds_bpermute_b32 v13, v10, v2
	v_and_b32_e32 v14, 0x7c, v14
	v_add_nc_u32_e32 v12, 0, v14
	s_waitcnt lgkmcnt(0)
	v_add_f32_e32 v2, v2, v13
	v_cvt_f32_f16_e32 v13, v11
	v_add_f32_e32 v11, v16, v17
	ds_write_b32 v12, v2
	s_waitcnt lgkmcnt(0)
	s_barrier
	buffer_gl0_inv
	s_and_saveexec_b32 s0, vcc_lo
	s_cbranch_execz .LBB158_14
; %bb.13:
	ds_read_b32 v2, v5
	s_waitcnt lgkmcnt(0)
	ds_bpermute_b32 v14, v1, v2
	s_waitcnt lgkmcnt(0)
	v_add_f32_e32 v2, v2, v14
	ds_bpermute_b32 v14, v3, v2
	s_waitcnt lgkmcnt(0)
	v_add_f32_e32 v2, v2, v14
	ds_bpermute_b32 v14, v4, v2
	s_waitcnt lgkmcnt(0)
	v_add_f32_e32 v2, v2, v14
	ds_bpermute_b32 v14, v9, v2
	s_waitcnt lgkmcnt(0)
	v_add_f32_e32 v2, v2, v14
	ds_bpermute_b32 v14, v10, v2
	s_waitcnt lgkmcnt(0)
	v_add_f32_e32 v2, v2, v14
.LBB158_14:
	s_or_b32 exec_lo, exec_lo, s0
	ds_bpermute_b32 v14, v1, v11
	v_add_f32_e32 v13, v13, v15
	s_waitcnt lgkmcnt(0)
	s_barrier
	buffer_gl0_inv
	v_add_f32_e32 v11, v11, v14
	ds_bpermute_b32 v14, v3, v11
	s_waitcnt lgkmcnt(0)
	v_add_f32_e32 v11, v11, v14
	ds_bpermute_b32 v14, v4, v11
	s_waitcnt lgkmcnt(0)
	;; [unrolled: 3-line block ×3, first 2 shown]
	v_add_f32_e32 v16, v11, v14
	v_cvt_f32_f16_e32 v11, v8
	v_cvt_f32_f16_sdwa v14, v8 dst_sel:DWORD dst_unused:UNUSED_PAD src0_sel:WORD_1
	ds_bpermute_b32 v17, v10, v16
	s_waitcnt lgkmcnt(0)
	v_add_f32_e32 v8, v16, v17
	ds_write_b32 v12, v8
	s_waitcnt lgkmcnt(0)
	s_barrier
	buffer_gl0_inv
	s_and_saveexec_b32 s0, vcc_lo
	s_cbranch_execz .LBB158_16
; %bb.15:
	ds_read_b32 v8, v5
	s_waitcnt lgkmcnt(0)
	ds_bpermute_b32 v15, v1, v8
	s_waitcnt lgkmcnt(0)
	v_add_f32_e32 v8, v8, v15
	ds_bpermute_b32 v15, v3, v8
	s_waitcnt lgkmcnt(0)
	v_add_f32_e32 v8, v8, v15
	;; [unrolled: 3-line block ×5, first 2 shown]
.LBB158_16:
	s_or_b32 exec_lo, exec_lo, s0
	ds_bpermute_b32 v15, v1, v13
	v_add_f32_e32 v11, v11, v14
	s_waitcnt lgkmcnt(0)
	s_barrier
	buffer_gl0_inv
	v_add_f32_e32 v13, v13, v15
	ds_bpermute_b32 v15, v3, v13
	s_waitcnt lgkmcnt(0)
	v_add_f32_e32 v13, v13, v15
	ds_bpermute_b32 v15, v4, v13
	s_waitcnt lgkmcnt(0)
	;; [unrolled: 3-line block ×3, first 2 shown]
	v_add_f32_e32 v16, v13, v15
	v_cvt_f32_f16_e32 v13, v7
	v_cvt_f32_f16_sdwa v15, v7 dst_sel:DWORD dst_unused:UNUSED_PAD src0_sel:WORD_1
	ds_bpermute_b32 v17, v10, v16
	s_waitcnt lgkmcnt(0)
	v_add_f32_e32 v7, v16, v17
	ds_write_b32 v12, v7
	s_waitcnt lgkmcnt(0)
	s_barrier
	buffer_gl0_inv
	s_and_saveexec_b32 s0, vcc_lo
	s_cbranch_execz .LBB158_18
; %bb.17:
	ds_read_b32 v7, v5
	s_waitcnt lgkmcnt(0)
	ds_bpermute_b32 v14, v1, v7
	s_waitcnt lgkmcnt(0)
	v_add_f32_e32 v7, v7, v14
	ds_bpermute_b32 v14, v3, v7
	s_waitcnt lgkmcnt(0)
	v_add_f32_e32 v7, v7, v14
	;; [unrolled: 3-line block ×5, first 2 shown]
.LBB158_18:
	s_or_b32 exec_lo, exec_lo, s0
	ds_bpermute_b32 v14, v1, v11
	v_cvt_f32_f16_sdwa v16, v6 dst_sel:DWORD dst_unused:UNUSED_PAD src0_sel:WORD_1
	s_waitcnt lgkmcnt(0)
	s_barrier
	buffer_gl0_inv
	v_add_f32_e32 v11, v11, v14
	ds_bpermute_b32 v14, v3, v11
	s_waitcnt lgkmcnt(0)
	v_add_f32_e32 v11, v11, v14
	ds_bpermute_b32 v14, v4, v11
	s_waitcnt lgkmcnt(0)
	;; [unrolled: 3-line block ×3, first 2 shown]
	v_add_f32_e32 v11, v11, v14
	v_cvt_f32_f16_e32 v14, v6
	ds_bpermute_b32 v17, v10, v11
	s_waitcnt lgkmcnt(0)
	v_add_f32_e32 v6, v11, v17
	v_add_f32_e32 v11, v13, v15
	ds_write_b32 v12, v6
	s_waitcnt lgkmcnt(0)
	s_barrier
	buffer_gl0_inv
	s_and_saveexec_b32 s0, vcc_lo
	s_cbranch_execz .LBB158_20
; %bb.19:
	ds_read_b32 v6, v5
	s_waitcnt lgkmcnt(0)
	ds_bpermute_b32 v13, v1, v6
	s_waitcnt lgkmcnt(0)
	v_add_f32_e32 v6, v6, v13
	ds_bpermute_b32 v13, v3, v6
	s_waitcnt lgkmcnt(0)
	v_add_f32_e32 v6, v6, v13
	;; [unrolled: 3-line block ×5, first 2 shown]
.LBB158_20:
	s_or_b32 exec_lo, exec_lo, s0
	ds_bpermute_b32 v13, v1, v11
	s_waitcnt lgkmcnt(0)
	s_barrier
	buffer_gl0_inv
	v_add_f32_e32 v11, v11, v13
	ds_bpermute_b32 v13, v3, v11
	s_waitcnt lgkmcnt(0)
	v_add_f32_e32 v11, v11, v13
	ds_bpermute_b32 v13, v4, v11
	s_waitcnt lgkmcnt(0)
	;; [unrolled: 3-line block ×4, first 2 shown]
	v_add_f32_e32 v11, v11, v13
	v_add_f32_e32 v13, v14, v16
	ds_write_b32 v12, v11
	s_waitcnt lgkmcnt(0)
	s_barrier
	buffer_gl0_inv
	s_and_saveexec_b32 s0, vcc_lo
	s_cbranch_execz .LBB158_22
; %bb.21:
	ds_read_b32 v11, v5
	s_waitcnt lgkmcnt(0)
	ds_bpermute_b32 v14, v1, v11
	s_waitcnt lgkmcnt(0)
	v_add_f32_e32 v11, v11, v14
	ds_bpermute_b32 v14, v3, v11
	s_waitcnt lgkmcnt(0)
	v_add_f32_e32 v11, v11, v14
	;; [unrolled: 3-line block ×5, first 2 shown]
.LBB158_22:
	s_or_b32 exec_lo, exec_lo, s0
	ds_bpermute_b32 v14, v1, v13
	s_waitcnt lgkmcnt(0)
	s_barrier
	buffer_gl0_inv
	v_add_f32_e32 v13, v13, v14
	ds_bpermute_b32 v14, v3, v13
	s_waitcnt lgkmcnt(0)
	v_add_f32_e32 v13, v13, v14
	ds_bpermute_b32 v14, v4, v13
	s_waitcnt lgkmcnt(0)
	;; [unrolled: 3-line block ×4, first 2 shown]
	v_add_f32_e32 v13, v13, v14
	ds_write_b32 v12, v13
	s_waitcnt lgkmcnt(0)
	s_barrier
	buffer_gl0_inv
	s_and_saveexec_b32 s0, vcc_lo
	s_cbranch_execz .LBB158_24
; %bb.23:
	ds_read_b32 v5, v5
	s_waitcnt lgkmcnt(0)
	ds_bpermute_b32 v1, v1, v5
	s_waitcnt lgkmcnt(0)
	v_add_f32_e32 v1, v5, v1
	ds_bpermute_b32 v3, v3, v1
	s_waitcnt lgkmcnt(0)
	v_add_f32_e32 v1, v1, v3
	ds_bpermute_b32 v3, v4, v1
	s_waitcnt lgkmcnt(0)
	v_add_f32_e32 v1, v1, v3
	ds_bpermute_b32 v3, v9, v1
	s_waitcnt lgkmcnt(0)
	v_add_f32_e32 v1, v1, v3
	ds_bpermute_b32 v3, v10, v1
	s_waitcnt lgkmcnt(0)
	v_add_f32_e32 v13, v1, v3
.LBB158_24:
	s_or_b32 exec_lo, exec_lo, s0
	s_barrier
	buffer_gl0_inv
	s_mov_b32 s0, exec_lo
	v_cmpx_gt_u32_e32 6, v0
	s_cbranch_execz .LBB158_26
; %bb.25:
	s_load_dwordx2 s[0:1], s[4:5], 0x38
	v_cmp_eq_u32_e32 vcc_lo, 1, v0
	s_mul_hi_i32 s3, s22, s10
	s_mul_i32 s2, s22, s10
	s_mul_i32 s4, s26, s7
	s_lshl_b64 s[2:3], s[2:3], 2
	v_cndmask_b32_e32 v3, v2, v8, vcc_lo
	v_cmp_eq_u32_e32 vcc_lo, 2, v0
	v_mad_u64_u32 v[1:2], null, s18, v0, s[6:7]
	s_ashr_i32 s5, s4, 31
	v_cndmask_b32_e32 v3, v3, v7, vcc_lo
	v_cmp_eq_u32_e32 vcc_lo, 3, v0
	v_ashrrev_i32_e32 v2, 31, v1
	v_cndmask_b32_e32 v3, v3, v6, vcc_lo
	v_cmp_eq_u32_e32 vcc_lo, 4, v0
	s_waitcnt lgkmcnt(0)
	s_add_u32 s2, s0, s2
	v_lshlrev_b64 v[1:2], 2, v[1:2]
	s_addc_u32 s3, s1, s3
	s_lshl_b64 s[0:1], s[4:5], 2
	v_cndmask_b32_e32 v3, v3, v11, vcc_lo
	v_cmp_eq_u32_e32 vcc_lo, 5, v0
	s_add_u32 s0, s2, s0
	s_addc_u32 s1, s3, s1
	v_cndmask_b32_e32 v3, v3, v13, vcc_lo
	v_add_co_u32 v0, vcc_lo, s0, v1
	v_add_co_ci_u32_e64 v1, null, s1, v2, vcc_lo
	global_store_dword v[0:1], v3, off
.LBB158_26:
	s_endpgm
	.section	.rodata,"a",@progbits
	.p2align	6, 0x0
	.amdhsa_kernel _ZL13mul_mat_vec_fI6__halfS0_Li6ELi224ELb0ELb0EEvPKT_PKfPKi31ggml_cuda_mm_fusion_args_devicePfi15HIP_vector_typeIjLj3EEiiiSB_iiiSB_iiii
		.amdhsa_group_segment_fixed_size 0
		.amdhsa_private_segment_fixed_size 0
		.amdhsa_kernarg_size 144
		.amdhsa_user_sgpr_count 6
		.amdhsa_user_sgpr_private_segment_buffer 1
		.amdhsa_user_sgpr_dispatch_ptr 0
		.amdhsa_user_sgpr_queue_ptr 0
		.amdhsa_user_sgpr_kernarg_segment_ptr 1
		.amdhsa_user_sgpr_dispatch_id 0
		.amdhsa_user_sgpr_flat_scratch_init 0
		.amdhsa_user_sgpr_private_segment_size 0
		.amdhsa_wavefront_size32 1
		.amdhsa_uses_dynamic_stack 0
		.amdhsa_system_sgpr_private_segment_wavefront_offset 0
		.amdhsa_system_sgpr_workgroup_id_x 1
		.amdhsa_system_sgpr_workgroup_id_y 1
		.amdhsa_system_sgpr_workgroup_id_z 1
		.amdhsa_system_sgpr_workgroup_info 0
		.amdhsa_system_vgpr_workitem_id 0
		.amdhsa_next_free_vgpr 26
		.amdhsa_next_free_sgpr 36
		.amdhsa_reserve_vcc 1
		.amdhsa_reserve_flat_scratch 0
		.amdhsa_float_round_mode_32 0
		.amdhsa_float_round_mode_16_64 0
		.amdhsa_float_denorm_mode_32 3
		.amdhsa_float_denorm_mode_16_64 3
		.amdhsa_dx10_clamp 1
		.amdhsa_ieee_mode 1
		.amdhsa_fp16_overflow 0
		.amdhsa_workgroup_processor_mode 1
		.amdhsa_memory_ordered 1
		.amdhsa_forward_progress 1
		.amdhsa_shared_vgpr_count 0
		.amdhsa_exception_fp_ieee_invalid_op 0
		.amdhsa_exception_fp_denorm_src 0
		.amdhsa_exception_fp_ieee_div_zero 0
		.amdhsa_exception_fp_ieee_overflow 0
		.amdhsa_exception_fp_ieee_underflow 0
		.amdhsa_exception_fp_ieee_inexact 0
		.amdhsa_exception_int_div_zero 0
	.end_amdhsa_kernel
	.section	.text._ZL13mul_mat_vec_fI6__halfS0_Li6ELi224ELb0ELb0EEvPKT_PKfPKi31ggml_cuda_mm_fusion_args_devicePfi15HIP_vector_typeIjLj3EEiiiSB_iiiSB_iiii,"axG",@progbits,_ZL13mul_mat_vec_fI6__halfS0_Li6ELi224ELb0ELb0EEvPKT_PKfPKi31ggml_cuda_mm_fusion_args_devicePfi15HIP_vector_typeIjLj3EEiiiSB_iiiSB_iiii,comdat
.Lfunc_end158:
	.size	_ZL13mul_mat_vec_fI6__halfS0_Li6ELi224ELb0ELb0EEvPKT_PKfPKi31ggml_cuda_mm_fusion_args_devicePfi15HIP_vector_typeIjLj3EEiiiSB_iiiSB_iiii, .Lfunc_end158-_ZL13mul_mat_vec_fI6__halfS0_Li6ELi224ELb0ELb0EEvPKT_PKfPKi31ggml_cuda_mm_fusion_args_devicePfi15HIP_vector_typeIjLj3EEiiiSB_iiiSB_iiii
                                        ; -- End function
	.set _ZL13mul_mat_vec_fI6__halfS0_Li6ELi224ELb0ELb0EEvPKT_PKfPKi31ggml_cuda_mm_fusion_args_devicePfi15HIP_vector_typeIjLj3EEiiiSB_iiiSB_iiii.num_vgpr, 26
	.set _ZL13mul_mat_vec_fI6__halfS0_Li6ELi224ELb0ELb0EEvPKT_PKfPKi31ggml_cuda_mm_fusion_args_devicePfi15HIP_vector_typeIjLj3EEiiiSB_iiiSB_iiii.num_agpr, 0
	.set _ZL13mul_mat_vec_fI6__halfS0_Li6ELi224ELb0ELb0EEvPKT_PKfPKi31ggml_cuda_mm_fusion_args_devicePfi15HIP_vector_typeIjLj3EEiiiSB_iiiSB_iiii.numbered_sgpr, 36
	.set _ZL13mul_mat_vec_fI6__halfS0_Li6ELi224ELb0ELb0EEvPKT_PKfPKi31ggml_cuda_mm_fusion_args_devicePfi15HIP_vector_typeIjLj3EEiiiSB_iiiSB_iiii.num_named_barrier, 0
	.set _ZL13mul_mat_vec_fI6__halfS0_Li6ELi224ELb0ELb0EEvPKT_PKfPKi31ggml_cuda_mm_fusion_args_devicePfi15HIP_vector_typeIjLj3EEiiiSB_iiiSB_iiii.private_seg_size, 0
	.set _ZL13mul_mat_vec_fI6__halfS0_Li6ELi224ELb0ELb0EEvPKT_PKfPKi31ggml_cuda_mm_fusion_args_devicePfi15HIP_vector_typeIjLj3EEiiiSB_iiiSB_iiii.uses_vcc, 1
	.set _ZL13mul_mat_vec_fI6__halfS0_Li6ELi224ELb0ELb0EEvPKT_PKfPKi31ggml_cuda_mm_fusion_args_devicePfi15HIP_vector_typeIjLj3EEiiiSB_iiiSB_iiii.uses_flat_scratch, 0
	.set _ZL13mul_mat_vec_fI6__halfS0_Li6ELi224ELb0ELb0EEvPKT_PKfPKi31ggml_cuda_mm_fusion_args_devicePfi15HIP_vector_typeIjLj3EEiiiSB_iiiSB_iiii.has_dyn_sized_stack, 0
	.set _ZL13mul_mat_vec_fI6__halfS0_Li6ELi224ELb0ELb0EEvPKT_PKfPKi31ggml_cuda_mm_fusion_args_devicePfi15HIP_vector_typeIjLj3EEiiiSB_iiiSB_iiii.has_recursion, 0
	.set _ZL13mul_mat_vec_fI6__halfS0_Li6ELi224ELb0ELb0EEvPKT_PKfPKi31ggml_cuda_mm_fusion_args_devicePfi15HIP_vector_typeIjLj3EEiiiSB_iiiSB_iiii.has_indirect_call, 0
	.section	.AMDGPU.csdata,"",@progbits
; Kernel info:
; codeLenInByte = 2668
; TotalNumSgprs: 38
; NumVgprs: 26
; ScratchSize: 0
; MemoryBound: 0
; FloatMode: 240
; IeeeMode: 1
; LDSByteSize: 0 bytes/workgroup (compile time only)
; SGPRBlocks: 0
; VGPRBlocks: 3
; NumSGPRsForWavesPerEU: 38
; NumVGPRsForWavesPerEU: 26
; Occupancy: 16
; WaveLimiterHint : 0
; COMPUTE_PGM_RSRC2:SCRATCH_EN: 0
; COMPUTE_PGM_RSRC2:USER_SGPR: 6
; COMPUTE_PGM_RSRC2:TRAP_HANDLER: 0
; COMPUTE_PGM_RSRC2:TGID_X_EN: 1
; COMPUTE_PGM_RSRC2:TGID_Y_EN: 1
; COMPUTE_PGM_RSRC2:TGID_Z_EN: 1
; COMPUTE_PGM_RSRC2:TIDIG_COMP_CNT: 0
	.section	.text._ZL13mul_mat_vec_fI6__halfS0_Li6ELi256ELb0ELb0EEvPKT_PKfPKi31ggml_cuda_mm_fusion_args_devicePfi15HIP_vector_typeIjLj3EEiiiSB_iiiSB_iiii,"axG",@progbits,_ZL13mul_mat_vec_fI6__halfS0_Li6ELi256ELb0ELb0EEvPKT_PKfPKi31ggml_cuda_mm_fusion_args_devicePfi15HIP_vector_typeIjLj3EEiiiSB_iiiSB_iiii,comdat
	.globl	_ZL13mul_mat_vec_fI6__halfS0_Li6ELi256ELb0ELb0EEvPKT_PKfPKi31ggml_cuda_mm_fusion_args_devicePfi15HIP_vector_typeIjLj3EEiiiSB_iiiSB_iiii ; -- Begin function _ZL13mul_mat_vec_fI6__halfS0_Li6ELi256ELb0ELb0EEvPKT_PKfPKi31ggml_cuda_mm_fusion_args_devicePfi15HIP_vector_typeIjLj3EEiiiSB_iiiSB_iiii
	.p2align	8
	.type	_ZL13mul_mat_vec_fI6__halfS0_Li6ELi256ELb0ELb0EEvPKT_PKfPKi31ggml_cuda_mm_fusion_args_devicePfi15HIP_vector_typeIjLj3EEiiiSB_iiiSB_iiii,@function
_ZL13mul_mat_vec_fI6__halfS0_Li6ELi256ELb0ELb0EEvPKT_PKfPKi31ggml_cuda_mm_fusion_args_devicePfi15HIP_vector_typeIjLj3EEiiiSB_iiiSB_iiii: ; @_ZL13mul_mat_vec_fI6__halfS0_Li6ELi256ELb0ELb0EEvPKT_PKfPKi31ggml_cuda_mm_fusion_args_devicePfi15HIP_vector_typeIjLj3EEiiiSB_iiiSB_iiii
; %bb.0:
	s_clause 0x2
	s_load_dwordx2 s[0:1], s[4:5], 0x10
	s_load_dwordx8 s[12:19], s[4:5], 0x40
	s_load_dwordx4 s[20:23], s[4:5], 0x80
	s_waitcnt lgkmcnt(0)
	s_cmp_eq_u64 s[0:1], 0
	s_cselect_b32 s10, -1, 0
	s_cmp_lg_u64 s[0:1], 0
	s_cselect_b32 s11, -1, 0
	s_and_b32 vcc_lo, exec_lo, s10
	s_cbranch_vccnz .LBB159_2
; %bb.1:
	s_mul_i32 s2, s23, s8
	s_mov_b32 s3, 0
	s_add_i32 s2, s2, s7
	s_lshl_b64 s[24:25], s[2:3], 2
	s_add_u32 s0, s0, s24
	s_addc_u32 s1, s1, s25
	s_load_dword s9, s[0:1], 0x0
	s_cbranch_execz .LBB159_3
	s_branch .LBB159_4
.LBB159_2:
                                        ; implicit-def: $sgpr9
.LBB159_3:
	s_load_dwordx2 s[0:1], s[4:5], 0x5c
	s_waitcnt lgkmcnt(0)
	s_mul_hi_u32 s0, s0, s7
	s_add_i32 s0, s7, s0
	s_lshr_b32 s9, s0, s1
.LBB159_4:
	s_load_dwordx4 s[24:27], s[4:5], 0x68
	s_andn2_b32 vcc_lo, exec_lo, s11
	s_mov_b32 s19, s7
	s_cbranch_vccnz .LBB159_6
; %bb.5:
	s_mul_hi_u32 s0, s13, s7
	s_add_i32 s0, s7, s0
	s_lshr_b32 s0, s0, s14
	s_mul_i32 s0, s0, s15
	s_sub_i32 s19, s7, s0
.LBB159_6:
	s_load_dword s13, s[4:5], 0x78
	v_cmp_gt_u32_e32 vcc_lo, 32, v0
	v_lshl_add_u32 v5, v0, 2, 0
	s_and_saveexec_b32 s0, vcc_lo
; %bb.7:
	v_mov_b32_e32 v1, 0
	ds_write_b32 v5, v1
; %bb.8:
	s_or_b32 exec_lo, exec_lo, s0
	v_mov_b32_e32 v9, 0
	v_mov_b32_e32 v12, 0
	;; [unrolled: 1-line block ×6, first 2 shown]
	s_and_b32 s0, exec_lo, s10
	s_cselect_b32 s10, s8, 0
	s_mov_b32 s11, exec_lo
	s_waitcnt lgkmcnt(0)
	s_barrier
	buffer_gl0_inv
	v_cmpx_gt_i32_e64 s12, v0
	s_cbranch_execz .LBB159_12
; %bb.9:
	s_load_dwordx4 s[0:3], s[4:5], 0x0
	s_mul_hi_u32 s23, s27, s10
	s_mul_hi_i32 s15, s21, s10
	s_mul_i32 s14, s21, s10
	s_mul_i32 s8, s9, s24
	;; [unrolled: 1-line block ×4, first 2 shown]
	s_add_i32 s16, s10, s23
	s_lshl_b64 s[34:35], s[14:15], 2
	s_ashr_i32 s9, s8, 31
	s_ashr_i32 s25, s24, 31
	;; [unrolled: 1-line block ×3, first 2 shown]
	s_lshr_b32 s13, s16, s13
	s_mov_b32 s30, s17
	s_mul_hi_i32 s21, s13, s20
	s_mul_i32 s20, s13, s20
	v_lshlrev_b32_e32 v2, 3, v0
	v_lshlrev_b32_e32 v1, 2, v0
	v_mov_b32_e32 v6, 0
	v_mov_b32_e32 v7, 0
	s_waitcnt lgkmcnt(0)
	s_add_u32 s14, s2, s34
	s_addc_u32 s15, s3, s35
	s_lshl_b64 s[28:29], s[28:29], 2
	v_mov_b32_e32 v8, 0
	s_add_u32 s13, s14, s28
	s_addc_u32 s14, s15, s29
	s_lshl_b64 s[8:9], s[8:9], 1
	s_ashr_i32 s31, s17, 31
	s_add_i32 s15, s17, s17
	s_lshl_b32 s16, s17, 2
	s_lshl_b64 s[20:21], s[20:21], 1
	s_lshl_b64 s[24:25], s[24:25], 1
	s_add_u32 s0, s0, s8
	s_addc_u32 s1, s1, s9
	s_add_u32 s0, s0, s24
	s_addc_u32 s1, s1, s25
	;; [unrolled: 2-line block ×3, first 2 shown]
	s_lshl_b64 s[8:9], s[30:31], 3
	s_add_u32 s2, s2, s28
	s_addc_u32 s3, s3, s29
	s_add_u32 s2, s2, s34
	s_addc_u32 s3, s3, s35
	v_add_co_u32 v3, s2, s2, v2
	v_add_co_ci_u32_e64 v4, null, s3, 0, s2
	v_add_co_u32 v1, s0, s0, v1
	v_add_co_ci_u32_e64 v2, null, s1, 0, s0
	;; [unrolled: 2-line block ×3, first 2 shown]
	v_mov_b32_e32 v11, 0
	v_mov_b32_e32 v12, 0
	;; [unrolled: 1-line block ×4, first 2 shown]
	s_mul_i32 s1, s17, 3
	s_mul_i32 s3, s17, 5
	s_mov_b32 s2, 0
.LBB159_10:                             ; =>This Inner Loop Header: Depth=1
	v_add_nc_u32_e32 v15, s15, v10
	v_add_nc_u32_e32 v19, s1, v10
	;; [unrolled: 1-line block ×4, first 2 shown]
	v_add_co_u32 v17, s0, v3, s8
	v_ashrrev_i32_e32 v16, 31, v15
	v_ashrrev_i32_e32 v20, 31, v19
	;; [unrolled: 1-line block ×4, first 2 shown]
	global_load_dwordx2 v[13:14], v[3:4], off offset:-4
	v_lshlrev_b64 v[15:16], 3, v[15:16]
	v_lshlrev_b64 v[19:20], 3, v[19:20]
	;; [unrolled: 1-line block ×3, first 2 shown]
	v_add_co_ci_u32_e64 v18, null, s9, v4, s0
	v_lshlrev_b64 v[23:24], 3, v[23:24]
	v_add_co_u32 v15, s0, s13, v15
	v_add_co_ci_u32_e64 v16, null, s14, v16, s0
	v_add_co_u32 v19, s0, s13, v19
	v_add_co_ci_u32_e64 v20, null, s14, v20, s0
	;; [unrolled: 2-line block ×4, first 2 shown]
	global_load_dwordx2 v[17:18], v[17:18], off offset:-4
	s_clause 0x3
	global_load_dwordx2 v[15:16], v[15:16], off
	global_load_dwordx2 v[19:20], v[19:20], off
	;; [unrolled: 1-line block ×4, first 2 shown]
	global_load_dword v25, v[1:2], off
	v_add_nc_u32_e32 v10, 0x100, v10
	v_add_co_u32 v1, s0, 0x400, v1
	v_add_co_ci_u32_e64 v2, null, 0, v2, s0
	v_add_co_u32 v3, s0, 0x800, v3
	v_add_co_ci_u32_e64 v4, null, 0, v4, s0
	v_cmp_le_i32_e64 s0, s12, v10
	s_or_b32 s2, s0, s2
	s_waitcnt vmcnt(6)
	v_cvt_f16_f32_e32 v13, v13
	v_cvt_f16_f32_e32 v14, v14
	v_pack_b32_f16 v13, v13, v14
	s_waitcnt vmcnt(5)
	v_cvt_f16_f32_e32 v14, v17
	v_cvt_f16_f32_e32 v17, v18
	s_waitcnt vmcnt(0)
	v_pk_fma_f16 v9, v25, v13, v9
	v_cvt_f16_f32_e32 v13, v15
	v_cvt_f16_f32_e32 v15, v16
	;; [unrolled: 1-line block ×8, first 2 shown]
	v_pack_b32_f16 v14, v14, v17
	v_pack_b32_f16 v13, v13, v15
	;; [unrolled: 1-line block ×5, first 2 shown]
	v_pk_fma_f16 v12, v25, v14, v12
	v_pk_fma_f16 v11, v25, v13, v11
	;; [unrolled: 1-line block ×5, first 2 shown]
	s_andn2_b32 exec_lo, exec_lo, s2
	s_cbranch_execnz .LBB159_10
; %bb.11:
	s_or_b32 exec_lo, exec_lo, s2
.LBB159_12:
	s_or_b32 exec_lo, exec_lo, s11
	v_mbcnt_lo_u32_b32 v2, -1, 0
	v_cvt_f32_f16_e32 v3, v9
	v_cvt_f32_f16_sdwa v4, v9 dst_sel:DWORD dst_unused:UNUSED_PAD src0_sel:WORD_1
	v_cvt_f32_f16_e32 v16, v12
	v_cvt_f32_f16_sdwa v17, v12 dst_sel:DWORD dst_unused:UNUSED_PAD src0_sel:WORD_1
	v_xor_b32_e32 v1, 16, v2
	v_cvt_f32_f16_sdwa v15, v11 dst_sel:DWORD dst_unused:UNUSED_PAD src0_sel:WORD_1
	v_add_f32_e32 v4, v3, v4
	v_xor_b32_e32 v3, 8, v2
	v_cmp_gt_i32_e64 s0, 32, v1
	v_cndmask_b32_e64 v1, v2, v1, s0
	v_cmp_gt_i32_e64 s0, 32, v3
	v_lshlrev_b32_e32 v1, 2, v1
	v_cndmask_b32_e64 v3, v2, v3, s0
	ds_bpermute_b32 v9, v1, v4
	v_lshlrev_b32_e32 v3, 2, v3
	s_waitcnt lgkmcnt(0)
	v_add_f32_e32 v9, v4, v9
	v_xor_b32_e32 v4, 4, v2
	ds_bpermute_b32 v10, v3, v9
	v_cmp_gt_i32_e64 s0, 32, v4
	v_cndmask_b32_e64 v4, v2, v4, s0
	v_lshlrev_b32_e32 v4, 2, v4
	s_waitcnt lgkmcnt(0)
	v_add_f32_e32 v10, v9, v10
	v_xor_b32_e32 v9, 2, v2
	ds_bpermute_b32 v13, v4, v10
	v_cmp_gt_i32_e64 s0, 32, v9
	v_cndmask_b32_e64 v9, v2, v9, s0
	;; [unrolled: 7-line block ×3, first 2 shown]
	v_lshlrev_b32_e32 v10, 2, v2
	s_waitcnt lgkmcnt(0)
	v_add_f32_e32 v2, v13, v14
	v_lshrrev_b32_e32 v14, 3, v0
	ds_bpermute_b32 v13, v10, v2
	v_and_b32_e32 v14, 0x7c, v14
	v_add_nc_u32_e32 v12, 0, v14
	s_waitcnt lgkmcnt(0)
	v_add_f32_e32 v2, v2, v13
	v_cvt_f32_f16_e32 v13, v11
	v_add_f32_e32 v11, v16, v17
	ds_write_b32 v12, v2
	s_waitcnt lgkmcnt(0)
	s_barrier
	buffer_gl0_inv
	s_and_saveexec_b32 s0, vcc_lo
	s_cbranch_execz .LBB159_14
; %bb.13:
	ds_read_b32 v2, v5
	s_waitcnt lgkmcnt(0)
	ds_bpermute_b32 v14, v1, v2
	s_waitcnt lgkmcnt(0)
	v_add_f32_e32 v2, v2, v14
	ds_bpermute_b32 v14, v3, v2
	s_waitcnt lgkmcnt(0)
	v_add_f32_e32 v2, v2, v14
	;; [unrolled: 3-line block ×5, first 2 shown]
.LBB159_14:
	s_or_b32 exec_lo, exec_lo, s0
	ds_bpermute_b32 v14, v1, v11
	v_add_f32_e32 v13, v13, v15
	s_waitcnt lgkmcnt(0)
	s_barrier
	buffer_gl0_inv
	v_add_f32_e32 v11, v11, v14
	ds_bpermute_b32 v14, v3, v11
	s_waitcnt lgkmcnt(0)
	v_add_f32_e32 v11, v11, v14
	ds_bpermute_b32 v14, v4, v11
	s_waitcnt lgkmcnt(0)
	;; [unrolled: 3-line block ×3, first 2 shown]
	v_add_f32_e32 v16, v11, v14
	v_cvt_f32_f16_e32 v11, v8
	v_cvt_f32_f16_sdwa v14, v8 dst_sel:DWORD dst_unused:UNUSED_PAD src0_sel:WORD_1
	ds_bpermute_b32 v17, v10, v16
	s_waitcnt lgkmcnt(0)
	v_add_f32_e32 v8, v16, v17
	ds_write_b32 v12, v8
	s_waitcnt lgkmcnt(0)
	s_barrier
	buffer_gl0_inv
	s_and_saveexec_b32 s0, vcc_lo
	s_cbranch_execz .LBB159_16
; %bb.15:
	ds_read_b32 v8, v5
	s_waitcnt lgkmcnt(0)
	ds_bpermute_b32 v15, v1, v8
	s_waitcnt lgkmcnt(0)
	v_add_f32_e32 v8, v8, v15
	ds_bpermute_b32 v15, v3, v8
	s_waitcnt lgkmcnt(0)
	v_add_f32_e32 v8, v8, v15
	;; [unrolled: 3-line block ×5, first 2 shown]
.LBB159_16:
	s_or_b32 exec_lo, exec_lo, s0
	ds_bpermute_b32 v15, v1, v13
	v_add_f32_e32 v11, v11, v14
	s_waitcnt lgkmcnt(0)
	s_barrier
	buffer_gl0_inv
	v_add_f32_e32 v13, v13, v15
	ds_bpermute_b32 v15, v3, v13
	s_waitcnt lgkmcnt(0)
	v_add_f32_e32 v13, v13, v15
	ds_bpermute_b32 v15, v4, v13
	s_waitcnt lgkmcnt(0)
	;; [unrolled: 3-line block ×3, first 2 shown]
	v_add_f32_e32 v16, v13, v15
	v_cvt_f32_f16_e32 v13, v7
	v_cvt_f32_f16_sdwa v15, v7 dst_sel:DWORD dst_unused:UNUSED_PAD src0_sel:WORD_1
	ds_bpermute_b32 v17, v10, v16
	s_waitcnt lgkmcnt(0)
	v_add_f32_e32 v7, v16, v17
	ds_write_b32 v12, v7
	s_waitcnt lgkmcnt(0)
	s_barrier
	buffer_gl0_inv
	s_and_saveexec_b32 s0, vcc_lo
	s_cbranch_execz .LBB159_18
; %bb.17:
	ds_read_b32 v7, v5
	s_waitcnt lgkmcnt(0)
	ds_bpermute_b32 v14, v1, v7
	s_waitcnt lgkmcnt(0)
	v_add_f32_e32 v7, v7, v14
	ds_bpermute_b32 v14, v3, v7
	s_waitcnt lgkmcnt(0)
	v_add_f32_e32 v7, v7, v14
	;; [unrolled: 3-line block ×5, first 2 shown]
.LBB159_18:
	s_or_b32 exec_lo, exec_lo, s0
	ds_bpermute_b32 v14, v1, v11
	v_cvt_f32_f16_sdwa v16, v6 dst_sel:DWORD dst_unused:UNUSED_PAD src0_sel:WORD_1
	s_waitcnt lgkmcnt(0)
	s_barrier
	buffer_gl0_inv
	v_add_f32_e32 v11, v11, v14
	ds_bpermute_b32 v14, v3, v11
	s_waitcnt lgkmcnt(0)
	v_add_f32_e32 v11, v11, v14
	ds_bpermute_b32 v14, v4, v11
	s_waitcnt lgkmcnt(0)
	v_add_f32_e32 v11, v11, v14
	ds_bpermute_b32 v14, v9, v11
	s_waitcnt lgkmcnt(0)
	v_add_f32_e32 v11, v11, v14
	v_cvt_f32_f16_e32 v14, v6
	ds_bpermute_b32 v17, v10, v11
	s_waitcnt lgkmcnt(0)
	v_add_f32_e32 v6, v11, v17
	v_add_f32_e32 v11, v13, v15
	ds_write_b32 v12, v6
	s_waitcnt lgkmcnt(0)
	s_barrier
	buffer_gl0_inv
	s_and_saveexec_b32 s0, vcc_lo
	s_cbranch_execz .LBB159_20
; %bb.19:
	ds_read_b32 v6, v5
	s_waitcnt lgkmcnt(0)
	ds_bpermute_b32 v13, v1, v6
	s_waitcnt lgkmcnt(0)
	v_add_f32_e32 v6, v6, v13
	ds_bpermute_b32 v13, v3, v6
	s_waitcnt lgkmcnt(0)
	v_add_f32_e32 v6, v6, v13
	;; [unrolled: 3-line block ×5, first 2 shown]
.LBB159_20:
	s_or_b32 exec_lo, exec_lo, s0
	ds_bpermute_b32 v13, v1, v11
	s_waitcnt lgkmcnt(0)
	s_barrier
	buffer_gl0_inv
	v_add_f32_e32 v11, v11, v13
	ds_bpermute_b32 v13, v3, v11
	s_waitcnt lgkmcnt(0)
	v_add_f32_e32 v11, v11, v13
	ds_bpermute_b32 v13, v4, v11
	s_waitcnt lgkmcnt(0)
	;; [unrolled: 3-line block ×4, first 2 shown]
	v_add_f32_e32 v11, v11, v13
	v_add_f32_e32 v13, v14, v16
	ds_write_b32 v12, v11
	s_waitcnt lgkmcnt(0)
	s_barrier
	buffer_gl0_inv
	s_and_saveexec_b32 s0, vcc_lo
	s_cbranch_execz .LBB159_22
; %bb.21:
	ds_read_b32 v11, v5
	s_waitcnt lgkmcnt(0)
	ds_bpermute_b32 v14, v1, v11
	s_waitcnt lgkmcnt(0)
	v_add_f32_e32 v11, v11, v14
	ds_bpermute_b32 v14, v3, v11
	s_waitcnt lgkmcnt(0)
	v_add_f32_e32 v11, v11, v14
	;; [unrolled: 3-line block ×5, first 2 shown]
.LBB159_22:
	s_or_b32 exec_lo, exec_lo, s0
	ds_bpermute_b32 v14, v1, v13
	s_waitcnt lgkmcnt(0)
	s_barrier
	buffer_gl0_inv
	v_add_f32_e32 v13, v13, v14
	ds_bpermute_b32 v14, v3, v13
	s_waitcnt lgkmcnt(0)
	v_add_f32_e32 v13, v13, v14
	ds_bpermute_b32 v14, v4, v13
	s_waitcnt lgkmcnt(0)
	;; [unrolled: 3-line block ×4, first 2 shown]
	v_add_f32_e32 v13, v13, v14
	ds_write_b32 v12, v13
	s_waitcnt lgkmcnt(0)
	s_barrier
	buffer_gl0_inv
	s_and_saveexec_b32 s0, vcc_lo
	s_cbranch_execz .LBB159_24
; %bb.23:
	ds_read_b32 v5, v5
	s_waitcnt lgkmcnt(0)
	ds_bpermute_b32 v1, v1, v5
	s_waitcnt lgkmcnt(0)
	v_add_f32_e32 v1, v5, v1
	ds_bpermute_b32 v3, v3, v1
	s_waitcnt lgkmcnt(0)
	v_add_f32_e32 v1, v1, v3
	;; [unrolled: 3-line block ×5, first 2 shown]
.LBB159_24:
	s_or_b32 exec_lo, exec_lo, s0
	s_barrier
	buffer_gl0_inv
	s_mov_b32 s0, exec_lo
	v_cmpx_gt_u32_e32 6, v0
	s_cbranch_execz .LBB159_26
; %bb.25:
	s_load_dwordx2 s[0:1], s[4:5], 0x38
	v_cmp_eq_u32_e32 vcc_lo, 1, v0
	s_mul_hi_i32 s3, s22, s10
	s_mul_i32 s2, s22, s10
	s_mul_i32 s4, s26, s7
	s_lshl_b64 s[2:3], s[2:3], 2
	v_cndmask_b32_e32 v3, v2, v8, vcc_lo
	v_cmp_eq_u32_e32 vcc_lo, 2, v0
	v_mad_u64_u32 v[1:2], null, s18, v0, s[6:7]
	s_ashr_i32 s5, s4, 31
	v_cndmask_b32_e32 v3, v3, v7, vcc_lo
	v_cmp_eq_u32_e32 vcc_lo, 3, v0
	v_ashrrev_i32_e32 v2, 31, v1
	v_cndmask_b32_e32 v3, v3, v6, vcc_lo
	v_cmp_eq_u32_e32 vcc_lo, 4, v0
	s_waitcnt lgkmcnt(0)
	s_add_u32 s2, s0, s2
	v_lshlrev_b64 v[1:2], 2, v[1:2]
	s_addc_u32 s3, s1, s3
	s_lshl_b64 s[0:1], s[4:5], 2
	v_cndmask_b32_e32 v3, v3, v11, vcc_lo
	v_cmp_eq_u32_e32 vcc_lo, 5, v0
	s_add_u32 s0, s2, s0
	s_addc_u32 s1, s3, s1
	v_cndmask_b32_e32 v3, v3, v13, vcc_lo
	v_add_co_u32 v0, vcc_lo, s0, v1
	v_add_co_ci_u32_e64 v1, null, s1, v2, vcc_lo
	global_store_dword v[0:1], v3, off
.LBB159_26:
	s_endpgm
	.section	.rodata,"a",@progbits
	.p2align	6, 0x0
	.amdhsa_kernel _ZL13mul_mat_vec_fI6__halfS0_Li6ELi256ELb0ELb0EEvPKT_PKfPKi31ggml_cuda_mm_fusion_args_devicePfi15HIP_vector_typeIjLj3EEiiiSB_iiiSB_iiii
		.amdhsa_group_segment_fixed_size 0
		.amdhsa_private_segment_fixed_size 0
		.amdhsa_kernarg_size 144
		.amdhsa_user_sgpr_count 6
		.amdhsa_user_sgpr_private_segment_buffer 1
		.amdhsa_user_sgpr_dispatch_ptr 0
		.amdhsa_user_sgpr_queue_ptr 0
		.amdhsa_user_sgpr_kernarg_segment_ptr 1
		.amdhsa_user_sgpr_dispatch_id 0
		.amdhsa_user_sgpr_flat_scratch_init 0
		.amdhsa_user_sgpr_private_segment_size 0
		.amdhsa_wavefront_size32 1
		.amdhsa_uses_dynamic_stack 0
		.amdhsa_system_sgpr_private_segment_wavefront_offset 0
		.amdhsa_system_sgpr_workgroup_id_x 1
		.amdhsa_system_sgpr_workgroup_id_y 1
		.amdhsa_system_sgpr_workgroup_id_z 1
		.amdhsa_system_sgpr_workgroup_info 0
		.amdhsa_system_vgpr_workitem_id 0
		.amdhsa_next_free_vgpr 26
		.amdhsa_next_free_sgpr 36
		.amdhsa_reserve_vcc 1
		.amdhsa_reserve_flat_scratch 0
		.amdhsa_float_round_mode_32 0
		.amdhsa_float_round_mode_16_64 0
		.amdhsa_float_denorm_mode_32 3
		.amdhsa_float_denorm_mode_16_64 3
		.amdhsa_dx10_clamp 1
		.amdhsa_ieee_mode 1
		.amdhsa_fp16_overflow 0
		.amdhsa_workgroup_processor_mode 1
		.amdhsa_memory_ordered 1
		.amdhsa_forward_progress 1
		.amdhsa_shared_vgpr_count 0
		.amdhsa_exception_fp_ieee_invalid_op 0
		.amdhsa_exception_fp_denorm_src 0
		.amdhsa_exception_fp_ieee_div_zero 0
		.amdhsa_exception_fp_ieee_overflow 0
		.amdhsa_exception_fp_ieee_underflow 0
		.amdhsa_exception_fp_ieee_inexact 0
		.amdhsa_exception_int_div_zero 0
	.end_amdhsa_kernel
	.section	.text._ZL13mul_mat_vec_fI6__halfS0_Li6ELi256ELb0ELb0EEvPKT_PKfPKi31ggml_cuda_mm_fusion_args_devicePfi15HIP_vector_typeIjLj3EEiiiSB_iiiSB_iiii,"axG",@progbits,_ZL13mul_mat_vec_fI6__halfS0_Li6ELi256ELb0ELb0EEvPKT_PKfPKi31ggml_cuda_mm_fusion_args_devicePfi15HIP_vector_typeIjLj3EEiiiSB_iiiSB_iiii,comdat
.Lfunc_end159:
	.size	_ZL13mul_mat_vec_fI6__halfS0_Li6ELi256ELb0ELb0EEvPKT_PKfPKi31ggml_cuda_mm_fusion_args_devicePfi15HIP_vector_typeIjLj3EEiiiSB_iiiSB_iiii, .Lfunc_end159-_ZL13mul_mat_vec_fI6__halfS0_Li6ELi256ELb0ELb0EEvPKT_PKfPKi31ggml_cuda_mm_fusion_args_devicePfi15HIP_vector_typeIjLj3EEiiiSB_iiiSB_iiii
                                        ; -- End function
	.set _ZL13mul_mat_vec_fI6__halfS0_Li6ELi256ELb0ELb0EEvPKT_PKfPKi31ggml_cuda_mm_fusion_args_devicePfi15HIP_vector_typeIjLj3EEiiiSB_iiiSB_iiii.num_vgpr, 26
	.set _ZL13mul_mat_vec_fI6__halfS0_Li6ELi256ELb0ELb0EEvPKT_PKfPKi31ggml_cuda_mm_fusion_args_devicePfi15HIP_vector_typeIjLj3EEiiiSB_iiiSB_iiii.num_agpr, 0
	.set _ZL13mul_mat_vec_fI6__halfS0_Li6ELi256ELb0ELb0EEvPKT_PKfPKi31ggml_cuda_mm_fusion_args_devicePfi15HIP_vector_typeIjLj3EEiiiSB_iiiSB_iiii.numbered_sgpr, 36
	.set _ZL13mul_mat_vec_fI6__halfS0_Li6ELi256ELb0ELb0EEvPKT_PKfPKi31ggml_cuda_mm_fusion_args_devicePfi15HIP_vector_typeIjLj3EEiiiSB_iiiSB_iiii.num_named_barrier, 0
	.set _ZL13mul_mat_vec_fI6__halfS0_Li6ELi256ELb0ELb0EEvPKT_PKfPKi31ggml_cuda_mm_fusion_args_devicePfi15HIP_vector_typeIjLj3EEiiiSB_iiiSB_iiii.private_seg_size, 0
	.set _ZL13mul_mat_vec_fI6__halfS0_Li6ELi256ELb0ELb0EEvPKT_PKfPKi31ggml_cuda_mm_fusion_args_devicePfi15HIP_vector_typeIjLj3EEiiiSB_iiiSB_iiii.uses_vcc, 1
	.set _ZL13mul_mat_vec_fI6__halfS0_Li6ELi256ELb0ELb0EEvPKT_PKfPKi31ggml_cuda_mm_fusion_args_devicePfi15HIP_vector_typeIjLj3EEiiiSB_iiiSB_iiii.uses_flat_scratch, 0
	.set _ZL13mul_mat_vec_fI6__halfS0_Li6ELi256ELb0ELb0EEvPKT_PKfPKi31ggml_cuda_mm_fusion_args_devicePfi15HIP_vector_typeIjLj3EEiiiSB_iiiSB_iiii.has_dyn_sized_stack, 0
	.set _ZL13mul_mat_vec_fI6__halfS0_Li6ELi256ELb0ELb0EEvPKT_PKfPKi31ggml_cuda_mm_fusion_args_devicePfi15HIP_vector_typeIjLj3EEiiiSB_iiiSB_iiii.has_recursion, 0
	.set _ZL13mul_mat_vec_fI6__halfS0_Li6ELi256ELb0ELb0EEvPKT_PKfPKi31ggml_cuda_mm_fusion_args_devicePfi15HIP_vector_typeIjLj3EEiiiSB_iiiSB_iiii.has_indirect_call, 0
	.section	.AMDGPU.csdata,"",@progbits
; Kernel info:
; codeLenInByte = 2668
; TotalNumSgprs: 38
; NumVgprs: 26
; ScratchSize: 0
; MemoryBound: 0
; FloatMode: 240
; IeeeMode: 1
; LDSByteSize: 0 bytes/workgroup (compile time only)
; SGPRBlocks: 0
; VGPRBlocks: 3
; NumSGPRsForWavesPerEU: 38
; NumVGPRsForWavesPerEU: 26
; Occupancy: 16
; WaveLimiterHint : 0
; COMPUTE_PGM_RSRC2:SCRATCH_EN: 0
; COMPUTE_PGM_RSRC2:USER_SGPR: 6
; COMPUTE_PGM_RSRC2:TRAP_HANDLER: 0
; COMPUTE_PGM_RSRC2:TGID_X_EN: 1
; COMPUTE_PGM_RSRC2:TGID_Y_EN: 1
; COMPUTE_PGM_RSRC2:TGID_Z_EN: 1
; COMPUTE_PGM_RSRC2:TIDIG_COMP_CNT: 0
	.section	.text._ZL13mul_mat_vec_fI6__halfS0_Li7ELi32ELb0ELb0EEvPKT_PKfPKi31ggml_cuda_mm_fusion_args_devicePfi15HIP_vector_typeIjLj3EEiiiSB_iiiSB_iiii,"axG",@progbits,_ZL13mul_mat_vec_fI6__halfS0_Li7ELi32ELb0ELb0EEvPKT_PKfPKi31ggml_cuda_mm_fusion_args_devicePfi15HIP_vector_typeIjLj3EEiiiSB_iiiSB_iiii,comdat
	.globl	_ZL13mul_mat_vec_fI6__halfS0_Li7ELi32ELb0ELb0EEvPKT_PKfPKi31ggml_cuda_mm_fusion_args_devicePfi15HIP_vector_typeIjLj3EEiiiSB_iiiSB_iiii ; -- Begin function _ZL13mul_mat_vec_fI6__halfS0_Li7ELi32ELb0ELb0EEvPKT_PKfPKi31ggml_cuda_mm_fusion_args_devicePfi15HIP_vector_typeIjLj3EEiiiSB_iiiSB_iiii
	.p2align	8
	.type	_ZL13mul_mat_vec_fI6__halfS0_Li7ELi32ELb0ELb0EEvPKT_PKfPKi31ggml_cuda_mm_fusion_args_devicePfi15HIP_vector_typeIjLj3EEiiiSB_iiiSB_iiii,@function
_ZL13mul_mat_vec_fI6__halfS0_Li7ELi32ELb0ELb0EEvPKT_PKfPKi31ggml_cuda_mm_fusion_args_devicePfi15HIP_vector_typeIjLj3EEiiiSB_iiiSB_iiii: ; @_ZL13mul_mat_vec_fI6__halfS0_Li7ELi32ELb0ELb0EEvPKT_PKfPKi31ggml_cuda_mm_fusion_args_devicePfi15HIP_vector_typeIjLj3EEiiiSB_iiiSB_iiii
; %bb.0:
	s_clause 0x2
	s_load_dwordx2 s[20:21], s[4:5], 0x10
	s_load_dwordx8 s[12:19], s[4:5], 0x40
	s_load_dwordx4 s[0:3], s[4:5], 0x80
	s_waitcnt lgkmcnt(0)
	s_cmp_eq_u64 s[20:21], 0
	s_cselect_b32 s9, -1, 0
	s_cmp_lg_u64 s[20:21], 0
	s_cselect_b32 s25, -1, 0
	s_and_b32 vcc_lo, exec_lo, s9
	s_cbranch_vccnz .LBB160_2
; %bb.1:
	s_mul_i32 s3, s3, s8
	s_mov_b32 s11, 0
	s_add_i32 s10, s3, s7
	s_lshl_b64 s[22:23], s[10:11], 2
	s_add_u32 s20, s20, s22
	s_addc_u32 s21, s21, s23
	s_load_dword s24, s[20:21], 0x0
	s_load_dwordx4 s[20:23], s[4:5], 0x68
	s_cbranch_execz .LBB160_3
	s_branch .LBB160_4
.LBB160_2:
                                        ; implicit-def: $sgpr24
	s_load_dwordx4 s[20:23], s[4:5], 0x68
.LBB160_3:
	s_load_dwordx2 s[10:11], s[4:5], 0x5c
	s_waitcnt lgkmcnt(0)
	s_mul_hi_u32 s3, s10, s7
	s_add_i32 s3, s7, s3
	s_lshr_b32 s24, s3, s11
.LBB160_4:
	s_load_dword s19, s[4:5], 0x78
	s_andn2_b32 vcc_lo, exec_lo, s25
	s_mov_b32 s25, s7
	s_cbranch_vccnz .LBB160_6
; %bb.5:
	s_mul_hi_u32 s3, s13, s7
	s_add_i32 s3, s7, s3
	s_lshr_b32 s3, s3, s14
	s_mul_i32 s3, s3, s15
	s_sub_i32 s25, s7, s3
.LBB160_6:
	v_mov_b32_e32 v11, 0
	v_mov_b32_e32 v10, 0
	;; [unrolled: 1-line block ×7, first 2 shown]
	s_and_b32 s3, exec_lo, s9
	s_cselect_b32 s3, s8, 0
	s_mov_b32 s13, exec_lo
	v_cmpx_gt_i32_e64 s12, v0
	s_cbranch_execz .LBB160_10
; %bb.7:
	s_load_dwordx4 s[8:11], s[4:5], 0x0
	s_waitcnt lgkmcnt(0)
	s_mul_hi_u32 s15, s23, s3
	s_mul_hi_i32 s29, s1, s3
	s_mul_i32 s28, s1, s3
	s_mul_i32 s24, s24, s20
	s_add_i32 s1, s3, s15
	s_lshl_b64 s[28:29], s[28:29], 2
	s_mul_i32 s20, s25, s21
	s_ashr_i32 s25, s24, 31
	s_lshr_b32 s15, s1, s19
	s_mul_i32 s26, s16, s6
	s_mul_hi_i32 s1, s15, s0
	s_mul_i32 s0, s15, s0
	s_mov_b32 s30, s17
	v_lshlrev_b32_e32 v2, 3, v0
	v_lshlrev_b32_e32 v1, 2, v0
	v_mov_b32_e32 v5, 0
	v_mov_b32_e32 v6, 0
	;; [unrolled: 1-line block ×4, first 2 shown]
	s_add_u32 s16, s10, s28
	s_addc_u32 s19, s11, s29
	s_ashr_i32 s21, s20, 31
	s_ashr_i32 s27, s26, 31
	s_lshl_b64 s[34:35], s[20:21], 2
	v_mov_b32_e32 v9, 0
	s_add_u32 s15, s16, s34
	s_addc_u32 s16, s19, s35
	s_lshl_b64 s[24:25], s[24:25], 1
	s_ashr_i32 s31, s17, 31
	s_add_i32 s19, s17, s17
	s_lshl_b32 s20, s17, 2
	s_lshl_b64 s[0:1], s[0:1], 1
	s_lshl_b64 s[26:27], s[26:27], 1
	s_add_u32 s8, s8, s24
	s_addc_u32 s9, s9, s25
	s_add_u32 s8, s8, s26
	s_addc_u32 s9, s9, s27
	;; [unrolled: 2-line block ×3, first 2 shown]
	s_lshl_b64 s[0:1], s[30:31], 3
	s_add_u32 s10, s10, s34
	s_addc_u32 s11, s11, s35
	s_add_u32 s10, s10, s28
	s_addc_u32 s11, s11, s29
	v_add_co_u32 v3, s10, s10, v2
	v_add_co_ci_u32_e64 v4, null, s11, 0, s10
	v_add_co_u32 v1, s8, s8, v1
	v_add_co_u32 v3, vcc_lo, v3, 4
	v_add_co_ci_u32_e64 v2, null, s9, 0, s8
	v_add_co_ci_u32_e64 v4, null, 0, v4, vcc_lo
	v_mov_b32_e32 v10, 0
	v_mov_b32_e32 v11, 0
	;; [unrolled: 1-line block ×3, first 2 shown]
	s_mul_i32 s14, s17, 3
	s_mul_i32 s8, s17, 5
	;; [unrolled: 1-line block ×3, first 2 shown]
	s_mov_b32 s9, 0
.LBB160_8:                              ; =>This Inner Loop Header: Depth=1
	v_add_nc_u32_e32 v17, s19, v12
	v_add_nc_u32_e32 v19, s14, v12
	;; [unrolled: 1-line block ×5, first 2 shown]
	v_ashrrev_i32_e32 v18, 31, v17
	v_ashrrev_i32_e32 v20, 31, v19
	;; [unrolled: 1-line block ×3, first 2 shown]
	v_add_co_u32 v15, vcc_lo, v3, s0
	v_lshlrev_b64 v[17:18], 3, v[17:18]
	v_ashrrev_i32_e32 v24, 31, v23
	v_add_co_ci_u32_e64 v16, null, s1, v4, vcc_lo
	v_lshlrev_b64 v[19:20], 3, v[19:20]
	v_ashrrev_i32_e32 v26, 31, v25
	v_lshlrev_b64 v[21:22], 3, v[21:22]
	v_lshlrev_b64 v[23:24], 3, v[23:24]
	v_add_co_u32 v17, vcc_lo, s15, v17
	s_clause 0x1
	global_load_dwordx2 v[13:14], v[3:4], off offset:-4
	global_load_dwordx2 v[15:16], v[15:16], off offset:-4
	v_lshlrev_b64 v[25:26], 3, v[25:26]
	v_add_co_ci_u32_e64 v18, null, s16, v18, vcc_lo
	v_add_co_u32 v19, vcc_lo, s15, v19
	v_add_co_ci_u32_e64 v20, null, s16, v20, vcc_lo
	v_add_co_u32 v21, vcc_lo, s15, v21
	;; [unrolled: 2-line block ×4, first 2 shown]
	v_add_co_ci_u32_e64 v26, null, s16, v26, vcc_lo
	s_clause 0x4
	global_load_dwordx2 v[17:18], v[17:18], off
	global_load_dwordx2 v[19:20], v[19:20], off
	;; [unrolled: 1-line block ×5, first 2 shown]
	global_load_dword v27, v[1:2], off
	v_add_nc_u32_e32 v12, 32, v12
	v_add_co_u32 v1, vcc_lo, 0x80, v1
	v_add_co_ci_u32_e64 v2, null, 0, v2, vcc_lo
	v_add_co_u32 v3, vcc_lo, 0x100, v3
	v_add_co_ci_u32_e64 v4, null, 0, v4, vcc_lo
	v_cmp_le_i32_e32 vcc_lo, s12, v12
	s_or_b32 s9, vcc_lo, s9
	s_waitcnt vmcnt(7)
	v_cvt_f16_f32_e32 v13, v13
	v_cvt_f16_f32_e32 v14, v14
	s_waitcnt vmcnt(6)
	v_cvt_f16_f32_e32 v15, v15
	v_cvt_f16_f32_e32 v16, v16
	v_pack_b32_f16 v13, v13, v14
	v_pack_b32_f16 v14, v15, v16
	s_waitcnt vmcnt(4)
	v_cvt_f16_f32_e32 v15, v19
	v_cvt_f16_f32_e32 v16, v20
	s_waitcnt vmcnt(2)
	v_cvt_f16_f32_e32 v19, v23
	v_cvt_f16_f32_e32 v20, v24
	s_waitcnt vmcnt(0)
	v_pk_fma_f16 v11, v27, v13, v11
	v_pk_fma_f16 v10, v27, v14, v10
	v_cvt_f16_f32_e32 v13, v17
	v_cvt_f16_f32_e32 v14, v18
	;; [unrolled: 1-line block ×6, first 2 shown]
	v_pack_b32_f16 v13, v13, v14
	v_pack_b32_f16 v14, v15, v16
	;; [unrolled: 1-line block ×5, first 2 shown]
	v_pk_fma_f16 v9, v27, v13, v9
	v_pk_fma_f16 v8, v27, v14, v8
	;; [unrolled: 1-line block ×5, first 2 shown]
	s_andn2_b32 exec_lo, exec_lo, s9
	s_cbranch_execnz .LBB160_8
; %bb.9:
	s_or_b32 exec_lo, exec_lo, s9
.LBB160_10:
	s_or_b32 exec_lo, exec_lo, s13
	v_cvt_f32_f16_e32 v1, v11
	v_cvt_f32_f16_sdwa v2, v11 dst_sel:DWORD dst_unused:UNUSED_PAD src0_sel:WORD_1
	v_cvt_f32_f16_e32 v3, v10
	v_cvt_f32_f16_sdwa v4, v10 dst_sel:DWORD dst_unused:UNUSED_PAD src0_sel:WORD_1
	v_mbcnt_lo_u32_b32 v11, -1, 0
	v_cvt_f32_f16_e32 v10, v9
	v_add_f32_e32 v1, v1, v2
	v_cvt_f32_f16_sdwa v9, v9 dst_sel:DWORD dst_unused:UNUSED_PAD src0_sel:WORD_1
	v_add_f32_e32 v2, v3, v4
	v_xor_b32_e32 v4, 16, v11
	v_cvt_f32_f16_e32 v12, v6
	v_cvt_f32_f16_sdwa v6, v6 dst_sel:DWORD dst_unused:UNUSED_PAD src0_sel:WORD_1
	v_add_f32_e32 v3, v10, v9
	v_cvt_f32_f16_e32 v9, v8
	v_cmp_gt_i32_e32 vcc_lo, 32, v4
	v_cvt_f32_f16_sdwa v8, v8 dst_sel:DWORD dst_unused:UNUSED_PAD src0_sel:WORD_1
	v_cvt_f32_f16_e32 v10, v7
	v_cvt_f32_f16_sdwa v7, v7 dst_sel:DWORD dst_unused:UNUSED_PAD src0_sel:WORD_1
	v_cvt_f32_f16_e32 v13, v5
	v_cndmask_b32_e32 v4, v11, v4, vcc_lo
	v_cvt_f32_f16_sdwa v5, v5 dst_sel:DWORD dst_unused:UNUSED_PAD src0_sel:WORD_1
	v_add_f32_e32 v8, v9, v8
	v_add_f32_e32 v7, v10, v7
	;; [unrolled: 1-line block ×3, first 2 shown]
	v_lshlrev_b32_e32 v4, 2, v4
	v_add_f32_e32 v5, v13, v5
	v_xor_b32_e32 v16, 8, v11
	s_mov_b32 s0, exec_lo
	ds_bpermute_b32 v9, v4, v1
	ds_bpermute_b32 v10, v4, v2
	;; [unrolled: 1-line block ×7, first 2 shown]
	v_cmp_gt_i32_e32 vcc_lo, 32, v16
	v_cndmask_b32_e32 v16, v11, v16, vcc_lo
	v_lshlrev_b32_e32 v16, 2, v16
	s_waitcnt lgkmcnt(0)
	v_add_f32_e32 v1, v1, v9
	v_add_f32_e32 v2, v2, v10
	;; [unrolled: 1-line block ×7, first 2 shown]
	ds_bpermute_b32 v5, v16, v1
	ds_bpermute_b32 v9, v16, v2
	ds_bpermute_b32 v10, v16, v3
	ds_bpermute_b32 v12, v16, v8
	ds_bpermute_b32 v13, v16, v7
	ds_bpermute_b32 v14, v16, v6
	ds_bpermute_b32 v15, v16, v4
	v_xor_b32_e32 v16, 4, v11
	v_cmp_gt_i32_e32 vcc_lo, 32, v16
	v_cndmask_b32_e32 v16, v11, v16, vcc_lo
	s_waitcnt lgkmcnt(6)
	v_add_f32_e32 v1, v1, v5
	s_waitcnt lgkmcnt(5)
	v_add_f32_e32 v2, v2, v9
	v_lshlrev_b32_e32 v16, 2, v16
	s_waitcnt lgkmcnt(4)
	v_add_f32_e32 v3, v3, v10
	s_waitcnt lgkmcnt(3)
	v_add_f32_e32 v5, v8, v12
	s_waitcnt lgkmcnt(2)
	v_add_f32_e32 v7, v7, v13
	s_waitcnt lgkmcnt(1)
	v_add_f32_e32 v6, v6, v14
	s_waitcnt lgkmcnt(0)
	v_add_f32_e32 v4, v4, v15
	ds_bpermute_b32 v8, v16, v1
	ds_bpermute_b32 v9, v16, v2
	;; [unrolled: 1-line block ×7, first 2 shown]
	v_xor_b32_e32 v16, 2, v11
	v_cmp_gt_i32_e32 vcc_lo, 32, v16
	v_cndmask_b32_e32 v16, v11, v16, vcc_lo
	s_waitcnt lgkmcnt(6)
	v_add_f32_e32 v1, v1, v8
	s_waitcnt lgkmcnt(5)
	v_add_f32_e32 v2, v2, v9
	v_lshlrev_b32_e32 v16, 2, v16
	s_waitcnt lgkmcnt(4)
	v_add_f32_e32 v3, v3, v10
	s_waitcnt lgkmcnt(3)
	v_add_f32_e32 v5, v5, v12
	;; [unrolled: 2-line block ×5, first 2 shown]
	ds_bpermute_b32 v4, v16, v1
	ds_bpermute_b32 v6, v16, v2
	ds_bpermute_b32 v13, v16, v3
	ds_bpermute_b32 v14, v16, v5
	ds_bpermute_b32 v15, v16, v9
	ds_bpermute_b32 v17, v16, v10
	ds_bpermute_b32 v16, v16, v12
	v_xor_b32_e32 v7, 1, v11
	v_cmp_gt_i32_e32 vcc_lo, 32, v7
	v_cndmask_b32_e32 v7, v11, v7, vcc_lo
	s_waitcnt lgkmcnt(5)
	v_add_f32_e32 v8, v2, v6
	v_lshlrev_b32_e32 v18, 2, v7
	v_add_f32_e32 v7, v1, v4
	s_waitcnt lgkmcnt(4)
	v_add_f32_e32 v6, v3, v13
	s_waitcnt lgkmcnt(3)
	;; [unrolled: 2-line block ×5, first 2 shown]
	v_add_f32_e32 v1, v12, v16
	ds_bpermute_b32 v13, v18, v7
	ds_bpermute_b32 v14, v18, v8
	;; [unrolled: 1-line block ×7, first 2 shown]
	v_cmpx_gt_u32_e32 7, v0
	s_cbranch_execz .LBB160_12
; %bb.11:
	s_waitcnt lgkmcnt(6)
	v_add_f32_e32 v7, v7, v13
	s_waitcnt lgkmcnt(5)
	v_add_f32_e32 v8, v8, v14
	v_cmp_eq_u32_e32 vcc_lo, 1, v0
	s_load_dwordx2 s[0:1], s[4:5], 0x38
	s_waitcnt lgkmcnt(0)
	v_add_f32_e32 v6, v6, v12
	s_mul_hi_i32 s5, s2, s3
	s_mul_i32 s4, s2, s3
	v_cndmask_b32_e32 v7, v7, v8, vcc_lo
	v_cmp_eq_u32_e32 vcc_lo, 2, v0
	v_add_f32_e32 v8, v3, v9
	v_add_f32_e32 v9, v4, v10
	v_mad_u64_u32 v[3:4], null, s18, v0, s[6:7]
	v_cndmask_b32_e32 v6, v7, v6, vcc_lo
	v_cmp_eq_u32_e32 vcc_lo, 3, v0
	v_add_f32_e32 v5, v5, v11
	s_lshl_b64 s[4:5], s[4:5], 2
	s_mul_i32 s2, s22, s7
	v_add_f32_e32 v7, v1, v2
	v_cndmask_b32_e32 v4, v6, v8, vcc_lo
	v_cmp_eq_u32_e32 vcc_lo, 4, v0
	s_add_u32 s4, s0, s4
	s_addc_u32 s5, s1, s5
	v_cndmask_b32_e32 v6, v4, v9, vcc_lo
	v_ashrrev_i32_e32 v4, 31, v3
	v_cmp_eq_u32_e32 vcc_lo, 5, v0
	s_ashr_i32 s3, s2, 31
	s_lshl_b64 s[0:1], s[2:3], 2
	v_lshlrev_b64 v[1:2], 2, v[3:4]
	v_cndmask_b32_e32 v5, v6, v5, vcc_lo
	v_cmp_eq_u32_e32 vcc_lo, 6, v0
	s_add_u32 s0, s4, s0
	s_addc_u32 s1, s5, s1
	v_cndmask_b32_e32 v3, v5, v7, vcc_lo
	v_add_co_u32 v0, vcc_lo, s0, v1
	v_add_co_ci_u32_e64 v1, null, s1, v2, vcc_lo
	global_store_dword v[0:1], v3, off
.LBB160_12:
	s_endpgm
	.section	.rodata,"a",@progbits
	.p2align	6, 0x0
	.amdhsa_kernel _ZL13mul_mat_vec_fI6__halfS0_Li7ELi32ELb0ELb0EEvPKT_PKfPKi31ggml_cuda_mm_fusion_args_devicePfi15HIP_vector_typeIjLj3EEiiiSB_iiiSB_iiii
		.amdhsa_group_segment_fixed_size 0
		.amdhsa_private_segment_fixed_size 0
		.amdhsa_kernarg_size 144
		.amdhsa_user_sgpr_count 6
		.amdhsa_user_sgpr_private_segment_buffer 1
		.amdhsa_user_sgpr_dispatch_ptr 0
		.amdhsa_user_sgpr_queue_ptr 0
		.amdhsa_user_sgpr_kernarg_segment_ptr 1
		.amdhsa_user_sgpr_dispatch_id 0
		.amdhsa_user_sgpr_flat_scratch_init 0
		.amdhsa_user_sgpr_private_segment_size 0
		.amdhsa_wavefront_size32 1
		.amdhsa_uses_dynamic_stack 0
		.amdhsa_system_sgpr_private_segment_wavefront_offset 0
		.amdhsa_system_sgpr_workgroup_id_x 1
		.amdhsa_system_sgpr_workgroup_id_y 1
		.amdhsa_system_sgpr_workgroup_id_z 1
		.amdhsa_system_sgpr_workgroup_info 0
		.amdhsa_system_vgpr_workitem_id 0
		.amdhsa_next_free_vgpr 28
		.amdhsa_next_free_sgpr 36
		.amdhsa_reserve_vcc 1
		.amdhsa_reserve_flat_scratch 0
		.amdhsa_float_round_mode_32 0
		.amdhsa_float_round_mode_16_64 0
		.amdhsa_float_denorm_mode_32 3
		.amdhsa_float_denorm_mode_16_64 3
		.amdhsa_dx10_clamp 1
		.amdhsa_ieee_mode 1
		.amdhsa_fp16_overflow 0
		.amdhsa_workgroup_processor_mode 1
		.amdhsa_memory_ordered 1
		.amdhsa_forward_progress 1
		.amdhsa_shared_vgpr_count 0
		.amdhsa_exception_fp_ieee_invalid_op 0
		.amdhsa_exception_fp_denorm_src 0
		.amdhsa_exception_fp_ieee_div_zero 0
		.amdhsa_exception_fp_ieee_overflow 0
		.amdhsa_exception_fp_ieee_underflow 0
		.amdhsa_exception_fp_ieee_inexact 0
		.amdhsa_exception_int_div_zero 0
	.end_amdhsa_kernel
	.section	.text._ZL13mul_mat_vec_fI6__halfS0_Li7ELi32ELb0ELb0EEvPKT_PKfPKi31ggml_cuda_mm_fusion_args_devicePfi15HIP_vector_typeIjLj3EEiiiSB_iiiSB_iiii,"axG",@progbits,_ZL13mul_mat_vec_fI6__halfS0_Li7ELi32ELb0ELb0EEvPKT_PKfPKi31ggml_cuda_mm_fusion_args_devicePfi15HIP_vector_typeIjLj3EEiiiSB_iiiSB_iiii,comdat
.Lfunc_end160:
	.size	_ZL13mul_mat_vec_fI6__halfS0_Li7ELi32ELb0ELb0EEvPKT_PKfPKi31ggml_cuda_mm_fusion_args_devicePfi15HIP_vector_typeIjLj3EEiiiSB_iiiSB_iiii, .Lfunc_end160-_ZL13mul_mat_vec_fI6__halfS0_Li7ELi32ELb0ELb0EEvPKT_PKfPKi31ggml_cuda_mm_fusion_args_devicePfi15HIP_vector_typeIjLj3EEiiiSB_iiiSB_iiii
                                        ; -- End function
	.set _ZL13mul_mat_vec_fI6__halfS0_Li7ELi32ELb0ELb0EEvPKT_PKfPKi31ggml_cuda_mm_fusion_args_devicePfi15HIP_vector_typeIjLj3EEiiiSB_iiiSB_iiii.num_vgpr, 28
	.set _ZL13mul_mat_vec_fI6__halfS0_Li7ELi32ELb0ELb0EEvPKT_PKfPKi31ggml_cuda_mm_fusion_args_devicePfi15HIP_vector_typeIjLj3EEiiiSB_iiiSB_iiii.num_agpr, 0
	.set _ZL13mul_mat_vec_fI6__halfS0_Li7ELi32ELb0ELb0EEvPKT_PKfPKi31ggml_cuda_mm_fusion_args_devicePfi15HIP_vector_typeIjLj3EEiiiSB_iiiSB_iiii.numbered_sgpr, 36
	.set _ZL13mul_mat_vec_fI6__halfS0_Li7ELi32ELb0ELb0EEvPKT_PKfPKi31ggml_cuda_mm_fusion_args_devicePfi15HIP_vector_typeIjLj3EEiiiSB_iiiSB_iiii.num_named_barrier, 0
	.set _ZL13mul_mat_vec_fI6__halfS0_Li7ELi32ELb0ELb0EEvPKT_PKfPKi31ggml_cuda_mm_fusion_args_devicePfi15HIP_vector_typeIjLj3EEiiiSB_iiiSB_iiii.private_seg_size, 0
	.set _ZL13mul_mat_vec_fI6__halfS0_Li7ELi32ELb0ELb0EEvPKT_PKfPKi31ggml_cuda_mm_fusion_args_devicePfi15HIP_vector_typeIjLj3EEiiiSB_iiiSB_iiii.uses_vcc, 1
	.set _ZL13mul_mat_vec_fI6__halfS0_Li7ELi32ELb0ELb0EEvPKT_PKfPKi31ggml_cuda_mm_fusion_args_devicePfi15HIP_vector_typeIjLj3EEiiiSB_iiiSB_iiii.uses_flat_scratch, 0
	.set _ZL13mul_mat_vec_fI6__halfS0_Li7ELi32ELb0ELb0EEvPKT_PKfPKi31ggml_cuda_mm_fusion_args_devicePfi15HIP_vector_typeIjLj3EEiiiSB_iiiSB_iiii.has_dyn_sized_stack, 0
	.set _ZL13mul_mat_vec_fI6__halfS0_Li7ELi32ELb0ELb0EEvPKT_PKfPKi31ggml_cuda_mm_fusion_args_devicePfi15HIP_vector_typeIjLj3EEiiiSB_iiiSB_iiii.has_recursion, 0
	.set _ZL13mul_mat_vec_fI6__halfS0_Li7ELi32ELb0ELb0EEvPKT_PKfPKi31ggml_cuda_mm_fusion_args_devicePfi15HIP_vector_typeIjLj3EEiiiSB_iiiSB_iiii.has_indirect_call, 0
	.section	.AMDGPU.csdata,"",@progbits
; Kernel info:
; codeLenInByte = 1868
; TotalNumSgprs: 38
; NumVgprs: 28
; ScratchSize: 0
; MemoryBound: 0
; FloatMode: 240
; IeeeMode: 1
; LDSByteSize: 0 bytes/workgroup (compile time only)
; SGPRBlocks: 0
; VGPRBlocks: 3
; NumSGPRsForWavesPerEU: 38
; NumVGPRsForWavesPerEU: 28
; Occupancy: 16
; WaveLimiterHint : 0
; COMPUTE_PGM_RSRC2:SCRATCH_EN: 0
; COMPUTE_PGM_RSRC2:USER_SGPR: 6
; COMPUTE_PGM_RSRC2:TRAP_HANDLER: 0
; COMPUTE_PGM_RSRC2:TGID_X_EN: 1
; COMPUTE_PGM_RSRC2:TGID_Y_EN: 1
; COMPUTE_PGM_RSRC2:TGID_Z_EN: 1
; COMPUTE_PGM_RSRC2:TIDIG_COMP_CNT: 0
	.section	.text._ZL13mul_mat_vec_fI6__halfS0_Li7ELi64ELb0ELb0EEvPKT_PKfPKi31ggml_cuda_mm_fusion_args_devicePfi15HIP_vector_typeIjLj3EEiiiSB_iiiSB_iiii,"axG",@progbits,_ZL13mul_mat_vec_fI6__halfS0_Li7ELi64ELb0ELb0EEvPKT_PKfPKi31ggml_cuda_mm_fusion_args_devicePfi15HIP_vector_typeIjLj3EEiiiSB_iiiSB_iiii,comdat
	.globl	_ZL13mul_mat_vec_fI6__halfS0_Li7ELi64ELb0ELb0EEvPKT_PKfPKi31ggml_cuda_mm_fusion_args_devicePfi15HIP_vector_typeIjLj3EEiiiSB_iiiSB_iiii ; -- Begin function _ZL13mul_mat_vec_fI6__halfS0_Li7ELi64ELb0ELb0EEvPKT_PKfPKi31ggml_cuda_mm_fusion_args_devicePfi15HIP_vector_typeIjLj3EEiiiSB_iiiSB_iiii
	.p2align	8
	.type	_ZL13mul_mat_vec_fI6__halfS0_Li7ELi64ELb0ELb0EEvPKT_PKfPKi31ggml_cuda_mm_fusion_args_devicePfi15HIP_vector_typeIjLj3EEiiiSB_iiiSB_iiii,@function
_ZL13mul_mat_vec_fI6__halfS0_Li7ELi64ELb0ELb0EEvPKT_PKfPKi31ggml_cuda_mm_fusion_args_devicePfi15HIP_vector_typeIjLj3EEiiiSB_iiiSB_iiii: ; @_ZL13mul_mat_vec_fI6__halfS0_Li7ELi64ELb0ELb0EEvPKT_PKfPKi31ggml_cuda_mm_fusion_args_devicePfi15HIP_vector_typeIjLj3EEiiiSB_iiiSB_iiii
; %bb.0:
	s_clause 0x2
	s_load_dwordx2 s[0:1], s[4:5], 0x10
	s_load_dwordx8 s[12:19], s[4:5], 0x40
	s_load_dwordx4 s[20:23], s[4:5], 0x80
	s_waitcnt lgkmcnt(0)
	s_cmp_eq_u64 s[0:1], 0
	s_cselect_b32 s10, -1, 0
	s_cmp_lg_u64 s[0:1], 0
	s_cselect_b32 s11, -1, 0
	s_and_b32 vcc_lo, exec_lo, s10
	s_cbranch_vccnz .LBB161_2
; %bb.1:
	s_mul_i32 s2, s23, s8
	s_mov_b32 s3, 0
	s_add_i32 s2, s2, s7
	s_lshl_b64 s[24:25], s[2:3], 2
	s_add_u32 s0, s0, s24
	s_addc_u32 s1, s1, s25
	s_load_dword s9, s[0:1], 0x0
	s_cbranch_execz .LBB161_3
	s_branch .LBB161_4
.LBB161_2:
                                        ; implicit-def: $sgpr9
.LBB161_3:
	s_load_dwordx2 s[0:1], s[4:5], 0x5c
	s_waitcnt lgkmcnt(0)
	s_mul_hi_u32 s0, s0, s7
	s_add_i32 s0, s7, s0
	s_lshr_b32 s9, s0, s1
.LBB161_4:
	s_load_dwordx4 s[24:27], s[4:5], 0x68
	s_andn2_b32 vcc_lo, exec_lo, s11
	s_mov_b32 s19, s7
	s_cbranch_vccnz .LBB161_6
; %bb.5:
	s_mul_hi_u32 s0, s13, s7
	s_add_i32 s0, s7, s0
	s_lshr_b32 s0, s0, s14
	s_mul_i32 s0, s0, s15
	s_sub_i32 s19, s7, s0
.LBB161_6:
	s_load_dword s14, s[4:5], 0x78
	v_cmp_gt_u32_e32 vcc_lo, 32, v0
	v_lshl_add_u32 v5, v0, 2, 0
	s_and_saveexec_b32 s0, vcc_lo
; %bb.7:
	v_mov_b32_e32 v1, 0
	ds_write_b32 v5, v1
; %bb.8:
	s_or_b32 exec_lo, exec_lo, s0
	v_mov_b32_e32 v10, 0
	v_mov_b32_e32 v13, 0
	;; [unrolled: 1-line block ×7, first 2 shown]
	s_and_b32 s0, exec_lo, s10
	s_cselect_b32 s10, s8, 0
	s_mov_b32 s11, exec_lo
	s_waitcnt lgkmcnt(0)
	s_barrier
	buffer_gl0_inv
	v_cmpx_gt_i32_e64 s12, v0
	s_cbranch_execz .LBB161_12
; %bb.9:
	s_load_dwordx4 s[0:3], s[4:5], 0x0
	s_mul_hi_u32 s15, s27, s10
	s_mul_hi_i32 s29, s21, s10
	s_mul_i32 s28, s21, s10
	s_mul_i32 s8, s9, s24
	s_mul_i32 s24, s16, s6
	s_mul_i32 s30, s19, s25
	s_add_i32 s15, s10, s15
	s_lshl_b64 s[28:29], s[28:29], 2
	s_ashr_i32 s9, s8, 31
	s_ashr_i32 s25, s24, 31
	;; [unrolled: 1-line block ×3, first 2 shown]
	s_lshr_b32 s14, s15, s14
	s_mov_b32 s34, s17
	s_mul_hi_i32 s21, s14, s20
	s_mul_i32 s20, s14, s20
	v_lshlrev_b32_e32 v2, 3, v0
	v_lshlrev_b32_e32 v1, 2, v0
	v_mov_b32_e32 v6, 0
	v_mov_b32_e32 v7, 0
	s_waitcnt lgkmcnt(0)
	s_add_u32 s15, s2, s28
	s_addc_u32 s16, s3, s29
	s_lshl_b64 s[30:31], s[30:31], 2
	v_mov_b32_e32 v8, 0
	s_add_u32 s14, s15, s30
	s_addc_u32 s15, s16, s31
	s_lshl_b64 s[8:9], s[8:9], 1
	s_ashr_i32 s35, s17, 31
	s_add_i32 s16, s17, s17
	s_lshl_b32 s19, s17, 2
	s_lshl_b64 s[20:21], s[20:21], 1
	s_lshl_b64 s[24:25], s[24:25], 1
	s_add_u32 s0, s0, s8
	s_addc_u32 s1, s1, s9
	s_add_u32 s0, s0, s24
	s_addc_u32 s1, s1, s25
	;; [unrolled: 2-line block ×3, first 2 shown]
	s_lshl_b64 s[8:9], s[34:35], 3
	s_add_u32 s2, s2, s30
	s_addc_u32 s3, s3, s31
	s_add_u32 s2, s2, s28
	s_addc_u32 s3, s3, s29
	v_add_co_u32 v3, s2, s2, v2
	v_add_co_ci_u32_e64 v4, null, s3, 0, s2
	v_add_co_u32 v1, s0, s0, v1
	v_add_co_ci_u32_e64 v2, null, s1, 0, s0
	v_add_co_u32 v3, s0, v3, 4
	v_add_co_ci_u32_e64 v4, null, 0, v4, s0
	v_mov_b32_e32 v9, 0
	v_mov_b32_e32 v12, 0
	;; [unrolled: 1-line block ×5, first 2 shown]
	s_mul_i32 s13, s17, 3
	s_mul_i32 s1, s17, 5
	;; [unrolled: 1-line block ×3, first 2 shown]
	s_mov_b32 s2, 0
.LBB161_10:                             ; =>This Inner Loop Header: Depth=1
	v_add_nc_u32_e32 v18, s16, v11
	v_add_nc_u32_e32 v20, s13, v11
	;; [unrolled: 1-line block ×5, first 2 shown]
	v_ashrrev_i32_e32 v19, 31, v18
	v_ashrrev_i32_e32 v21, 31, v20
	;; [unrolled: 1-line block ×3, first 2 shown]
	v_add_co_u32 v16, s0, v3, s8
	v_lshlrev_b64 v[18:19], 3, v[18:19]
	v_ashrrev_i32_e32 v25, 31, v24
	v_add_co_ci_u32_e64 v17, null, s9, v4, s0
	v_lshlrev_b64 v[20:21], 3, v[20:21]
	v_ashrrev_i32_e32 v27, 31, v26
	v_lshlrev_b64 v[22:23], 3, v[22:23]
	v_lshlrev_b64 v[24:25], 3, v[24:25]
	v_add_co_u32 v18, s0, s14, v18
	s_clause 0x1
	global_load_dwordx2 v[14:15], v[3:4], off offset:-4
	global_load_dwordx2 v[16:17], v[16:17], off offset:-4
	v_lshlrev_b64 v[26:27], 3, v[26:27]
	v_add_co_ci_u32_e64 v19, null, s15, v19, s0
	v_add_co_u32 v20, s0, s14, v20
	v_add_co_ci_u32_e64 v21, null, s15, v21, s0
	v_add_co_u32 v22, s0, s14, v22
	;; [unrolled: 2-line block ×4, first 2 shown]
	v_add_co_ci_u32_e64 v27, null, s15, v27, s0
	s_clause 0x4
	global_load_dwordx2 v[18:19], v[18:19], off
	global_load_dwordx2 v[20:21], v[20:21], off
	;; [unrolled: 1-line block ×5, first 2 shown]
	global_load_dword v28, v[1:2], off
	v_add_nc_u32_e32 v11, 64, v11
	v_add_co_u32 v1, s0, 0x100, v1
	v_add_co_ci_u32_e64 v2, null, 0, v2, s0
	v_add_co_u32 v3, s0, 0x200, v3
	v_add_co_ci_u32_e64 v4, null, 0, v4, s0
	v_cmp_le_i32_e64 s0, s12, v11
	s_or_b32 s2, s0, s2
	s_waitcnt vmcnt(7)
	v_cvt_f16_f32_e32 v14, v14
	v_cvt_f16_f32_e32 v15, v15
	s_waitcnt vmcnt(6)
	v_cvt_f16_f32_e32 v16, v16
	v_cvt_f16_f32_e32 v17, v17
	v_pack_b32_f16 v14, v14, v15
	v_pack_b32_f16 v15, v16, v17
	s_waitcnt vmcnt(4)
	v_cvt_f16_f32_e32 v16, v20
	v_cvt_f16_f32_e32 v17, v21
	s_waitcnt vmcnt(2)
	v_cvt_f16_f32_e32 v20, v24
	v_cvt_f16_f32_e32 v21, v25
	s_waitcnt vmcnt(0)
	v_pk_fma_f16 v10, v28, v14, v10
	v_pk_fma_f16 v13, v28, v15, v13
	v_cvt_f16_f32_e32 v14, v18
	v_cvt_f16_f32_e32 v15, v19
	;; [unrolled: 1-line block ×6, first 2 shown]
	v_pack_b32_f16 v14, v14, v15
	v_pack_b32_f16 v15, v16, v17
	;; [unrolled: 1-line block ×5, first 2 shown]
	v_pk_fma_f16 v12, v28, v14, v12
	v_pk_fma_f16 v9, v28, v15, v9
	;; [unrolled: 1-line block ×5, first 2 shown]
	s_andn2_b32 exec_lo, exec_lo, s2
	s_cbranch_execnz .LBB161_10
; %bb.11:
	s_or_b32 exec_lo, exec_lo, s2
.LBB161_12:
	s_or_b32 exec_lo, exec_lo, s11
	v_mbcnt_lo_u32_b32 v2, -1, 0
	v_cvt_f32_f16_e32 v3, v10
	v_cvt_f32_f16_sdwa v4, v10 dst_sel:DWORD dst_unused:UNUSED_PAD src0_sel:WORD_1
	v_cvt_f32_f16_e32 v17, v13
	v_cvt_f32_f16_sdwa v18, v13 dst_sel:DWORD dst_unused:UNUSED_PAD src0_sel:WORD_1
	v_xor_b32_e32 v1, 16, v2
	v_cvt_f32_f16_sdwa v16, v12 dst_sel:DWORD dst_unused:UNUSED_PAD src0_sel:WORD_1
	v_add_f32_e32 v4, v3, v4
	v_xor_b32_e32 v3, 8, v2
	v_cmp_gt_i32_e64 s0, 32, v1
	v_cndmask_b32_e64 v1, v2, v1, s0
	v_cmp_gt_i32_e64 s0, 32, v3
	v_lshlrev_b32_e32 v1, 2, v1
	v_cndmask_b32_e64 v3, v2, v3, s0
	ds_bpermute_b32 v10, v1, v4
	v_lshlrev_b32_e32 v3, 2, v3
	s_waitcnt lgkmcnt(0)
	v_add_f32_e32 v10, v4, v10
	v_xor_b32_e32 v4, 4, v2
	ds_bpermute_b32 v11, v3, v10
	v_cmp_gt_i32_e64 s0, 32, v4
	v_cndmask_b32_e64 v4, v2, v4, s0
	v_lshlrev_b32_e32 v4, 2, v4
	s_waitcnt lgkmcnt(0)
	v_add_f32_e32 v11, v10, v11
	v_xor_b32_e32 v10, 2, v2
	ds_bpermute_b32 v14, v4, v11
	v_cmp_gt_i32_e64 s0, 32, v10
	v_cndmask_b32_e64 v10, v2, v10, s0
	;; [unrolled: 7-line block ×3, first 2 shown]
	v_lshlrev_b32_e32 v11, 2, v2
	s_waitcnt lgkmcnt(0)
	v_add_f32_e32 v2, v14, v15
	v_lshrrev_b32_e32 v15, 3, v0
	ds_bpermute_b32 v14, v11, v2
	v_and_b32_e32 v15, 0x7c, v15
	v_add_nc_u32_e32 v13, 0, v15
	s_waitcnt lgkmcnt(0)
	v_add_f32_e32 v2, v2, v14
	v_cvt_f32_f16_e32 v14, v12
	v_add_f32_e32 v12, v17, v18
	ds_write_b32 v13, v2
	s_waitcnt lgkmcnt(0)
	s_barrier
	buffer_gl0_inv
	s_and_saveexec_b32 s0, vcc_lo
	s_cbranch_execz .LBB161_14
; %bb.13:
	ds_read_b32 v2, v5
	s_waitcnt lgkmcnt(0)
	ds_bpermute_b32 v15, v1, v2
	s_waitcnt lgkmcnt(0)
	v_add_f32_e32 v2, v2, v15
	ds_bpermute_b32 v15, v3, v2
	s_waitcnt lgkmcnt(0)
	v_add_f32_e32 v2, v2, v15
	ds_bpermute_b32 v15, v4, v2
	s_waitcnt lgkmcnt(0)
	v_add_f32_e32 v2, v2, v15
	ds_bpermute_b32 v15, v10, v2
	s_waitcnt lgkmcnt(0)
	v_add_f32_e32 v2, v2, v15
	ds_bpermute_b32 v15, v11, v2
	s_waitcnt lgkmcnt(0)
	v_add_f32_e32 v2, v2, v15
.LBB161_14:
	s_or_b32 exec_lo, exec_lo, s0
	ds_bpermute_b32 v15, v1, v12
	v_add_f32_e32 v14, v14, v16
	s_waitcnt lgkmcnt(0)
	s_barrier
	buffer_gl0_inv
	v_add_f32_e32 v12, v12, v15
	ds_bpermute_b32 v15, v3, v12
	s_waitcnt lgkmcnt(0)
	v_add_f32_e32 v12, v12, v15
	ds_bpermute_b32 v15, v4, v12
	s_waitcnt lgkmcnt(0)
	v_add_f32_e32 v12, v12, v15
	ds_bpermute_b32 v15, v10, v12
	s_waitcnt lgkmcnt(0)
	v_add_f32_e32 v17, v12, v15
	v_cvt_f32_f16_e32 v12, v9
	v_cvt_f32_f16_sdwa v15, v9 dst_sel:DWORD dst_unused:UNUSED_PAD src0_sel:WORD_1
	ds_bpermute_b32 v18, v11, v17
	s_waitcnt lgkmcnt(0)
	v_add_f32_e32 v9, v17, v18
	ds_write_b32 v13, v9
	s_waitcnt lgkmcnt(0)
	s_barrier
	buffer_gl0_inv
	s_and_saveexec_b32 s0, vcc_lo
	s_cbranch_execz .LBB161_16
; %bb.15:
	ds_read_b32 v9, v5
	s_waitcnt lgkmcnt(0)
	ds_bpermute_b32 v16, v1, v9
	s_waitcnt lgkmcnt(0)
	v_add_f32_e32 v9, v9, v16
	ds_bpermute_b32 v16, v3, v9
	s_waitcnt lgkmcnt(0)
	v_add_f32_e32 v9, v9, v16
	ds_bpermute_b32 v16, v4, v9
	s_waitcnt lgkmcnt(0)
	v_add_f32_e32 v9, v9, v16
	ds_bpermute_b32 v16, v10, v9
	s_waitcnt lgkmcnt(0)
	v_add_f32_e32 v9, v9, v16
	ds_bpermute_b32 v16, v11, v9
	s_waitcnt lgkmcnt(0)
	v_add_f32_e32 v9, v9, v16
.LBB161_16:
	s_or_b32 exec_lo, exec_lo, s0
	ds_bpermute_b32 v16, v1, v14
	v_add_f32_e32 v12, v12, v15
	s_waitcnt lgkmcnt(0)
	s_barrier
	buffer_gl0_inv
	v_add_f32_e32 v14, v14, v16
	ds_bpermute_b32 v16, v3, v14
	s_waitcnt lgkmcnt(0)
	v_add_f32_e32 v14, v14, v16
	ds_bpermute_b32 v16, v4, v14
	s_waitcnt lgkmcnt(0)
	v_add_f32_e32 v14, v14, v16
	ds_bpermute_b32 v16, v10, v14
	s_waitcnt lgkmcnt(0)
	v_add_f32_e32 v17, v14, v16
	v_cvt_f32_f16_e32 v14, v8
	v_cvt_f32_f16_sdwa v16, v8 dst_sel:DWORD dst_unused:UNUSED_PAD src0_sel:WORD_1
	ds_bpermute_b32 v18, v11, v17
	s_waitcnt lgkmcnt(0)
	;; [unrolled: 46-line block ×4, first 2 shown]
	v_add_f32_e32 v6, v17, v18
	ds_write_b32 v13, v6
	s_waitcnt lgkmcnt(0)
	s_barrier
	buffer_gl0_inv
	s_and_saveexec_b32 s0, vcc_lo
	s_cbranch_execz .LBB161_22
; %bb.21:
	ds_read_b32 v6, v5
	s_waitcnt lgkmcnt(0)
	ds_bpermute_b32 v15, v1, v6
	s_waitcnt lgkmcnt(0)
	v_add_f32_e32 v6, v6, v15
	ds_bpermute_b32 v15, v3, v6
	s_waitcnt lgkmcnt(0)
	v_add_f32_e32 v6, v6, v15
	;; [unrolled: 3-line block ×5, first 2 shown]
.LBB161_22:
	s_or_b32 exec_lo, exec_lo, s0
	ds_bpermute_b32 v15, v1, v12
	v_add_f32_e32 v14, v14, v16
	s_waitcnt lgkmcnt(0)
	s_barrier
	buffer_gl0_inv
	v_add_f32_e32 v12, v12, v15
	ds_bpermute_b32 v15, v3, v12
	s_waitcnt lgkmcnt(0)
	v_add_f32_e32 v12, v12, v15
	ds_bpermute_b32 v15, v4, v12
	s_waitcnt lgkmcnt(0)
	;; [unrolled: 3-line block ×4, first 2 shown]
	v_add_f32_e32 v12, v12, v15
	ds_write_b32 v13, v12
	s_waitcnt lgkmcnt(0)
	s_barrier
	buffer_gl0_inv
	s_and_saveexec_b32 s0, vcc_lo
	s_cbranch_execz .LBB161_24
; %bb.23:
	ds_read_b32 v12, v5
	s_waitcnt lgkmcnt(0)
	ds_bpermute_b32 v15, v1, v12
	s_waitcnt lgkmcnt(0)
	v_add_f32_e32 v12, v12, v15
	ds_bpermute_b32 v15, v3, v12
	s_waitcnt lgkmcnt(0)
	v_add_f32_e32 v12, v12, v15
	;; [unrolled: 3-line block ×5, first 2 shown]
.LBB161_24:
	s_or_b32 exec_lo, exec_lo, s0
	ds_bpermute_b32 v15, v1, v14
	s_waitcnt lgkmcnt(0)
	s_barrier
	buffer_gl0_inv
	v_add_f32_e32 v14, v14, v15
	ds_bpermute_b32 v15, v3, v14
	s_waitcnt lgkmcnt(0)
	v_add_f32_e32 v14, v14, v15
	ds_bpermute_b32 v15, v4, v14
	s_waitcnt lgkmcnt(0)
	;; [unrolled: 3-line block ×4, first 2 shown]
	v_add_f32_e32 v14, v14, v15
	ds_write_b32 v13, v14
	s_waitcnt lgkmcnt(0)
	s_barrier
	buffer_gl0_inv
	s_and_saveexec_b32 s0, vcc_lo
	s_cbranch_execz .LBB161_26
; %bb.25:
	ds_read_b32 v5, v5
	s_waitcnt lgkmcnt(0)
	ds_bpermute_b32 v1, v1, v5
	s_waitcnt lgkmcnt(0)
	v_add_f32_e32 v1, v5, v1
	ds_bpermute_b32 v3, v3, v1
	s_waitcnt lgkmcnt(0)
	v_add_f32_e32 v1, v1, v3
	;; [unrolled: 3-line block ×5, first 2 shown]
.LBB161_26:
	s_or_b32 exec_lo, exec_lo, s0
	s_barrier
	buffer_gl0_inv
	s_mov_b32 s0, exec_lo
	v_cmpx_gt_u32_e32 7, v0
	s_cbranch_execz .LBB161_28
; %bb.27:
	v_cmp_eq_u32_e32 vcc_lo, 1, v0
	s_load_dwordx2 s[0:1], s[4:5], 0x38
	s_mul_hi_i32 s3, s22, s10
	s_mul_i32 s2, s22, s10
	s_mul_i32 s4, s26, s7
	v_cndmask_b32_e32 v1, v2, v9, vcc_lo
	v_cmp_eq_u32_e32 vcc_lo, 2, v0
	s_lshl_b64 s[2:3], s[2:3], 2
	s_ashr_i32 s5, s4, 31
	v_cndmask_b32_e32 v3, v1, v8, vcc_lo
	v_cmp_eq_u32_e32 vcc_lo, 3, v0
	v_mad_u64_u32 v[1:2], null, s18, v0, s[6:7]
	v_cndmask_b32_e32 v2, v3, v7, vcc_lo
	v_cmp_eq_u32_e32 vcc_lo, 4, v0
	s_waitcnt lgkmcnt(0)
	s_add_u32 s2, s0, s2
	s_addc_u32 s3, s1, s3
	v_cndmask_b32_e32 v3, v2, v6, vcc_lo
	v_ashrrev_i32_e32 v2, 31, v1
	v_cmp_eq_u32_e32 vcc_lo, 5, v0
	s_lshl_b64 s[0:1], s[4:5], 2
	s_add_u32 s0, s2, s0
	v_lshlrev_b64 v[1:2], 2, v[1:2]
	v_cndmask_b32_e32 v3, v3, v12, vcc_lo
	v_cmp_eq_u32_e32 vcc_lo, 6, v0
	s_addc_u32 s1, s3, s1
	v_cndmask_b32_e32 v3, v3, v14, vcc_lo
	v_add_co_u32 v0, vcc_lo, s0, v1
	v_add_co_ci_u32_e64 v1, null, s1, v2, vcc_lo
	global_store_dword v[0:1], v3, off
.LBB161_28:
	s_endpgm
	.section	.rodata,"a",@progbits
	.p2align	6, 0x0
	.amdhsa_kernel _ZL13mul_mat_vec_fI6__halfS0_Li7ELi64ELb0ELb0EEvPKT_PKfPKi31ggml_cuda_mm_fusion_args_devicePfi15HIP_vector_typeIjLj3EEiiiSB_iiiSB_iiii
		.amdhsa_group_segment_fixed_size 0
		.amdhsa_private_segment_fixed_size 0
		.amdhsa_kernarg_size 144
		.amdhsa_user_sgpr_count 6
		.amdhsa_user_sgpr_private_segment_buffer 1
		.amdhsa_user_sgpr_dispatch_ptr 0
		.amdhsa_user_sgpr_queue_ptr 0
		.amdhsa_user_sgpr_kernarg_segment_ptr 1
		.amdhsa_user_sgpr_dispatch_id 0
		.amdhsa_user_sgpr_flat_scratch_init 0
		.amdhsa_user_sgpr_private_segment_size 0
		.amdhsa_wavefront_size32 1
		.amdhsa_uses_dynamic_stack 0
		.amdhsa_system_sgpr_private_segment_wavefront_offset 0
		.amdhsa_system_sgpr_workgroup_id_x 1
		.amdhsa_system_sgpr_workgroup_id_y 1
		.amdhsa_system_sgpr_workgroup_id_z 1
		.amdhsa_system_sgpr_workgroup_info 0
		.amdhsa_system_vgpr_workitem_id 0
		.amdhsa_next_free_vgpr 29
		.amdhsa_next_free_sgpr 36
		.amdhsa_reserve_vcc 1
		.amdhsa_reserve_flat_scratch 0
		.amdhsa_float_round_mode_32 0
		.amdhsa_float_round_mode_16_64 0
		.amdhsa_float_denorm_mode_32 3
		.amdhsa_float_denorm_mode_16_64 3
		.amdhsa_dx10_clamp 1
		.amdhsa_ieee_mode 1
		.amdhsa_fp16_overflow 0
		.amdhsa_workgroup_processor_mode 1
		.amdhsa_memory_ordered 1
		.amdhsa_forward_progress 1
		.amdhsa_shared_vgpr_count 0
		.amdhsa_exception_fp_ieee_invalid_op 0
		.amdhsa_exception_fp_denorm_src 0
		.amdhsa_exception_fp_ieee_div_zero 0
		.amdhsa_exception_fp_ieee_overflow 0
		.amdhsa_exception_fp_ieee_underflow 0
		.amdhsa_exception_fp_ieee_inexact 0
		.amdhsa_exception_int_div_zero 0
	.end_amdhsa_kernel
	.section	.text._ZL13mul_mat_vec_fI6__halfS0_Li7ELi64ELb0ELb0EEvPKT_PKfPKi31ggml_cuda_mm_fusion_args_devicePfi15HIP_vector_typeIjLj3EEiiiSB_iiiSB_iiii,"axG",@progbits,_ZL13mul_mat_vec_fI6__halfS0_Li7ELi64ELb0ELb0EEvPKT_PKfPKi31ggml_cuda_mm_fusion_args_devicePfi15HIP_vector_typeIjLj3EEiiiSB_iiiSB_iiii,comdat
.Lfunc_end161:
	.size	_ZL13mul_mat_vec_fI6__halfS0_Li7ELi64ELb0ELb0EEvPKT_PKfPKi31ggml_cuda_mm_fusion_args_devicePfi15HIP_vector_typeIjLj3EEiiiSB_iiiSB_iiii, .Lfunc_end161-_ZL13mul_mat_vec_fI6__halfS0_Li7ELi64ELb0ELb0EEvPKT_PKfPKi31ggml_cuda_mm_fusion_args_devicePfi15HIP_vector_typeIjLj3EEiiiSB_iiiSB_iiii
                                        ; -- End function
	.set _ZL13mul_mat_vec_fI6__halfS0_Li7ELi64ELb0ELb0EEvPKT_PKfPKi31ggml_cuda_mm_fusion_args_devicePfi15HIP_vector_typeIjLj3EEiiiSB_iiiSB_iiii.num_vgpr, 29
	.set _ZL13mul_mat_vec_fI6__halfS0_Li7ELi64ELb0ELb0EEvPKT_PKfPKi31ggml_cuda_mm_fusion_args_devicePfi15HIP_vector_typeIjLj3EEiiiSB_iiiSB_iiii.num_agpr, 0
	.set _ZL13mul_mat_vec_fI6__halfS0_Li7ELi64ELb0ELb0EEvPKT_PKfPKi31ggml_cuda_mm_fusion_args_devicePfi15HIP_vector_typeIjLj3EEiiiSB_iiiSB_iiii.numbered_sgpr, 36
	.set _ZL13mul_mat_vec_fI6__halfS0_Li7ELi64ELb0ELb0EEvPKT_PKfPKi31ggml_cuda_mm_fusion_args_devicePfi15HIP_vector_typeIjLj3EEiiiSB_iiiSB_iiii.num_named_barrier, 0
	.set _ZL13mul_mat_vec_fI6__halfS0_Li7ELi64ELb0ELb0EEvPKT_PKfPKi31ggml_cuda_mm_fusion_args_devicePfi15HIP_vector_typeIjLj3EEiiiSB_iiiSB_iiii.private_seg_size, 0
	.set _ZL13mul_mat_vec_fI6__halfS0_Li7ELi64ELb0ELb0EEvPKT_PKfPKi31ggml_cuda_mm_fusion_args_devicePfi15HIP_vector_typeIjLj3EEiiiSB_iiiSB_iiii.uses_vcc, 1
	.set _ZL13mul_mat_vec_fI6__halfS0_Li7ELi64ELb0ELb0EEvPKT_PKfPKi31ggml_cuda_mm_fusion_args_devicePfi15HIP_vector_typeIjLj3EEiiiSB_iiiSB_iiii.uses_flat_scratch, 0
	.set _ZL13mul_mat_vec_fI6__halfS0_Li7ELi64ELb0ELb0EEvPKT_PKfPKi31ggml_cuda_mm_fusion_args_devicePfi15HIP_vector_typeIjLj3EEiiiSB_iiiSB_iiii.has_dyn_sized_stack, 0
	.set _ZL13mul_mat_vec_fI6__halfS0_Li7ELi64ELb0ELb0EEvPKT_PKfPKi31ggml_cuda_mm_fusion_args_devicePfi15HIP_vector_typeIjLj3EEiiiSB_iiiSB_iiii.has_recursion, 0
	.set _ZL13mul_mat_vec_fI6__halfS0_Li7ELi64ELb0ELb0EEvPKT_PKfPKi31ggml_cuda_mm_fusion_args_devicePfi15HIP_vector_typeIjLj3EEiiiSB_iiiSB_iiii.has_indirect_call, 0
	.section	.AMDGPU.csdata,"",@progbits
; Kernel info:
; codeLenInByte = 2996
; TotalNumSgprs: 38
; NumVgprs: 29
; ScratchSize: 0
; MemoryBound: 0
; FloatMode: 240
; IeeeMode: 1
; LDSByteSize: 0 bytes/workgroup (compile time only)
; SGPRBlocks: 0
; VGPRBlocks: 3
; NumSGPRsForWavesPerEU: 38
; NumVGPRsForWavesPerEU: 29
; Occupancy: 16
; WaveLimiterHint : 0
; COMPUTE_PGM_RSRC2:SCRATCH_EN: 0
; COMPUTE_PGM_RSRC2:USER_SGPR: 6
; COMPUTE_PGM_RSRC2:TRAP_HANDLER: 0
; COMPUTE_PGM_RSRC2:TGID_X_EN: 1
; COMPUTE_PGM_RSRC2:TGID_Y_EN: 1
; COMPUTE_PGM_RSRC2:TGID_Z_EN: 1
; COMPUTE_PGM_RSRC2:TIDIG_COMP_CNT: 0
	.section	.text._ZL13mul_mat_vec_fI6__halfS0_Li7ELi96ELb0ELb0EEvPKT_PKfPKi31ggml_cuda_mm_fusion_args_devicePfi15HIP_vector_typeIjLj3EEiiiSB_iiiSB_iiii,"axG",@progbits,_ZL13mul_mat_vec_fI6__halfS0_Li7ELi96ELb0ELb0EEvPKT_PKfPKi31ggml_cuda_mm_fusion_args_devicePfi15HIP_vector_typeIjLj3EEiiiSB_iiiSB_iiii,comdat
	.globl	_ZL13mul_mat_vec_fI6__halfS0_Li7ELi96ELb0ELb0EEvPKT_PKfPKi31ggml_cuda_mm_fusion_args_devicePfi15HIP_vector_typeIjLj3EEiiiSB_iiiSB_iiii ; -- Begin function _ZL13mul_mat_vec_fI6__halfS0_Li7ELi96ELb0ELb0EEvPKT_PKfPKi31ggml_cuda_mm_fusion_args_devicePfi15HIP_vector_typeIjLj3EEiiiSB_iiiSB_iiii
	.p2align	8
	.type	_ZL13mul_mat_vec_fI6__halfS0_Li7ELi96ELb0ELb0EEvPKT_PKfPKi31ggml_cuda_mm_fusion_args_devicePfi15HIP_vector_typeIjLj3EEiiiSB_iiiSB_iiii,@function
_ZL13mul_mat_vec_fI6__halfS0_Li7ELi96ELb0ELb0EEvPKT_PKfPKi31ggml_cuda_mm_fusion_args_devicePfi15HIP_vector_typeIjLj3EEiiiSB_iiiSB_iiii: ; @_ZL13mul_mat_vec_fI6__halfS0_Li7ELi96ELb0ELb0EEvPKT_PKfPKi31ggml_cuda_mm_fusion_args_devicePfi15HIP_vector_typeIjLj3EEiiiSB_iiiSB_iiii
; %bb.0:
	s_clause 0x2
	s_load_dwordx2 s[0:1], s[4:5], 0x10
	s_load_dwordx8 s[12:19], s[4:5], 0x40
	s_load_dwordx4 s[20:23], s[4:5], 0x80
	s_waitcnt lgkmcnt(0)
	s_cmp_eq_u64 s[0:1], 0
	s_cselect_b32 s10, -1, 0
	s_cmp_lg_u64 s[0:1], 0
	s_cselect_b32 s11, -1, 0
	s_and_b32 vcc_lo, exec_lo, s10
	s_cbranch_vccnz .LBB162_2
; %bb.1:
	s_mul_i32 s2, s23, s8
	s_mov_b32 s3, 0
	s_add_i32 s2, s2, s7
	s_lshl_b64 s[24:25], s[2:3], 2
	s_add_u32 s0, s0, s24
	s_addc_u32 s1, s1, s25
	s_load_dword s9, s[0:1], 0x0
	s_cbranch_execz .LBB162_3
	s_branch .LBB162_4
.LBB162_2:
                                        ; implicit-def: $sgpr9
.LBB162_3:
	s_load_dwordx2 s[0:1], s[4:5], 0x5c
	s_waitcnt lgkmcnt(0)
	s_mul_hi_u32 s0, s0, s7
	s_add_i32 s0, s7, s0
	s_lshr_b32 s9, s0, s1
.LBB162_4:
	s_load_dwordx4 s[24:27], s[4:5], 0x68
	s_andn2_b32 vcc_lo, exec_lo, s11
	s_mov_b32 s19, s7
	s_cbranch_vccnz .LBB162_6
; %bb.5:
	s_mul_hi_u32 s0, s13, s7
	s_add_i32 s0, s7, s0
	s_lshr_b32 s0, s0, s14
	s_mul_i32 s0, s0, s15
	s_sub_i32 s19, s7, s0
.LBB162_6:
	s_load_dword s14, s[4:5], 0x78
	v_cmp_gt_u32_e32 vcc_lo, 32, v0
	v_lshl_add_u32 v5, v0, 2, 0
	s_and_saveexec_b32 s0, vcc_lo
; %bb.7:
	v_mov_b32_e32 v1, 0
	ds_write_b32 v5, v1
; %bb.8:
	s_or_b32 exec_lo, exec_lo, s0
	v_mov_b32_e32 v10, 0
	v_mov_b32_e32 v13, 0
	;; [unrolled: 1-line block ×7, first 2 shown]
	s_and_b32 s0, exec_lo, s10
	s_cselect_b32 s10, s8, 0
	s_mov_b32 s11, exec_lo
	s_waitcnt lgkmcnt(0)
	s_barrier
	buffer_gl0_inv
	v_cmpx_gt_i32_e64 s12, v0
	s_cbranch_execz .LBB162_12
; %bb.9:
	s_load_dwordx4 s[0:3], s[4:5], 0x0
	s_mul_hi_u32 s15, s27, s10
	s_mul_hi_i32 s29, s21, s10
	s_mul_i32 s28, s21, s10
	s_mul_i32 s8, s9, s24
	;; [unrolled: 1-line block ×4, first 2 shown]
	s_add_i32 s15, s10, s15
	s_lshl_b64 s[28:29], s[28:29], 2
	s_ashr_i32 s9, s8, 31
	s_ashr_i32 s25, s24, 31
	;; [unrolled: 1-line block ×3, first 2 shown]
	s_lshr_b32 s14, s15, s14
	s_mov_b32 s34, s17
	s_mul_hi_i32 s21, s14, s20
	s_mul_i32 s20, s14, s20
	v_lshlrev_b32_e32 v2, 3, v0
	v_lshlrev_b32_e32 v1, 2, v0
	v_mov_b32_e32 v6, 0
	v_mov_b32_e32 v7, 0
	s_waitcnt lgkmcnt(0)
	s_add_u32 s15, s2, s28
	s_addc_u32 s16, s3, s29
	s_lshl_b64 s[30:31], s[30:31], 2
	v_mov_b32_e32 v8, 0
	s_add_u32 s14, s15, s30
	s_addc_u32 s15, s16, s31
	s_lshl_b64 s[8:9], s[8:9], 1
	s_ashr_i32 s35, s17, 31
	s_add_i32 s16, s17, s17
	s_lshl_b32 s19, s17, 2
	s_lshl_b64 s[20:21], s[20:21], 1
	s_lshl_b64 s[24:25], s[24:25], 1
	s_add_u32 s0, s0, s8
	s_addc_u32 s1, s1, s9
	s_add_u32 s0, s0, s24
	s_addc_u32 s1, s1, s25
	;; [unrolled: 2-line block ×3, first 2 shown]
	s_lshl_b64 s[8:9], s[34:35], 3
	s_add_u32 s2, s2, s30
	s_addc_u32 s3, s3, s31
	s_add_u32 s2, s2, s28
	s_addc_u32 s3, s3, s29
	v_add_co_u32 v3, s2, s2, v2
	v_add_co_ci_u32_e64 v4, null, s3, 0, s2
	v_add_co_u32 v1, s0, s0, v1
	v_add_co_ci_u32_e64 v2, null, s1, 0, s0
	v_add_co_u32 v3, s0, v3, 4
	v_add_co_ci_u32_e64 v4, null, 0, v4, s0
	v_mov_b32_e32 v9, 0
	v_mov_b32_e32 v12, 0
	;; [unrolled: 1-line block ×5, first 2 shown]
	s_mul_i32 s13, s17, 3
	s_mul_i32 s1, s17, 5
	;; [unrolled: 1-line block ×3, first 2 shown]
	s_mov_b32 s2, 0
.LBB162_10:                             ; =>This Inner Loop Header: Depth=1
	v_add_nc_u32_e32 v18, s16, v11
	v_add_nc_u32_e32 v20, s13, v11
	;; [unrolled: 1-line block ×5, first 2 shown]
	v_ashrrev_i32_e32 v19, 31, v18
	v_ashrrev_i32_e32 v21, 31, v20
	;; [unrolled: 1-line block ×3, first 2 shown]
	v_add_co_u32 v16, s0, v3, s8
	v_lshlrev_b64 v[18:19], 3, v[18:19]
	v_ashrrev_i32_e32 v25, 31, v24
	v_add_co_ci_u32_e64 v17, null, s9, v4, s0
	v_lshlrev_b64 v[20:21], 3, v[20:21]
	v_ashrrev_i32_e32 v27, 31, v26
	v_lshlrev_b64 v[22:23], 3, v[22:23]
	v_lshlrev_b64 v[24:25], 3, v[24:25]
	v_add_co_u32 v18, s0, s14, v18
	s_clause 0x1
	global_load_dwordx2 v[14:15], v[3:4], off offset:-4
	global_load_dwordx2 v[16:17], v[16:17], off offset:-4
	v_lshlrev_b64 v[26:27], 3, v[26:27]
	v_add_co_ci_u32_e64 v19, null, s15, v19, s0
	v_add_co_u32 v20, s0, s14, v20
	v_add_co_ci_u32_e64 v21, null, s15, v21, s0
	v_add_co_u32 v22, s0, s14, v22
	v_add_co_ci_u32_e64 v23, null, s15, v23, s0
	v_add_co_u32 v24, s0, s14, v24
	v_add_co_ci_u32_e64 v25, null, s15, v25, s0
	v_add_co_u32 v26, s0, s14, v26
	v_add_co_ci_u32_e64 v27, null, s15, v27, s0
	s_clause 0x4
	global_load_dwordx2 v[18:19], v[18:19], off
	global_load_dwordx2 v[20:21], v[20:21], off
	;; [unrolled: 1-line block ×5, first 2 shown]
	global_load_dword v28, v[1:2], off
	v_add_nc_u32_e32 v11, 0x60, v11
	v_add_co_u32 v1, s0, 0x180, v1
	v_add_co_ci_u32_e64 v2, null, 0, v2, s0
	v_add_co_u32 v3, s0, 0x300, v3
	v_add_co_ci_u32_e64 v4, null, 0, v4, s0
	v_cmp_le_i32_e64 s0, s12, v11
	s_or_b32 s2, s0, s2
	s_waitcnt vmcnt(7)
	v_cvt_f16_f32_e32 v14, v14
	v_cvt_f16_f32_e32 v15, v15
	s_waitcnt vmcnt(6)
	v_cvt_f16_f32_e32 v16, v16
	v_cvt_f16_f32_e32 v17, v17
	v_pack_b32_f16 v14, v14, v15
	v_pack_b32_f16 v15, v16, v17
	s_waitcnt vmcnt(4)
	v_cvt_f16_f32_e32 v16, v20
	v_cvt_f16_f32_e32 v17, v21
	s_waitcnt vmcnt(2)
	v_cvt_f16_f32_e32 v20, v24
	v_cvt_f16_f32_e32 v21, v25
	s_waitcnt vmcnt(0)
	v_pk_fma_f16 v10, v28, v14, v10
	v_pk_fma_f16 v13, v28, v15, v13
	v_cvt_f16_f32_e32 v14, v18
	v_cvt_f16_f32_e32 v15, v19
	;; [unrolled: 1-line block ×6, first 2 shown]
	v_pack_b32_f16 v14, v14, v15
	v_pack_b32_f16 v15, v16, v17
	;; [unrolled: 1-line block ×5, first 2 shown]
	v_pk_fma_f16 v12, v28, v14, v12
	v_pk_fma_f16 v9, v28, v15, v9
	;; [unrolled: 1-line block ×5, first 2 shown]
	s_andn2_b32 exec_lo, exec_lo, s2
	s_cbranch_execnz .LBB162_10
; %bb.11:
	s_or_b32 exec_lo, exec_lo, s2
.LBB162_12:
	s_or_b32 exec_lo, exec_lo, s11
	v_mbcnt_lo_u32_b32 v2, -1, 0
	v_cvt_f32_f16_e32 v3, v10
	v_cvt_f32_f16_sdwa v4, v10 dst_sel:DWORD dst_unused:UNUSED_PAD src0_sel:WORD_1
	v_cvt_f32_f16_e32 v17, v13
	v_cvt_f32_f16_sdwa v18, v13 dst_sel:DWORD dst_unused:UNUSED_PAD src0_sel:WORD_1
	v_xor_b32_e32 v1, 16, v2
	v_cvt_f32_f16_sdwa v16, v12 dst_sel:DWORD dst_unused:UNUSED_PAD src0_sel:WORD_1
	v_add_f32_e32 v4, v3, v4
	v_xor_b32_e32 v3, 8, v2
	v_cmp_gt_i32_e64 s0, 32, v1
	v_cndmask_b32_e64 v1, v2, v1, s0
	v_cmp_gt_i32_e64 s0, 32, v3
	v_lshlrev_b32_e32 v1, 2, v1
	v_cndmask_b32_e64 v3, v2, v3, s0
	ds_bpermute_b32 v10, v1, v4
	v_lshlrev_b32_e32 v3, 2, v3
	s_waitcnt lgkmcnt(0)
	v_add_f32_e32 v10, v4, v10
	v_xor_b32_e32 v4, 4, v2
	ds_bpermute_b32 v11, v3, v10
	v_cmp_gt_i32_e64 s0, 32, v4
	v_cndmask_b32_e64 v4, v2, v4, s0
	v_lshlrev_b32_e32 v4, 2, v4
	s_waitcnt lgkmcnt(0)
	v_add_f32_e32 v11, v10, v11
	v_xor_b32_e32 v10, 2, v2
	ds_bpermute_b32 v14, v4, v11
	v_cmp_gt_i32_e64 s0, 32, v10
	v_cndmask_b32_e64 v10, v2, v10, s0
	;; [unrolled: 7-line block ×3, first 2 shown]
	v_lshlrev_b32_e32 v11, 2, v2
	s_waitcnt lgkmcnt(0)
	v_add_f32_e32 v2, v14, v15
	v_lshrrev_b32_e32 v15, 3, v0
	ds_bpermute_b32 v14, v11, v2
	v_and_b32_e32 v15, 0x7c, v15
	v_add_nc_u32_e32 v13, 0, v15
	s_waitcnt lgkmcnt(0)
	v_add_f32_e32 v2, v2, v14
	v_cvt_f32_f16_e32 v14, v12
	v_add_f32_e32 v12, v17, v18
	ds_write_b32 v13, v2
	s_waitcnt lgkmcnt(0)
	s_barrier
	buffer_gl0_inv
	s_and_saveexec_b32 s0, vcc_lo
	s_cbranch_execz .LBB162_14
; %bb.13:
	ds_read_b32 v2, v5
	s_waitcnt lgkmcnt(0)
	ds_bpermute_b32 v15, v1, v2
	s_waitcnt lgkmcnt(0)
	v_add_f32_e32 v2, v2, v15
	ds_bpermute_b32 v15, v3, v2
	s_waitcnt lgkmcnt(0)
	v_add_f32_e32 v2, v2, v15
	ds_bpermute_b32 v15, v4, v2
	s_waitcnt lgkmcnt(0)
	v_add_f32_e32 v2, v2, v15
	ds_bpermute_b32 v15, v10, v2
	s_waitcnt lgkmcnt(0)
	v_add_f32_e32 v2, v2, v15
	ds_bpermute_b32 v15, v11, v2
	s_waitcnt lgkmcnt(0)
	v_add_f32_e32 v2, v2, v15
.LBB162_14:
	s_or_b32 exec_lo, exec_lo, s0
	ds_bpermute_b32 v15, v1, v12
	v_add_f32_e32 v14, v14, v16
	s_waitcnt lgkmcnt(0)
	s_barrier
	buffer_gl0_inv
	v_add_f32_e32 v12, v12, v15
	ds_bpermute_b32 v15, v3, v12
	s_waitcnt lgkmcnt(0)
	v_add_f32_e32 v12, v12, v15
	ds_bpermute_b32 v15, v4, v12
	s_waitcnt lgkmcnt(0)
	v_add_f32_e32 v12, v12, v15
	ds_bpermute_b32 v15, v10, v12
	s_waitcnt lgkmcnt(0)
	v_add_f32_e32 v17, v12, v15
	v_cvt_f32_f16_e32 v12, v9
	v_cvt_f32_f16_sdwa v15, v9 dst_sel:DWORD dst_unused:UNUSED_PAD src0_sel:WORD_1
	ds_bpermute_b32 v18, v11, v17
	s_waitcnt lgkmcnt(0)
	v_add_f32_e32 v9, v17, v18
	ds_write_b32 v13, v9
	s_waitcnt lgkmcnt(0)
	s_barrier
	buffer_gl0_inv
	s_and_saveexec_b32 s0, vcc_lo
	s_cbranch_execz .LBB162_16
; %bb.15:
	ds_read_b32 v9, v5
	s_waitcnt lgkmcnt(0)
	ds_bpermute_b32 v16, v1, v9
	s_waitcnt lgkmcnt(0)
	v_add_f32_e32 v9, v9, v16
	ds_bpermute_b32 v16, v3, v9
	s_waitcnt lgkmcnt(0)
	v_add_f32_e32 v9, v9, v16
	ds_bpermute_b32 v16, v4, v9
	s_waitcnt lgkmcnt(0)
	v_add_f32_e32 v9, v9, v16
	ds_bpermute_b32 v16, v10, v9
	s_waitcnt lgkmcnt(0)
	v_add_f32_e32 v9, v9, v16
	ds_bpermute_b32 v16, v11, v9
	s_waitcnt lgkmcnt(0)
	v_add_f32_e32 v9, v9, v16
.LBB162_16:
	s_or_b32 exec_lo, exec_lo, s0
	ds_bpermute_b32 v16, v1, v14
	v_add_f32_e32 v12, v12, v15
	s_waitcnt lgkmcnt(0)
	s_barrier
	buffer_gl0_inv
	v_add_f32_e32 v14, v14, v16
	ds_bpermute_b32 v16, v3, v14
	s_waitcnt lgkmcnt(0)
	v_add_f32_e32 v14, v14, v16
	ds_bpermute_b32 v16, v4, v14
	s_waitcnt lgkmcnt(0)
	v_add_f32_e32 v14, v14, v16
	ds_bpermute_b32 v16, v10, v14
	s_waitcnt lgkmcnt(0)
	v_add_f32_e32 v17, v14, v16
	v_cvt_f32_f16_e32 v14, v8
	v_cvt_f32_f16_sdwa v16, v8 dst_sel:DWORD dst_unused:UNUSED_PAD src0_sel:WORD_1
	ds_bpermute_b32 v18, v11, v17
	s_waitcnt lgkmcnt(0)
	;; [unrolled: 46-line block ×4, first 2 shown]
	v_add_f32_e32 v6, v17, v18
	ds_write_b32 v13, v6
	s_waitcnt lgkmcnt(0)
	s_barrier
	buffer_gl0_inv
	s_and_saveexec_b32 s0, vcc_lo
	s_cbranch_execz .LBB162_22
; %bb.21:
	ds_read_b32 v6, v5
	s_waitcnt lgkmcnt(0)
	ds_bpermute_b32 v15, v1, v6
	s_waitcnt lgkmcnt(0)
	v_add_f32_e32 v6, v6, v15
	ds_bpermute_b32 v15, v3, v6
	s_waitcnt lgkmcnt(0)
	v_add_f32_e32 v6, v6, v15
	;; [unrolled: 3-line block ×5, first 2 shown]
.LBB162_22:
	s_or_b32 exec_lo, exec_lo, s0
	ds_bpermute_b32 v15, v1, v12
	v_add_f32_e32 v14, v14, v16
	s_waitcnt lgkmcnt(0)
	s_barrier
	buffer_gl0_inv
	v_add_f32_e32 v12, v12, v15
	ds_bpermute_b32 v15, v3, v12
	s_waitcnt lgkmcnt(0)
	v_add_f32_e32 v12, v12, v15
	ds_bpermute_b32 v15, v4, v12
	s_waitcnt lgkmcnt(0)
	;; [unrolled: 3-line block ×4, first 2 shown]
	v_add_f32_e32 v12, v12, v15
	ds_write_b32 v13, v12
	s_waitcnt lgkmcnt(0)
	s_barrier
	buffer_gl0_inv
	s_and_saveexec_b32 s0, vcc_lo
	s_cbranch_execz .LBB162_24
; %bb.23:
	ds_read_b32 v12, v5
	s_waitcnt lgkmcnt(0)
	ds_bpermute_b32 v15, v1, v12
	s_waitcnt lgkmcnt(0)
	v_add_f32_e32 v12, v12, v15
	ds_bpermute_b32 v15, v3, v12
	s_waitcnt lgkmcnt(0)
	v_add_f32_e32 v12, v12, v15
	;; [unrolled: 3-line block ×5, first 2 shown]
.LBB162_24:
	s_or_b32 exec_lo, exec_lo, s0
	ds_bpermute_b32 v15, v1, v14
	s_waitcnt lgkmcnt(0)
	s_barrier
	buffer_gl0_inv
	v_add_f32_e32 v14, v14, v15
	ds_bpermute_b32 v15, v3, v14
	s_waitcnt lgkmcnt(0)
	v_add_f32_e32 v14, v14, v15
	ds_bpermute_b32 v15, v4, v14
	s_waitcnt lgkmcnt(0)
	v_add_f32_e32 v14, v14, v15
	ds_bpermute_b32 v15, v10, v14
	s_waitcnt lgkmcnt(0)
	v_add_f32_e32 v14, v14, v15
	ds_bpermute_b32 v15, v11, v14
	s_waitcnt lgkmcnt(0)
	v_add_f32_e32 v14, v14, v15
	ds_write_b32 v13, v14
	s_waitcnt lgkmcnt(0)
	s_barrier
	buffer_gl0_inv
	s_and_saveexec_b32 s0, vcc_lo
	s_cbranch_execz .LBB162_26
; %bb.25:
	ds_read_b32 v5, v5
	s_waitcnt lgkmcnt(0)
	ds_bpermute_b32 v1, v1, v5
	s_waitcnt lgkmcnt(0)
	v_add_f32_e32 v1, v5, v1
	ds_bpermute_b32 v3, v3, v1
	s_waitcnt lgkmcnt(0)
	v_add_f32_e32 v1, v1, v3
	;; [unrolled: 3-line block ×5, first 2 shown]
.LBB162_26:
	s_or_b32 exec_lo, exec_lo, s0
	s_barrier
	buffer_gl0_inv
	s_mov_b32 s0, exec_lo
	v_cmpx_gt_u32_e32 7, v0
	s_cbranch_execz .LBB162_28
; %bb.27:
	v_cmp_eq_u32_e32 vcc_lo, 1, v0
	s_load_dwordx2 s[0:1], s[4:5], 0x38
	s_mul_hi_i32 s3, s22, s10
	s_mul_i32 s2, s22, s10
	s_mul_i32 s4, s26, s7
	v_cndmask_b32_e32 v1, v2, v9, vcc_lo
	v_cmp_eq_u32_e32 vcc_lo, 2, v0
	s_lshl_b64 s[2:3], s[2:3], 2
	s_ashr_i32 s5, s4, 31
	v_cndmask_b32_e32 v3, v1, v8, vcc_lo
	v_cmp_eq_u32_e32 vcc_lo, 3, v0
	v_mad_u64_u32 v[1:2], null, s18, v0, s[6:7]
	v_cndmask_b32_e32 v2, v3, v7, vcc_lo
	v_cmp_eq_u32_e32 vcc_lo, 4, v0
	s_waitcnt lgkmcnt(0)
	s_add_u32 s2, s0, s2
	s_addc_u32 s3, s1, s3
	v_cndmask_b32_e32 v3, v2, v6, vcc_lo
	v_ashrrev_i32_e32 v2, 31, v1
	v_cmp_eq_u32_e32 vcc_lo, 5, v0
	s_lshl_b64 s[0:1], s[4:5], 2
	s_add_u32 s0, s2, s0
	v_lshlrev_b64 v[1:2], 2, v[1:2]
	v_cndmask_b32_e32 v3, v3, v12, vcc_lo
	v_cmp_eq_u32_e32 vcc_lo, 6, v0
	s_addc_u32 s1, s3, s1
	v_cndmask_b32_e32 v3, v3, v14, vcc_lo
	v_add_co_u32 v0, vcc_lo, s0, v1
	v_add_co_ci_u32_e64 v1, null, s1, v2, vcc_lo
	global_store_dword v[0:1], v3, off
.LBB162_28:
	s_endpgm
	.section	.rodata,"a",@progbits
	.p2align	6, 0x0
	.amdhsa_kernel _ZL13mul_mat_vec_fI6__halfS0_Li7ELi96ELb0ELb0EEvPKT_PKfPKi31ggml_cuda_mm_fusion_args_devicePfi15HIP_vector_typeIjLj3EEiiiSB_iiiSB_iiii
		.amdhsa_group_segment_fixed_size 0
		.amdhsa_private_segment_fixed_size 0
		.amdhsa_kernarg_size 144
		.amdhsa_user_sgpr_count 6
		.amdhsa_user_sgpr_private_segment_buffer 1
		.amdhsa_user_sgpr_dispatch_ptr 0
		.amdhsa_user_sgpr_queue_ptr 0
		.amdhsa_user_sgpr_kernarg_segment_ptr 1
		.amdhsa_user_sgpr_dispatch_id 0
		.amdhsa_user_sgpr_flat_scratch_init 0
		.amdhsa_user_sgpr_private_segment_size 0
		.amdhsa_wavefront_size32 1
		.amdhsa_uses_dynamic_stack 0
		.amdhsa_system_sgpr_private_segment_wavefront_offset 0
		.amdhsa_system_sgpr_workgroup_id_x 1
		.amdhsa_system_sgpr_workgroup_id_y 1
		.amdhsa_system_sgpr_workgroup_id_z 1
		.amdhsa_system_sgpr_workgroup_info 0
		.amdhsa_system_vgpr_workitem_id 0
		.amdhsa_next_free_vgpr 29
		.amdhsa_next_free_sgpr 36
		.amdhsa_reserve_vcc 1
		.amdhsa_reserve_flat_scratch 0
		.amdhsa_float_round_mode_32 0
		.amdhsa_float_round_mode_16_64 0
		.amdhsa_float_denorm_mode_32 3
		.amdhsa_float_denorm_mode_16_64 3
		.amdhsa_dx10_clamp 1
		.amdhsa_ieee_mode 1
		.amdhsa_fp16_overflow 0
		.amdhsa_workgroup_processor_mode 1
		.amdhsa_memory_ordered 1
		.amdhsa_forward_progress 1
		.amdhsa_shared_vgpr_count 0
		.amdhsa_exception_fp_ieee_invalid_op 0
		.amdhsa_exception_fp_denorm_src 0
		.amdhsa_exception_fp_ieee_div_zero 0
		.amdhsa_exception_fp_ieee_overflow 0
		.amdhsa_exception_fp_ieee_underflow 0
		.amdhsa_exception_fp_ieee_inexact 0
		.amdhsa_exception_int_div_zero 0
	.end_amdhsa_kernel
	.section	.text._ZL13mul_mat_vec_fI6__halfS0_Li7ELi96ELb0ELb0EEvPKT_PKfPKi31ggml_cuda_mm_fusion_args_devicePfi15HIP_vector_typeIjLj3EEiiiSB_iiiSB_iiii,"axG",@progbits,_ZL13mul_mat_vec_fI6__halfS0_Li7ELi96ELb0ELb0EEvPKT_PKfPKi31ggml_cuda_mm_fusion_args_devicePfi15HIP_vector_typeIjLj3EEiiiSB_iiiSB_iiii,comdat
.Lfunc_end162:
	.size	_ZL13mul_mat_vec_fI6__halfS0_Li7ELi96ELb0ELb0EEvPKT_PKfPKi31ggml_cuda_mm_fusion_args_devicePfi15HIP_vector_typeIjLj3EEiiiSB_iiiSB_iiii, .Lfunc_end162-_ZL13mul_mat_vec_fI6__halfS0_Li7ELi96ELb0ELb0EEvPKT_PKfPKi31ggml_cuda_mm_fusion_args_devicePfi15HIP_vector_typeIjLj3EEiiiSB_iiiSB_iiii
                                        ; -- End function
	.set _ZL13mul_mat_vec_fI6__halfS0_Li7ELi96ELb0ELb0EEvPKT_PKfPKi31ggml_cuda_mm_fusion_args_devicePfi15HIP_vector_typeIjLj3EEiiiSB_iiiSB_iiii.num_vgpr, 29
	.set _ZL13mul_mat_vec_fI6__halfS0_Li7ELi96ELb0ELb0EEvPKT_PKfPKi31ggml_cuda_mm_fusion_args_devicePfi15HIP_vector_typeIjLj3EEiiiSB_iiiSB_iiii.num_agpr, 0
	.set _ZL13mul_mat_vec_fI6__halfS0_Li7ELi96ELb0ELb0EEvPKT_PKfPKi31ggml_cuda_mm_fusion_args_devicePfi15HIP_vector_typeIjLj3EEiiiSB_iiiSB_iiii.numbered_sgpr, 36
	.set _ZL13mul_mat_vec_fI6__halfS0_Li7ELi96ELb0ELb0EEvPKT_PKfPKi31ggml_cuda_mm_fusion_args_devicePfi15HIP_vector_typeIjLj3EEiiiSB_iiiSB_iiii.num_named_barrier, 0
	.set _ZL13mul_mat_vec_fI6__halfS0_Li7ELi96ELb0ELb0EEvPKT_PKfPKi31ggml_cuda_mm_fusion_args_devicePfi15HIP_vector_typeIjLj3EEiiiSB_iiiSB_iiii.private_seg_size, 0
	.set _ZL13mul_mat_vec_fI6__halfS0_Li7ELi96ELb0ELb0EEvPKT_PKfPKi31ggml_cuda_mm_fusion_args_devicePfi15HIP_vector_typeIjLj3EEiiiSB_iiiSB_iiii.uses_vcc, 1
	.set _ZL13mul_mat_vec_fI6__halfS0_Li7ELi96ELb0ELb0EEvPKT_PKfPKi31ggml_cuda_mm_fusion_args_devicePfi15HIP_vector_typeIjLj3EEiiiSB_iiiSB_iiii.uses_flat_scratch, 0
	.set _ZL13mul_mat_vec_fI6__halfS0_Li7ELi96ELb0ELb0EEvPKT_PKfPKi31ggml_cuda_mm_fusion_args_devicePfi15HIP_vector_typeIjLj3EEiiiSB_iiiSB_iiii.has_dyn_sized_stack, 0
	.set _ZL13mul_mat_vec_fI6__halfS0_Li7ELi96ELb0ELb0EEvPKT_PKfPKi31ggml_cuda_mm_fusion_args_devicePfi15HIP_vector_typeIjLj3EEiiiSB_iiiSB_iiii.has_recursion, 0
	.set _ZL13mul_mat_vec_fI6__halfS0_Li7ELi96ELb0ELb0EEvPKT_PKfPKi31ggml_cuda_mm_fusion_args_devicePfi15HIP_vector_typeIjLj3EEiiiSB_iiiSB_iiii.has_indirect_call, 0
	.section	.AMDGPU.csdata,"",@progbits
; Kernel info:
; codeLenInByte = 3000
; TotalNumSgprs: 38
; NumVgprs: 29
; ScratchSize: 0
; MemoryBound: 0
; FloatMode: 240
; IeeeMode: 1
; LDSByteSize: 0 bytes/workgroup (compile time only)
; SGPRBlocks: 0
; VGPRBlocks: 3
; NumSGPRsForWavesPerEU: 38
; NumVGPRsForWavesPerEU: 29
; Occupancy: 16
; WaveLimiterHint : 0
; COMPUTE_PGM_RSRC2:SCRATCH_EN: 0
; COMPUTE_PGM_RSRC2:USER_SGPR: 6
; COMPUTE_PGM_RSRC2:TRAP_HANDLER: 0
; COMPUTE_PGM_RSRC2:TGID_X_EN: 1
; COMPUTE_PGM_RSRC2:TGID_Y_EN: 1
; COMPUTE_PGM_RSRC2:TGID_Z_EN: 1
; COMPUTE_PGM_RSRC2:TIDIG_COMP_CNT: 0
	.section	.text._ZL13mul_mat_vec_fI6__halfS0_Li7ELi128ELb0ELb0EEvPKT_PKfPKi31ggml_cuda_mm_fusion_args_devicePfi15HIP_vector_typeIjLj3EEiiiSB_iiiSB_iiii,"axG",@progbits,_ZL13mul_mat_vec_fI6__halfS0_Li7ELi128ELb0ELb0EEvPKT_PKfPKi31ggml_cuda_mm_fusion_args_devicePfi15HIP_vector_typeIjLj3EEiiiSB_iiiSB_iiii,comdat
	.globl	_ZL13mul_mat_vec_fI6__halfS0_Li7ELi128ELb0ELb0EEvPKT_PKfPKi31ggml_cuda_mm_fusion_args_devicePfi15HIP_vector_typeIjLj3EEiiiSB_iiiSB_iiii ; -- Begin function _ZL13mul_mat_vec_fI6__halfS0_Li7ELi128ELb0ELb0EEvPKT_PKfPKi31ggml_cuda_mm_fusion_args_devicePfi15HIP_vector_typeIjLj3EEiiiSB_iiiSB_iiii
	.p2align	8
	.type	_ZL13mul_mat_vec_fI6__halfS0_Li7ELi128ELb0ELb0EEvPKT_PKfPKi31ggml_cuda_mm_fusion_args_devicePfi15HIP_vector_typeIjLj3EEiiiSB_iiiSB_iiii,@function
_ZL13mul_mat_vec_fI6__halfS0_Li7ELi128ELb0ELb0EEvPKT_PKfPKi31ggml_cuda_mm_fusion_args_devicePfi15HIP_vector_typeIjLj3EEiiiSB_iiiSB_iiii: ; @_ZL13mul_mat_vec_fI6__halfS0_Li7ELi128ELb0ELb0EEvPKT_PKfPKi31ggml_cuda_mm_fusion_args_devicePfi15HIP_vector_typeIjLj3EEiiiSB_iiiSB_iiii
; %bb.0:
	s_clause 0x2
	s_load_dwordx2 s[0:1], s[4:5], 0x10
	s_load_dwordx8 s[12:19], s[4:5], 0x40
	s_load_dwordx4 s[20:23], s[4:5], 0x80
	s_waitcnt lgkmcnt(0)
	s_cmp_eq_u64 s[0:1], 0
	s_cselect_b32 s10, -1, 0
	s_cmp_lg_u64 s[0:1], 0
	s_cselect_b32 s11, -1, 0
	s_and_b32 vcc_lo, exec_lo, s10
	s_cbranch_vccnz .LBB163_2
; %bb.1:
	s_mul_i32 s2, s23, s8
	s_mov_b32 s3, 0
	s_add_i32 s2, s2, s7
	s_lshl_b64 s[24:25], s[2:3], 2
	s_add_u32 s0, s0, s24
	s_addc_u32 s1, s1, s25
	s_load_dword s9, s[0:1], 0x0
	s_cbranch_execz .LBB163_3
	s_branch .LBB163_4
.LBB163_2:
                                        ; implicit-def: $sgpr9
.LBB163_3:
	s_load_dwordx2 s[0:1], s[4:5], 0x5c
	s_waitcnt lgkmcnt(0)
	s_mul_hi_u32 s0, s0, s7
	s_add_i32 s0, s7, s0
	s_lshr_b32 s9, s0, s1
.LBB163_4:
	s_load_dwordx4 s[24:27], s[4:5], 0x68
	s_andn2_b32 vcc_lo, exec_lo, s11
	s_mov_b32 s19, s7
	s_cbranch_vccnz .LBB163_6
; %bb.5:
	s_mul_hi_u32 s0, s13, s7
	s_add_i32 s0, s7, s0
	s_lshr_b32 s0, s0, s14
	s_mul_i32 s0, s0, s15
	s_sub_i32 s19, s7, s0
.LBB163_6:
	s_load_dword s14, s[4:5], 0x78
	v_cmp_gt_u32_e32 vcc_lo, 32, v0
	v_lshl_add_u32 v5, v0, 2, 0
	s_and_saveexec_b32 s0, vcc_lo
; %bb.7:
	v_mov_b32_e32 v1, 0
	ds_write_b32 v5, v1
; %bb.8:
	s_or_b32 exec_lo, exec_lo, s0
	v_mov_b32_e32 v10, 0
	v_mov_b32_e32 v13, 0
	;; [unrolled: 1-line block ×7, first 2 shown]
	s_and_b32 s0, exec_lo, s10
	s_cselect_b32 s10, s8, 0
	s_mov_b32 s11, exec_lo
	s_waitcnt lgkmcnt(0)
	s_barrier
	buffer_gl0_inv
	v_cmpx_gt_i32_e64 s12, v0
	s_cbranch_execz .LBB163_12
; %bb.9:
	s_load_dwordx4 s[0:3], s[4:5], 0x0
	s_mul_hi_u32 s15, s27, s10
	s_mul_hi_i32 s29, s21, s10
	s_mul_i32 s28, s21, s10
	s_mul_i32 s8, s9, s24
	;; [unrolled: 1-line block ×4, first 2 shown]
	s_add_i32 s15, s10, s15
	s_lshl_b64 s[28:29], s[28:29], 2
	s_ashr_i32 s9, s8, 31
	s_ashr_i32 s25, s24, 31
	;; [unrolled: 1-line block ×3, first 2 shown]
	s_lshr_b32 s14, s15, s14
	s_mov_b32 s34, s17
	s_mul_hi_i32 s21, s14, s20
	s_mul_i32 s20, s14, s20
	v_lshlrev_b32_e32 v2, 3, v0
	v_lshlrev_b32_e32 v1, 2, v0
	v_mov_b32_e32 v6, 0
	v_mov_b32_e32 v7, 0
	s_waitcnt lgkmcnt(0)
	s_add_u32 s15, s2, s28
	s_addc_u32 s16, s3, s29
	s_lshl_b64 s[30:31], s[30:31], 2
	v_mov_b32_e32 v8, 0
	s_add_u32 s14, s15, s30
	s_addc_u32 s15, s16, s31
	s_lshl_b64 s[8:9], s[8:9], 1
	s_ashr_i32 s35, s17, 31
	s_add_i32 s16, s17, s17
	s_lshl_b32 s19, s17, 2
	s_lshl_b64 s[20:21], s[20:21], 1
	s_lshl_b64 s[24:25], s[24:25], 1
	s_add_u32 s0, s0, s8
	s_addc_u32 s1, s1, s9
	s_add_u32 s0, s0, s24
	s_addc_u32 s1, s1, s25
	;; [unrolled: 2-line block ×3, first 2 shown]
	s_lshl_b64 s[8:9], s[34:35], 3
	s_add_u32 s2, s2, s30
	s_addc_u32 s3, s3, s31
	s_add_u32 s2, s2, s28
	s_addc_u32 s3, s3, s29
	v_add_co_u32 v3, s2, s2, v2
	v_add_co_ci_u32_e64 v4, null, s3, 0, s2
	v_add_co_u32 v1, s0, s0, v1
	v_add_co_ci_u32_e64 v2, null, s1, 0, s0
	;; [unrolled: 2-line block ×3, first 2 shown]
	v_mov_b32_e32 v9, 0
	v_mov_b32_e32 v12, 0
	;; [unrolled: 1-line block ×5, first 2 shown]
	s_mul_i32 s13, s17, 3
	s_mul_i32 s1, s17, 5
	;; [unrolled: 1-line block ×3, first 2 shown]
	s_mov_b32 s2, 0
.LBB163_10:                             ; =>This Inner Loop Header: Depth=1
	v_add_nc_u32_e32 v18, s16, v11
	v_add_nc_u32_e32 v20, s13, v11
	;; [unrolled: 1-line block ×5, first 2 shown]
	v_ashrrev_i32_e32 v19, 31, v18
	v_ashrrev_i32_e32 v21, 31, v20
	;; [unrolled: 1-line block ×3, first 2 shown]
	v_add_co_u32 v16, s0, v3, s8
	v_lshlrev_b64 v[18:19], 3, v[18:19]
	v_ashrrev_i32_e32 v25, 31, v24
	v_add_co_ci_u32_e64 v17, null, s9, v4, s0
	v_lshlrev_b64 v[20:21], 3, v[20:21]
	v_ashrrev_i32_e32 v27, 31, v26
	v_lshlrev_b64 v[22:23], 3, v[22:23]
	v_lshlrev_b64 v[24:25], 3, v[24:25]
	v_add_co_u32 v18, s0, s14, v18
	s_clause 0x1
	global_load_dwordx2 v[14:15], v[3:4], off offset:-4
	global_load_dwordx2 v[16:17], v[16:17], off offset:-4
	v_lshlrev_b64 v[26:27], 3, v[26:27]
	v_add_co_ci_u32_e64 v19, null, s15, v19, s0
	v_add_co_u32 v20, s0, s14, v20
	v_add_co_ci_u32_e64 v21, null, s15, v21, s0
	v_add_co_u32 v22, s0, s14, v22
	;; [unrolled: 2-line block ×4, first 2 shown]
	v_add_co_ci_u32_e64 v27, null, s15, v27, s0
	s_clause 0x4
	global_load_dwordx2 v[18:19], v[18:19], off
	global_load_dwordx2 v[20:21], v[20:21], off
	;; [unrolled: 1-line block ×5, first 2 shown]
	global_load_dword v28, v[1:2], off
	v_add_nc_u32_e32 v11, 0x80, v11
	v_add_co_u32 v1, s0, 0x200, v1
	v_add_co_ci_u32_e64 v2, null, 0, v2, s0
	v_add_co_u32 v3, s0, 0x400, v3
	v_add_co_ci_u32_e64 v4, null, 0, v4, s0
	v_cmp_le_i32_e64 s0, s12, v11
	s_or_b32 s2, s0, s2
	s_waitcnt vmcnt(7)
	v_cvt_f16_f32_e32 v14, v14
	v_cvt_f16_f32_e32 v15, v15
	s_waitcnt vmcnt(6)
	v_cvt_f16_f32_e32 v16, v16
	v_cvt_f16_f32_e32 v17, v17
	v_pack_b32_f16 v14, v14, v15
	v_pack_b32_f16 v15, v16, v17
	s_waitcnt vmcnt(4)
	v_cvt_f16_f32_e32 v16, v20
	v_cvt_f16_f32_e32 v17, v21
	s_waitcnt vmcnt(2)
	v_cvt_f16_f32_e32 v20, v24
	v_cvt_f16_f32_e32 v21, v25
	s_waitcnt vmcnt(0)
	v_pk_fma_f16 v10, v28, v14, v10
	v_pk_fma_f16 v13, v28, v15, v13
	v_cvt_f16_f32_e32 v14, v18
	v_cvt_f16_f32_e32 v15, v19
	;; [unrolled: 1-line block ×6, first 2 shown]
	v_pack_b32_f16 v14, v14, v15
	v_pack_b32_f16 v15, v16, v17
	;; [unrolled: 1-line block ×5, first 2 shown]
	v_pk_fma_f16 v12, v28, v14, v12
	v_pk_fma_f16 v9, v28, v15, v9
	;; [unrolled: 1-line block ×5, first 2 shown]
	s_andn2_b32 exec_lo, exec_lo, s2
	s_cbranch_execnz .LBB163_10
; %bb.11:
	s_or_b32 exec_lo, exec_lo, s2
.LBB163_12:
	s_or_b32 exec_lo, exec_lo, s11
	v_mbcnt_lo_u32_b32 v2, -1, 0
	v_cvt_f32_f16_e32 v3, v10
	v_cvt_f32_f16_sdwa v4, v10 dst_sel:DWORD dst_unused:UNUSED_PAD src0_sel:WORD_1
	v_cvt_f32_f16_e32 v17, v13
	v_cvt_f32_f16_sdwa v18, v13 dst_sel:DWORD dst_unused:UNUSED_PAD src0_sel:WORD_1
	v_xor_b32_e32 v1, 16, v2
	v_cvt_f32_f16_sdwa v16, v12 dst_sel:DWORD dst_unused:UNUSED_PAD src0_sel:WORD_1
	v_add_f32_e32 v4, v3, v4
	v_xor_b32_e32 v3, 8, v2
	v_cmp_gt_i32_e64 s0, 32, v1
	v_cndmask_b32_e64 v1, v2, v1, s0
	v_cmp_gt_i32_e64 s0, 32, v3
	v_lshlrev_b32_e32 v1, 2, v1
	v_cndmask_b32_e64 v3, v2, v3, s0
	ds_bpermute_b32 v10, v1, v4
	v_lshlrev_b32_e32 v3, 2, v3
	s_waitcnt lgkmcnt(0)
	v_add_f32_e32 v10, v4, v10
	v_xor_b32_e32 v4, 4, v2
	ds_bpermute_b32 v11, v3, v10
	v_cmp_gt_i32_e64 s0, 32, v4
	v_cndmask_b32_e64 v4, v2, v4, s0
	v_lshlrev_b32_e32 v4, 2, v4
	s_waitcnt lgkmcnt(0)
	v_add_f32_e32 v11, v10, v11
	v_xor_b32_e32 v10, 2, v2
	ds_bpermute_b32 v14, v4, v11
	v_cmp_gt_i32_e64 s0, 32, v10
	v_cndmask_b32_e64 v10, v2, v10, s0
	;; [unrolled: 7-line block ×3, first 2 shown]
	v_lshlrev_b32_e32 v11, 2, v2
	s_waitcnt lgkmcnt(0)
	v_add_f32_e32 v2, v14, v15
	v_lshrrev_b32_e32 v15, 3, v0
	ds_bpermute_b32 v14, v11, v2
	v_and_b32_e32 v15, 0x7c, v15
	v_add_nc_u32_e32 v13, 0, v15
	s_waitcnt lgkmcnt(0)
	v_add_f32_e32 v2, v2, v14
	v_cvt_f32_f16_e32 v14, v12
	v_add_f32_e32 v12, v17, v18
	ds_write_b32 v13, v2
	s_waitcnt lgkmcnt(0)
	s_barrier
	buffer_gl0_inv
	s_and_saveexec_b32 s0, vcc_lo
	s_cbranch_execz .LBB163_14
; %bb.13:
	ds_read_b32 v2, v5
	s_waitcnt lgkmcnt(0)
	ds_bpermute_b32 v15, v1, v2
	s_waitcnt lgkmcnt(0)
	v_add_f32_e32 v2, v2, v15
	ds_bpermute_b32 v15, v3, v2
	s_waitcnt lgkmcnt(0)
	v_add_f32_e32 v2, v2, v15
	ds_bpermute_b32 v15, v4, v2
	s_waitcnt lgkmcnt(0)
	v_add_f32_e32 v2, v2, v15
	ds_bpermute_b32 v15, v10, v2
	s_waitcnt lgkmcnt(0)
	v_add_f32_e32 v2, v2, v15
	ds_bpermute_b32 v15, v11, v2
	s_waitcnt lgkmcnt(0)
	v_add_f32_e32 v2, v2, v15
.LBB163_14:
	s_or_b32 exec_lo, exec_lo, s0
	ds_bpermute_b32 v15, v1, v12
	v_add_f32_e32 v14, v14, v16
	s_waitcnt lgkmcnt(0)
	s_barrier
	buffer_gl0_inv
	v_add_f32_e32 v12, v12, v15
	ds_bpermute_b32 v15, v3, v12
	s_waitcnt lgkmcnt(0)
	v_add_f32_e32 v12, v12, v15
	ds_bpermute_b32 v15, v4, v12
	s_waitcnt lgkmcnt(0)
	v_add_f32_e32 v12, v12, v15
	ds_bpermute_b32 v15, v10, v12
	s_waitcnt lgkmcnt(0)
	v_add_f32_e32 v17, v12, v15
	v_cvt_f32_f16_e32 v12, v9
	v_cvt_f32_f16_sdwa v15, v9 dst_sel:DWORD dst_unused:UNUSED_PAD src0_sel:WORD_1
	ds_bpermute_b32 v18, v11, v17
	s_waitcnt lgkmcnt(0)
	v_add_f32_e32 v9, v17, v18
	ds_write_b32 v13, v9
	s_waitcnt lgkmcnt(0)
	s_barrier
	buffer_gl0_inv
	s_and_saveexec_b32 s0, vcc_lo
	s_cbranch_execz .LBB163_16
; %bb.15:
	ds_read_b32 v9, v5
	s_waitcnt lgkmcnt(0)
	ds_bpermute_b32 v16, v1, v9
	s_waitcnt lgkmcnt(0)
	v_add_f32_e32 v9, v9, v16
	ds_bpermute_b32 v16, v3, v9
	s_waitcnt lgkmcnt(0)
	v_add_f32_e32 v9, v9, v16
	ds_bpermute_b32 v16, v4, v9
	s_waitcnt lgkmcnt(0)
	v_add_f32_e32 v9, v9, v16
	ds_bpermute_b32 v16, v10, v9
	s_waitcnt lgkmcnt(0)
	v_add_f32_e32 v9, v9, v16
	ds_bpermute_b32 v16, v11, v9
	s_waitcnt lgkmcnt(0)
	v_add_f32_e32 v9, v9, v16
.LBB163_16:
	s_or_b32 exec_lo, exec_lo, s0
	ds_bpermute_b32 v16, v1, v14
	v_add_f32_e32 v12, v12, v15
	s_waitcnt lgkmcnt(0)
	s_barrier
	buffer_gl0_inv
	v_add_f32_e32 v14, v14, v16
	ds_bpermute_b32 v16, v3, v14
	s_waitcnt lgkmcnt(0)
	v_add_f32_e32 v14, v14, v16
	ds_bpermute_b32 v16, v4, v14
	s_waitcnt lgkmcnt(0)
	v_add_f32_e32 v14, v14, v16
	ds_bpermute_b32 v16, v10, v14
	s_waitcnt lgkmcnt(0)
	v_add_f32_e32 v17, v14, v16
	v_cvt_f32_f16_e32 v14, v8
	v_cvt_f32_f16_sdwa v16, v8 dst_sel:DWORD dst_unused:UNUSED_PAD src0_sel:WORD_1
	ds_bpermute_b32 v18, v11, v17
	s_waitcnt lgkmcnt(0)
	;; [unrolled: 46-line block ×4, first 2 shown]
	v_add_f32_e32 v6, v17, v18
	ds_write_b32 v13, v6
	s_waitcnt lgkmcnt(0)
	s_barrier
	buffer_gl0_inv
	s_and_saveexec_b32 s0, vcc_lo
	s_cbranch_execz .LBB163_22
; %bb.21:
	ds_read_b32 v6, v5
	s_waitcnt lgkmcnt(0)
	ds_bpermute_b32 v15, v1, v6
	s_waitcnt lgkmcnt(0)
	v_add_f32_e32 v6, v6, v15
	ds_bpermute_b32 v15, v3, v6
	s_waitcnt lgkmcnt(0)
	v_add_f32_e32 v6, v6, v15
	;; [unrolled: 3-line block ×5, first 2 shown]
.LBB163_22:
	s_or_b32 exec_lo, exec_lo, s0
	ds_bpermute_b32 v15, v1, v12
	v_add_f32_e32 v14, v14, v16
	s_waitcnt lgkmcnt(0)
	s_barrier
	buffer_gl0_inv
	v_add_f32_e32 v12, v12, v15
	ds_bpermute_b32 v15, v3, v12
	s_waitcnt lgkmcnt(0)
	v_add_f32_e32 v12, v12, v15
	ds_bpermute_b32 v15, v4, v12
	s_waitcnt lgkmcnt(0)
	;; [unrolled: 3-line block ×4, first 2 shown]
	v_add_f32_e32 v12, v12, v15
	ds_write_b32 v13, v12
	s_waitcnt lgkmcnt(0)
	s_barrier
	buffer_gl0_inv
	s_and_saveexec_b32 s0, vcc_lo
	s_cbranch_execz .LBB163_24
; %bb.23:
	ds_read_b32 v12, v5
	s_waitcnt lgkmcnt(0)
	ds_bpermute_b32 v15, v1, v12
	s_waitcnt lgkmcnt(0)
	v_add_f32_e32 v12, v12, v15
	ds_bpermute_b32 v15, v3, v12
	s_waitcnt lgkmcnt(0)
	v_add_f32_e32 v12, v12, v15
	;; [unrolled: 3-line block ×5, first 2 shown]
.LBB163_24:
	s_or_b32 exec_lo, exec_lo, s0
	ds_bpermute_b32 v15, v1, v14
	s_waitcnt lgkmcnt(0)
	s_barrier
	buffer_gl0_inv
	v_add_f32_e32 v14, v14, v15
	ds_bpermute_b32 v15, v3, v14
	s_waitcnt lgkmcnt(0)
	v_add_f32_e32 v14, v14, v15
	ds_bpermute_b32 v15, v4, v14
	s_waitcnt lgkmcnt(0)
	;; [unrolled: 3-line block ×4, first 2 shown]
	v_add_f32_e32 v14, v14, v15
	ds_write_b32 v13, v14
	s_waitcnt lgkmcnt(0)
	s_barrier
	buffer_gl0_inv
	s_and_saveexec_b32 s0, vcc_lo
	s_cbranch_execz .LBB163_26
; %bb.25:
	ds_read_b32 v5, v5
	s_waitcnt lgkmcnt(0)
	ds_bpermute_b32 v1, v1, v5
	s_waitcnt lgkmcnt(0)
	v_add_f32_e32 v1, v5, v1
	ds_bpermute_b32 v3, v3, v1
	s_waitcnt lgkmcnt(0)
	v_add_f32_e32 v1, v1, v3
	ds_bpermute_b32 v3, v4, v1
	s_waitcnt lgkmcnt(0)
	v_add_f32_e32 v1, v1, v3
	ds_bpermute_b32 v3, v10, v1
	s_waitcnt lgkmcnt(0)
	v_add_f32_e32 v1, v1, v3
	ds_bpermute_b32 v3, v11, v1
	s_waitcnt lgkmcnt(0)
	v_add_f32_e32 v14, v1, v3
.LBB163_26:
	s_or_b32 exec_lo, exec_lo, s0
	s_barrier
	buffer_gl0_inv
	s_mov_b32 s0, exec_lo
	v_cmpx_gt_u32_e32 7, v0
	s_cbranch_execz .LBB163_28
; %bb.27:
	v_cmp_eq_u32_e32 vcc_lo, 1, v0
	s_load_dwordx2 s[0:1], s[4:5], 0x38
	s_mul_hi_i32 s3, s22, s10
	s_mul_i32 s2, s22, s10
	s_mul_i32 s4, s26, s7
	v_cndmask_b32_e32 v1, v2, v9, vcc_lo
	v_cmp_eq_u32_e32 vcc_lo, 2, v0
	s_lshl_b64 s[2:3], s[2:3], 2
	s_ashr_i32 s5, s4, 31
	v_cndmask_b32_e32 v3, v1, v8, vcc_lo
	v_cmp_eq_u32_e32 vcc_lo, 3, v0
	v_mad_u64_u32 v[1:2], null, s18, v0, s[6:7]
	v_cndmask_b32_e32 v2, v3, v7, vcc_lo
	v_cmp_eq_u32_e32 vcc_lo, 4, v0
	s_waitcnt lgkmcnt(0)
	s_add_u32 s2, s0, s2
	s_addc_u32 s3, s1, s3
	v_cndmask_b32_e32 v3, v2, v6, vcc_lo
	v_ashrrev_i32_e32 v2, 31, v1
	v_cmp_eq_u32_e32 vcc_lo, 5, v0
	s_lshl_b64 s[0:1], s[4:5], 2
	s_add_u32 s0, s2, s0
	v_lshlrev_b64 v[1:2], 2, v[1:2]
	v_cndmask_b32_e32 v3, v3, v12, vcc_lo
	v_cmp_eq_u32_e32 vcc_lo, 6, v0
	s_addc_u32 s1, s3, s1
	v_cndmask_b32_e32 v3, v3, v14, vcc_lo
	v_add_co_u32 v0, vcc_lo, s0, v1
	v_add_co_ci_u32_e64 v1, null, s1, v2, vcc_lo
	global_store_dword v[0:1], v3, off
.LBB163_28:
	s_endpgm
	.section	.rodata,"a",@progbits
	.p2align	6, 0x0
	.amdhsa_kernel _ZL13mul_mat_vec_fI6__halfS0_Li7ELi128ELb0ELb0EEvPKT_PKfPKi31ggml_cuda_mm_fusion_args_devicePfi15HIP_vector_typeIjLj3EEiiiSB_iiiSB_iiii
		.amdhsa_group_segment_fixed_size 0
		.amdhsa_private_segment_fixed_size 0
		.amdhsa_kernarg_size 144
		.amdhsa_user_sgpr_count 6
		.amdhsa_user_sgpr_private_segment_buffer 1
		.amdhsa_user_sgpr_dispatch_ptr 0
		.amdhsa_user_sgpr_queue_ptr 0
		.amdhsa_user_sgpr_kernarg_segment_ptr 1
		.amdhsa_user_sgpr_dispatch_id 0
		.amdhsa_user_sgpr_flat_scratch_init 0
		.amdhsa_user_sgpr_private_segment_size 0
		.amdhsa_wavefront_size32 1
		.amdhsa_uses_dynamic_stack 0
		.amdhsa_system_sgpr_private_segment_wavefront_offset 0
		.amdhsa_system_sgpr_workgroup_id_x 1
		.amdhsa_system_sgpr_workgroup_id_y 1
		.amdhsa_system_sgpr_workgroup_id_z 1
		.amdhsa_system_sgpr_workgroup_info 0
		.amdhsa_system_vgpr_workitem_id 0
		.amdhsa_next_free_vgpr 29
		.amdhsa_next_free_sgpr 36
		.amdhsa_reserve_vcc 1
		.amdhsa_reserve_flat_scratch 0
		.amdhsa_float_round_mode_32 0
		.amdhsa_float_round_mode_16_64 0
		.amdhsa_float_denorm_mode_32 3
		.amdhsa_float_denorm_mode_16_64 3
		.amdhsa_dx10_clamp 1
		.amdhsa_ieee_mode 1
		.amdhsa_fp16_overflow 0
		.amdhsa_workgroup_processor_mode 1
		.amdhsa_memory_ordered 1
		.amdhsa_forward_progress 1
		.amdhsa_shared_vgpr_count 0
		.amdhsa_exception_fp_ieee_invalid_op 0
		.amdhsa_exception_fp_denorm_src 0
		.amdhsa_exception_fp_ieee_div_zero 0
		.amdhsa_exception_fp_ieee_overflow 0
		.amdhsa_exception_fp_ieee_underflow 0
		.amdhsa_exception_fp_ieee_inexact 0
		.amdhsa_exception_int_div_zero 0
	.end_amdhsa_kernel
	.section	.text._ZL13mul_mat_vec_fI6__halfS0_Li7ELi128ELb0ELb0EEvPKT_PKfPKi31ggml_cuda_mm_fusion_args_devicePfi15HIP_vector_typeIjLj3EEiiiSB_iiiSB_iiii,"axG",@progbits,_ZL13mul_mat_vec_fI6__halfS0_Li7ELi128ELb0ELb0EEvPKT_PKfPKi31ggml_cuda_mm_fusion_args_devicePfi15HIP_vector_typeIjLj3EEiiiSB_iiiSB_iiii,comdat
.Lfunc_end163:
	.size	_ZL13mul_mat_vec_fI6__halfS0_Li7ELi128ELb0ELb0EEvPKT_PKfPKi31ggml_cuda_mm_fusion_args_devicePfi15HIP_vector_typeIjLj3EEiiiSB_iiiSB_iiii, .Lfunc_end163-_ZL13mul_mat_vec_fI6__halfS0_Li7ELi128ELb0ELb0EEvPKT_PKfPKi31ggml_cuda_mm_fusion_args_devicePfi15HIP_vector_typeIjLj3EEiiiSB_iiiSB_iiii
                                        ; -- End function
	.set _ZL13mul_mat_vec_fI6__halfS0_Li7ELi128ELb0ELb0EEvPKT_PKfPKi31ggml_cuda_mm_fusion_args_devicePfi15HIP_vector_typeIjLj3EEiiiSB_iiiSB_iiii.num_vgpr, 29
	.set _ZL13mul_mat_vec_fI6__halfS0_Li7ELi128ELb0ELb0EEvPKT_PKfPKi31ggml_cuda_mm_fusion_args_devicePfi15HIP_vector_typeIjLj3EEiiiSB_iiiSB_iiii.num_agpr, 0
	.set _ZL13mul_mat_vec_fI6__halfS0_Li7ELi128ELb0ELb0EEvPKT_PKfPKi31ggml_cuda_mm_fusion_args_devicePfi15HIP_vector_typeIjLj3EEiiiSB_iiiSB_iiii.numbered_sgpr, 36
	.set _ZL13mul_mat_vec_fI6__halfS0_Li7ELi128ELb0ELb0EEvPKT_PKfPKi31ggml_cuda_mm_fusion_args_devicePfi15HIP_vector_typeIjLj3EEiiiSB_iiiSB_iiii.num_named_barrier, 0
	.set _ZL13mul_mat_vec_fI6__halfS0_Li7ELi128ELb0ELb0EEvPKT_PKfPKi31ggml_cuda_mm_fusion_args_devicePfi15HIP_vector_typeIjLj3EEiiiSB_iiiSB_iiii.private_seg_size, 0
	.set _ZL13mul_mat_vec_fI6__halfS0_Li7ELi128ELb0ELb0EEvPKT_PKfPKi31ggml_cuda_mm_fusion_args_devicePfi15HIP_vector_typeIjLj3EEiiiSB_iiiSB_iiii.uses_vcc, 1
	.set _ZL13mul_mat_vec_fI6__halfS0_Li7ELi128ELb0ELb0EEvPKT_PKfPKi31ggml_cuda_mm_fusion_args_devicePfi15HIP_vector_typeIjLj3EEiiiSB_iiiSB_iiii.uses_flat_scratch, 0
	.set _ZL13mul_mat_vec_fI6__halfS0_Li7ELi128ELb0ELb0EEvPKT_PKfPKi31ggml_cuda_mm_fusion_args_devicePfi15HIP_vector_typeIjLj3EEiiiSB_iiiSB_iiii.has_dyn_sized_stack, 0
	.set _ZL13mul_mat_vec_fI6__halfS0_Li7ELi128ELb0ELb0EEvPKT_PKfPKi31ggml_cuda_mm_fusion_args_devicePfi15HIP_vector_typeIjLj3EEiiiSB_iiiSB_iiii.has_recursion, 0
	.set _ZL13mul_mat_vec_fI6__halfS0_Li7ELi128ELb0ELb0EEvPKT_PKfPKi31ggml_cuda_mm_fusion_args_devicePfi15HIP_vector_typeIjLj3EEiiiSB_iiiSB_iiii.has_indirect_call, 0
	.section	.AMDGPU.csdata,"",@progbits
; Kernel info:
; codeLenInByte = 3000
; TotalNumSgprs: 38
; NumVgprs: 29
; ScratchSize: 0
; MemoryBound: 0
; FloatMode: 240
; IeeeMode: 1
; LDSByteSize: 0 bytes/workgroup (compile time only)
; SGPRBlocks: 0
; VGPRBlocks: 3
; NumSGPRsForWavesPerEU: 38
; NumVGPRsForWavesPerEU: 29
; Occupancy: 16
; WaveLimiterHint : 0
; COMPUTE_PGM_RSRC2:SCRATCH_EN: 0
; COMPUTE_PGM_RSRC2:USER_SGPR: 6
; COMPUTE_PGM_RSRC2:TRAP_HANDLER: 0
; COMPUTE_PGM_RSRC2:TGID_X_EN: 1
; COMPUTE_PGM_RSRC2:TGID_Y_EN: 1
; COMPUTE_PGM_RSRC2:TGID_Z_EN: 1
; COMPUTE_PGM_RSRC2:TIDIG_COMP_CNT: 0
	.section	.text._ZL13mul_mat_vec_fI6__halfS0_Li7ELi160ELb0ELb0EEvPKT_PKfPKi31ggml_cuda_mm_fusion_args_devicePfi15HIP_vector_typeIjLj3EEiiiSB_iiiSB_iiii,"axG",@progbits,_ZL13mul_mat_vec_fI6__halfS0_Li7ELi160ELb0ELb0EEvPKT_PKfPKi31ggml_cuda_mm_fusion_args_devicePfi15HIP_vector_typeIjLj3EEiiiSB_iiiSB_iiii,comdat
	.globl	_ZL13mul_mat_vec_fI6__halfS0_Li7ELi160ELb0ELb0EEvPKT_PKfPKi31ggml_cuda_mm_fusion_args_devicePfi15HIP_vector_typeIjLj3EEiiiSB_iiiSB_iiii ; -- Begin function _ZL13mul_mat_vec_fI6__halfS0_Li7ELi160ELb0ELb0EEvPKT_PKfPKi31ggml_cuda_mm_fusion_args_devicePfi15HIP_vector_typeIjLj3EEiiiSB_iiiSB_iiii
	.p2align	8
	.type	_ZL13mul_mat_vec_fI6__halfS0_Li7ELi160ELb0ELb0EEvPKT_PKfPKi31ggml_cuda_mm_fusion_args_devicePfi15HIP_vector_typeIjLj3EEiiiSB_iiiSB_iiii,@function
_ZL13mul_mat_vec_fI6__halfS0_Li7ELi160ELb0ELb0EEvPKT_PKfPKi31ggml_cuda_mm_fusion_args_devicePfi15HIP_vector_typeIjLj3EEiiiSB_iiiSB_iiii: ; @_ZL13mul_mat_vec_fI6__halfS0_Li7ELi160ELb0ELb0EEvPKT_PKfPKi31ggml_cuda_mm_fusion_args_devicePfi15HIP_vector_typeIjLj3EEiiiSB_iiiSB_iiii
; %bb.0:
	s_clause 0x2
	s_load_dwordx2 s[0:1], s[4:5], 0x10
	s_load_dwordx8 s[12:19], s[4:5], 0x40
	s_load_dwordx4 s[20:23], s[4:5], 0x80
	s_waitcnt lgkmcnt(0)
	s_cmp_eq_u64 s[0:1], 0
	s_cselect_b32 s10, -1, 0
	s_cmp_lg_u64 s[0:1], 0
	s_cselect_b32 s11, -1, 0
	s_and_b32 vcc_lo, exec_lo, s10
	s_cbranch_vccnz .LBB164_2
; %bb.1:
	s_mul_i32 s2, s23, s8
	s_mov_b32 s3, 0
	s_add_i32 s2, s2, s7
	s_lshl_b64 s[24:25], s[2:3], 2
	s_add_u32 s0, s0, s24
	s_addc_u32 s1, s1, s25
	s_load_dword s9, s[0:1], 0x0
	s_cbranch_execz .LBB164_3
	s_branch .LBB164_4
.LBB164_2:
                                        ; implicit-def: $sgpr9
.LBB164_3:
	s_load_dwordx2 s[0:1], s[4:5], 0x5c
	s_waitcnt lgkmcnt(0)
	s_mul_hi_u32 s0, s0, s7
	s_add_i32 s0, s7, s0
	s_lshr_b32 s9, s0, s1
.LBB164_4:
	s_load_dwordx4 s[24:27], s[4:5], 0x68
	s_andn2_b32 vcc_lo, exec_lo, s11
	s_mov_b32 s19, s7
	s_cbranch_vccnz .LBB164_6
; %bb.5:
	s_mul_hi_u32 s0, s13, s7
	s_add_i32 s0, s7, s0
	s_lshr_b32 s0, s0, s14
	s_mul_i32 s0, s0, s15
	s_sub_i32 s19, s7, s0
.LBB164_6:
	s_load_dword s14, s[4:5], 0x78
	v_cmp_gt_u32_e32 vcc_lo, 32, v0
	v_lshl_add_u32 v5, v0, 2, 0
	s_and_saveexec_b32 s0, vcc_lo
; %bb.7:
	v_mov_b32_e32 v1, 0
	ds_write_b32 v5, v1
; %bb.8:
	s_or_b32 exec_lo, exec_lo, s0
	v_mov_b32_e32 v10, 0
	v_mov_b32_e32 v13, 0
	;; [unrolled: 1-line block ×7, first 2 shown]
	s_and_b32 s0, exec_lo, s10
	s_cselect_b32 s10, s8, 0
	s_mov_b32 s11, exec_lo
	s_waitcnt lgkmcnt(0)
	s_barrier
	buffer_gl0_inv
	v_cmpx_gt_i32_e64 s12, v0
	s_cbranch_execz .LBB164_12
; %bb.9:
	s_load_dwordx4 s[0:3], s[4:5], 0x0
	s_mul_hi_u32 s15, s27, s10
	s_mul_hi_i32 s29, s21, s10
	s_mul_i32 s28, s21, s10
	s_mul_i32 s8, s9, s24
	;; [unrolled: 1-line block ×4, first 2 shown]
	s_add_i32 s15, s10, s15
	s_lshl_b64 s[28:29], s[28:29], 2
	s_ashr_i32 s9, s8, 31
	s_ashr_i32 s25, s24, 31
	;; [unrolled: 1-line block ×3, first 2 shown]
	s_lshr_b32 s14, s15, s14
	s_mov_b32 s34, s17
	s_mul_hi_i32 s21, s14, s20
	s_mul_i32 s20, s14, s20
	v_lshlrev_b32_e32 v2, 3, v0
	v_lshlrev_b32_e32 v1, 2, v0
	v_mov_b32_e32 v6, 0
	v_mov_b32_e32 v7, 0
	s_waitcnt lgkmcnt(0)
	s_add_u32 s15, s2, s28
	s_addc_u32 s16, s3, s29
	s_lshl_b64 s[30:31], s[30:31], 2
	v_mov_b32_e32 v8, 0
	s_add_u32 s14, s15, s30
	s_addc_u32 s15, s16, s31
	s_lshl_b64 s[8:9], s[8:9], 1
	s_ashr_i32 s35, s17, 31
	s_add_i32 s16, s17, s17
	s_lshl_b32 s19, s17, 2
	s_lshl_b64 s[20:21], s[20:21], 1
	s_lshl_b64 s[24:25], s[24:25], 1
	s_add_u32 s0, s0, s8
	s_addc_u32 s1, s1, s9
	s_add_u32 s0, s0, s24
	s_addc_u32 s1, s1, s25
	;; [unrolled: 2-line block ×3, first 2 shown]
	s_lshl_b64 s[8:9], s[34:35], 3
	s_add_u32 s2, s2, s30
	s_addc_u32 s3, s3, s31
	s_add_u32 s2, s2, s28
	s_addc_u32 s3, s3, s29
	v_add_co_u32 v3, s2, s2, v2
	v_add_co_ci_u32_e64 v4, null, s3, 0, s2
	v_add_co_u32 v1, s0, s0, v1
	v_add_co_ci_u32_e64 v2, null, s1, 0, s0
	;; [unrolled: 2-line block ×3, first 2 shown]
	v_mov_b32_e32 v9, 0
	v_mov_b32_e32 v12, 0
	;; [unrolled: 1-line block ×5, first 2 shown]
	s_mul_i32 s13, s17, 3
	s_mul_i32 s1, s17, 5
	;; [unrolled: 1-line block ×3, first 2 shown]
	s_mov_b32 s2, 0
.LBB164_10:                             ; =>This Inner Loop Header: Depth=1
	v_add_nc_u32_e32 v18, s16, v11
	v_add_nc_u32_e32 v20, s13, v11
	;; [unrolled: 1-line block ×5, first 2 shown]
	v_ashrrev_i32_e32 v19, 31, v18
	v_ashrrev_i32_e32 v21, 31, v20
	v_ashrrev_i32_e32 v23, 31, v22
	v_add_co_u32 v16, s0, v3, s8
	v_lshlrev_b64 v[18:19], 3, v[18:19]
	v_ashrrev_i32_e32 v25, 31, v24
	v_add_co_ci_u32_e64 v17, null, s9, v4, s0
	v_lshlrev_b64 v[20:21], 3, v[20:21]
	v_ashrrev_i32_e32 v27, 31, v26
	v_lshlrev_b64 v[22:23], 3, v[22:23]
	v_lshlrev_b64 v[24:25], 3, v[24:25]
	v_add_co_u32 v18, s0, s14, v18
	s_clause 0x1
	global_load_dwordx2 v[14:15], v[3:4], off offset:-4
	global_load_dwordx2 v[16:17], v[16:17], off offset:-4
	v_lshlrev_b64 v[26:27], 3, v[26:27]
	v_add_co_ci_u32_e64 v19, null, s15, v19, s0
	v_add_co_u32 v20, s0, s14, v20
	v_add_co_ci_u32_e64 v21, null, s15, v21, s0
	v_add_co_u32 v22, s0, s14, v22
	;; [unrolled: 2-line block ×4, first 2 shown]
	v_add_co_ci_u32_e64 v27, null, s15, v27, s0
	s_clause 0x4
	global_load_dwordx2 v[18:19], v[18:19], off
	global_load_dwordx2 v[20:21], v[20:21], off
	;; [unrolled: 1-line block ×5, first 2 shown]
	global_load_dword v28, v[1:2], off
	v_add_nc_u32_e32 v11, 0xa0, v11
	v_add_co_u32 v1, s0, 0x280, v1
	v_add_co_ci_u32_e64 v2, null, 0, v2, s0
	v_add_co_u32 v3, s0, 0x500, v3
	v_add_co_ci_u32_e64 v4, null, 0, v4, s0
	v_cmp_le_i32_e64 s0, s12, v11
	s_or_b32 s2, s0, s2
	s_waitcnt vmcnt(7)
	v_cvt_f16_f32_e32 v14, v14
	v_cvt_f16_f32_e32 v15, v15
	s_waitcnt vmcnt(6)
	v_cvt_f16_f32_e32 v16, v16
	v_cvt_f16_f32_e32 v17, v17
	v_pack_b32_f16 v14, v14, v15
	v_pack_b32_f16 v15, v16, v17
	s_waitcnt vmcnt(4)
	v_cvt_f16_f32_e32 v16, v20
	v_cvt_f16_f32_e32 v17, v21
	s_waitcnt vmcnt(2)
	v_cvt_f16_f32_e32 v20, v24
	v_cvt_f16_f32_e32 v21, v25
	s_waitcnt vmcnt(0)
	v_pk_fma_f16 v10, v28, v14, v10
	v_pk_fma_f16 v13, v28, v15, v13
	v_cvt_f16_f32_e32 v14, v18
	v_cvt_f16_f32_e32 v15, v19
	;; [unrolled: 1-line block ×6, first 2 shown]
	v_pack_b32_f16 v14, v14, v15
	v_pack_b32_f16 v15, v16, v17
	;; [unrolled: 1-line block ×5, first 2 shown]
	v_pk_fma_f16 v12, v28, v14, v12
	v_pk_fma_f16 v9, v28, v15, v9
	;; [unrolled: 1-line block ×5, first 2 shown]
	s_andn2_b32 exec_lo, exec_lo, s2
	s_cbranch_execnz .LBB164_10
; %bb.11:
	s_or_b32 exec_lo, exec_lo, s2
.LBB164_12:
	s_or_b32 exec_lo, exec_lo, s11
	v_mbcnt_lo_u32_b32 v2, -1, 0
	v_cvt_f32_f16_e32 v3, v10
	v_cvt_f32_f16_sdwa v4, v10 dst_sel:DWORD dst_unused:UNUSED_PAD src0_sel:WORD_1
	v_cvt_f32_f16_e32 v17, v13
	v_cvt_f32_f16_sdwa v18, v13 dst_sel:DWORD dst_unused:UNUSED_PAD src0_sel:WORD_1
	v_xor_b32_e32 v1, 16, v2
	v_cvt_f32_f16_sdwa v16, v12 dst_sel:DWORD dst_unused:UNUSED_PAD src0_sel:WORD_1
	v_add_f32_e32 v4, v3, v4
	v_xor_b32_e32 v3, 8, v2
	v_cmp_gt_i32_e64 s0, 32, v1
	v_cndmask_b32_e64 v1, v2, v1, s0
	v_cmp_gt_i32_e64 s0, 32, v3
	v_lshlrev_b32_e32 v1, 2, v1
	v_cndmask_b32_e64 v3, v2, v3, s0
	ds_bpermute_b32 v10, v1, v4
	v_lshlrev_b32_e32 v3, 2, v3
	s_waitcnt lgkmcnt(0)
	v_add_f32_e32 v10, v4, v10
	v_xor_b32_e32 v4, 4, v2
	ds_bpermute_b32 v11, v3, v10
	v_cmp_gt_i32_e64 s0, 32, v4
	v_cndmask_b32_e64 v4, v2, v4, s0
	v_lshlrev_b32_e32 v4, 2, v4
	s_waitcnt lgkmcnt(0)
	v_add_f32_e32 v11, v10, v11
	v_xor_b32_e32 v10, 2, v2
	ds_bpermute_b32 v14, v4, v11
	v_cmp_gt_i32_e64 s0, 32, v10
	v_cndmask_b32_e64 v10, v2, v10, s0
	;; [unrolled: 7-line block ×3, first 2 shown]
	v_lshlrev_b32_e32 v11, 2, v2
	s_waitcnt lgkmcnt(0)
	v_add_f32_e32 v2, v14, v15
	v_lshrrev_b32_e32 v15, 3, v0
	ds_bpermute_b32 v14, v11, v2
	v_and_b32_e32 v15, 0x7c, v15
	v_add_nc_u32_e32 v13, 0, v15
	s_waitcnt lgkmcnt(0)
	v_add_f32_e32 v2, v2, v14
	v_cvt_f32_f16_e32 v14, v12
	v_add_f32_e32 v12, v17, v18
	ds_write_b32 v13, v2
	s_waitcnt lgkmcnt(0)
	s_barrier
	buffer_gl0_inv
	s_and_saveexec_b32 s0, vcc_lo
	s_cbranch_execz .LBB164_14
; %bb.13:
	ds_read_b32 v2, v5
	s_waitcnt lgkmcnt(0)
	ds_bpermute_b32 v15, v1, v2
	s_waitcnt lgkmcnt(0)
	v_add_f32_e32 v2, v2, v15
	ds_bpermute_b32 v15, v3, v2
	s_waitcnt lgkmcnt(0)
	v_add_f32_e32 v2, v2, v15
	ds_bpermute_b32 v15, v4, v2
	s_waitcnt lgkmcnt(0)
	v_add_f32_e32 v2, v2, v15
	ds_bpermute_b32 v15, v10, v2
	s_waitcnt lgkmcnt(0)
	v_add_f32_e32 v2, v2, v15
	ds_bpermute_b32 v15, v11, v2
	s_waitcnt lgkmcnt(0)
	v_add_f32_e32 v2, v2, v15
.LBB164_14:
	s_or_b32 exec_lo, exec_lo, s0
	ds_bpermute_b32 v15, v1, v12
	v_add_f32_e32 v14, v14, v16
	s_waitcnt lgkmcnt(0)
	s_barrier
	buffer_gl0_inv
	v_add_f32_e32 v12, v12, v15
	ds_bpermute_b32 v15, v3, v12
	s_waitcnt lgkmcnt(0)
	v_add_f32_e32 v12, v12, v15
	ds_bpermute_b32 v15, v4, v12
	s_waitcnt lgkmcnt(0)
	v_add_f32_e32 v12, v12, v15
	ds_bpermute_b32 v15, v10, v12
	s_waitcnt lgkmcnt(0)
	v_add_f32_e32 v17, v12, v15
	v_cvt_f32_f16_e32 v12, v9
	v_cvt_f32_f16_sdwa v15, v9 dst_sel:DWORD dst_unused:UNUSED_PAD src0_sel:WORD_1
	ds_bpermute_b32 v18, v11, v17
	s_waitcnt lgkmcnt(0)
	v_add_f32_e32 v9, v17, v18
	ds_write_b32 v13, v9
	s_waitcnt lgkmcnt(0)
	s_barrier
	buffer_gl0_inv
	s_and_saveexec_b32 s0, vcc_lo
	s_cbranch_execz .LBB164_16
; %bb.15:
	ds_read_b32 v9, v5
	s_waitcnt lgkmcnt(0)
	ds_bpermute_b32 v16, v1, v9
	s_waitcnt lgkmcnt(0)
	v_add_f32_e32 v9, v9, v16
	ds_bpermute_b32 v16, v3, v9
	s_waitcnt lgkmcnt(0)
	v_add_f32_e32 v9, v9, v16
	ds_bpermute_b32 v16, v4, v9
	s_waitcnt lgkmcnt(0)
	v_add_f32_e32 v9, v9, v16
	ds_bpermute_b32 v16, v10, v9
	s_waitcnt lgkmcnt(0)
	v_add_f32_e32 v9, v9, v16
	ds_bpermute_b32 v16, v11, v9
	s_waitcnt lgkmcnt(0)
	v_add_f32_e32 v9, v9, v16
.LBB164_16:
	s_or_b32 exec_lo, exec_lo, s0
	ds_bpermute_b32 v16, v1, v14
	v_add_f32_e32 v12, v12, v15
	s_waitcnt lgkmcnt(0)
	s_barrier
	buffer_gl0_inv
	v_add_f32_e32 v14, v14, v16
	ds_bpermute_b32 v16, v3, v14
	s_waitcnt lgkmcnt(0)
	v_add_f32_e32 v14, v14, v16
	ds_bpermute_b32 v16, v4, v14
	s_waitcnt lgkmcnt(0)
	v_add_f32_e32 v14, v14, v16
	ds_bpermute_b32 v16, v10, v14
	s_waitcnt lgkmcnt(0)
	v_add_f32_e32 v17, v14, v16
	v_cvt_f32_f16_e32 v14, v8
	v_cvt_f32_f16_sdwa v16, v8 dst_sel:DWORD dst_unused:UNUSED_PAD src0_sel:WORD_1
	ds_bpermute_b32 v18, v11, v17
	s_waitcnt lgkmcnt(0)
	;; [unrolled: 46-line block ×4, first 2 shown]
	v_add_f32_e32 v6, v17, v18
	ds_write_b32 v13, v6
	s_waitcnt lgkmcnt(0)
	s_barrier
	buffer_gl0_inv
	s_and_saveexec_b32 s0, vcc_lo
	s_cbranch_execz .LBB164_22
; %bb.21:
	ds_read_b32 v6, v5
	s_waitcnt lgkmcnt(0)
	ds_bpermute_b32 v15, v1, v6
	s_waitcnt lgkmcnt(0)
	v_add_f32_e32 v6, v6, v15
	ds_bpermute_b32 v15, v3, v6
	s_waitcnt lgkmcnt(0)
	v_add_f32_e32 v6, v6, v15
	;; [unrolled: 3-line block ×5, first 2 shown]
.LBB164_22:
	s_or_b32 exec_lo, exec_lo, s0
	ds_bpermute_b32 v15, v1, v12
	v_add_f32_e32 v14, v14, v16
	s_waitcnt lgkmcnt(0)
	s_barrier
	buffer_gl0_inv
	v_add_f32_e32 v12, v12, v15
	ds_bpermute_b32 v15, v3, v12
	s_waitcnt lgkmcnt(0)
	v_add_f32_e32 v12, v12, v15
	ds_bpermute_b32 v15, v4, v12
	s_waitcnt lgkmcnt(0)
	;; [unrolled: 3-line block ×4, first 2 shown]
	v_add_f32_e32 v12, v12, v15
	ds_write_b32 v13, v12
	s_waitcnt lgkmcnt(0)
	s_barrier
	buffer_gl0_inv
	s_and_saveexec_b32 s0, vcc_lo
	s_cbranch_execz .LBB164_24
; %bb.23:
	ds_read_b32 v12, v5
	s_waitcnt lgkmcnt(0)
	ds_bpermute_b32 v15, v1, v12
	s_waitcnt lgkmcnt(0)
	v_add_f32_e32 v12, v12, v15
	ds_bpermute_b32 v15, v3, v12
	s_waitcnt lgkmcnt(0)
	v_add_f32_e32 v12, v12, v15
	;; [unrolled: 3-line block ×5, first 2 shown]
.LBB164_24:
	s_or_b32 exec_lo, exec_lo, s0
	ds_bpermute_b32 v15, v1, v14
	s_waitcnt lgkmcnt(0)
	s_barrier
	buffer_gl0_inv
	v_add_f32_e32 v14, v14, v15
	ds_bpermute_b32 v15, v3, v14
	s_waitcnt lgkmcnt(0)
	v_add_f32_e32 v14, v14, v15
	ds_bpermute_b32 v15, v4, v14
	s_waitcnt lgkmcnt(0)
	;; [unrolled: 3-line block ×4, first 2 shown]
	v_add_f32_e32 v14, v14, v15
	ds_write_b32 v13, v14
	s_waitcnt lgkmcnt(0)
	s_barrier
	buffer_gl0_inv
	s_and_saveexec_b32 s0, vcc_lo
	s_cbranch_execz .LBB164_26
; %bb.25:
	ds_read_b32 v5, v5
	s_waitcnt lgkmcnt(0)
	ds_bpermute_b32 v1, v1, v5
	s_waitcnt lgkmcnt(0)
	v_add_f32_e32 v1, v5, v1
	ds_bpermute_b32 v3, v3, v1
	s_waitcnt lgkmcnt(0)
	v_add_f32_e32 v1, v1, v3
	;; [unrolled: 3-line block ×5, first 2 shown]
.LBB164_26:
	s_or_b32 exec_lo, exec_lo, s0
	s_barrier
	buffer_gl0_inv
	s_mov_b32 s0, exec_lo
	v_cmpx_gt_u32_e32 7, v0
	s_cbranch_execz .LBB164_28
; %bb.27:
	v_cmp_eq_u32_e32 vcc_lo, 1, v0
	s_load_dwordx2 s[0:1], s[4:5], 0x38
	s_mul_hi_i32 s3, s22, s10
	s_mul_i32 s2, s22, s10
	s_mul_i32 s4, s26, s7
	v_cndmask_b32_e32 v1, v2, v9, vcc_lo
	v_cmp_eq_u32_e32 vcc_lo, 2, v0
	s_lshl_b64 s[2:3], s[2:3], 2
	s_ashr_i32 s5, s4, 31
	v_cndmask_b32_e32 v3, v1, v8, vcc_lo
	v_cmp_eq_u32_e32 vcc_lo, 3, v0
	v_mad_u64_u32 v[1:2], null, s18, v0, s[6:7]
	v_cndmask_b32_e32 v2, v3, v7, vcc_lo
	v_cmp_eq_u32_e32 vcc_lo, 4, v0
	s_waitcnt lgkmcnt(0)
	s_add_u32 s2, s0, s2
	s_addc_u32 s3, s1, s3
	v_cndmask_b32_e32 v3, v2, v6, vcc_lo
	v_ashrrev_i32_e32 v2, 31, v1
	v_cmp_eq_u32_e32 vcc_lo, 5, v0
	s_lshl_b64 s[0:1], s[4:5], 2
	s_add_u32 s0, s2, s0
	v_lshlrev_b64 v[1:2], 2, v[1:2]
	v_cndmask_b32_e32 v3, v3, v12, vcc_lo
	v_cmp_eq_u32_e32 vcc_lo, 6, v0
	s_addc_u32 s1, s3, s1
	v_cndmask_b32_e32 v3, v3, v14, vcc_lo
	v_add_co_u32 v0, vcc_lo, s0, v1
	v_add_co_ci_u32_e64 v1, null, s1, v2, vcc_lo
	global_store_dword v[0:1], v3, off
.LBB164_28:
	s_endpgm
	.section	.rodata,"a",@progbits
	.p2align	6, 0x0
	.amdhsa_kernel _ZL13mul_mat_vec_fI6__halfS0_Li7ELi160ELb0ELb0EEvPKT_PKfPKi31ggml_cuda_mm_fusion_args_devicePfi15HIP_vector_typeIjLj3EEiiiSB_iiiSB_iiii
		.amdhsa_group_segment_fixed_size 0
		.amdhsa_private_segment_fixed_size 0
		.amdhsa_kernarg_size 144
		.amdhsa_user_sgpr_count 6
		.amdhsa_user_sgpr_private_segment_buffer 1
		.amdhsa_user_sgpr_dispatch_ptr 0
		.amdhsa_user_sgpr_queue_ptr 0
		.amdhsa_user_sgpr_kernarg_segment_ptr 1
		.amdhsa_user_sgpr_dispatch_id 0
		.amdhsa_user_sgpr_flat_scratch_init 0
		.amdhsa_user_sgpr_private_segment_size 0
		.amdhsa_wavefront_size32 1
		.amdhsa_uses_dynamic_stack 0
		.amdhsa_system_sgpr_private_segment_wavefront_offset 0
		.amdhsa_system_sgpr_workgroup_id_x 1
		.amdhsa_system_sgpr_workgroup_id_y 1
		.amdhsa_system_sgpr_workgroup_id_z 1
		.amdhsa_system_sgpr_workgroup_info 0
		.amdhsa_system_vgpr_workitem_id 0
		.amdhsa_next_free_vgpr 29
		.amdhsa_next_free_sgpr 36
		.amdhsa_reserve_vcc 1
		.amdhsa_reserve_flat_scratch 0
		.amdhsa_float_round_mode_32 0
		.amdhsa_float_round_mode_16_64 0
		.amdhsa_float_denorm_mode_32 3
		.amdhsa_float_denorm_mode_16_64 3
		.amdhsa_dx10_clamp 1
		.amdhsa_ieee_mode 1
		.amdhsa_fp16_overflow 0
		.amdhsa_workgroup_processor_mode 1
		.amdhsa_memory_ordered 1
		.amdhsa_forward_progress 1
		.amdhsa_shared_vgpr_count 0
		.amdhsa_exception_fp_ieee_invalid_op 0
		.amdhsa_exception_fp_denorm_src 0
		.amdhsa_exception_fp_ieee_div_zero 0
		.amdhsa_exception_fp_ieee_overflow 0
		.amdhsa_exception_fp_ieee_underflow 0
		.amdhsa_exception_fp_ieee_inexact 0
		.amdhsa_exception_int_div_zero 0
	.end_amdhsa_kernel
	.section	.text._ZL13mul_mat_vec_fI6__halfS0_Li7ELi160ELb0ELb0EEvPKT_PKfPKi31ggml_cuda_mm_fusion_args_devicePfi15HIP_vector_typeIjLj3EEiiiSB_iiiSB_iiii,"axG",@progbits,_ZL13mul_mat_vec_fI6__halfS0_Li7ELi160ELb0ELb0EEvPKT_PKfPKi31ggml_cuda_mm_fusion_args_devicePfi15HIP_vector_typeIjLj3EEiiiSB_iiiSB_iiii,comdat
.Lfunc_end164:
	.size	_ZL13mul_mat_vec_fI6__halfS0_Li7ELi160ELb0ELb0EEvPKT_PKfPKi31ggml_cuda_mm_fusion_args_devicePfi15HIP_vector_typeIjLj3EEiiiSB_iiiSB_iiii, .Lfunc_end164-_ZL13mul_mat_vec_fI6__halfS0_Li7ELi160ELb0ELb0EEvPKT_PKfPKi31ggml_cuda_mm_fusion_args_devicePfi15HIP_vector_typeIjLj3EEiiiSB_iiiSB_iiii
                                        ; -- End function
	.set _ZL13mul_mat_vec_fI6__halfS0_Li7ELi160ELb0ELb0EEvPKT_PKfPKi31ggml_cuda_mm_fusion_args_devicePfi15HIP_vector_typeIjLj3EEiiiSB_iiiSB_iiii.num_vgpr, 29
	.set _ZL13mul_mat_vec_fI6__halfS0_Li7ELi160ELb0ELb0EEvPKT_PKfPKi31ggml_cuda_mm_fusion_args_devicePfi15HIP_vector_typeIjLj3EEiiiSB_iiiSB_iiii.num_agpr, 0
	.set _ZL13mul_mat_vec_fI6__halfS0_Li7ELi160ELb0ELb0EEvPKT_PKfPKi31ggml_cuda_mm_fusion_args_devicePfi15HIP_vector_typeIjLj3EEiiiSB_iiiSB_iiii.numbered_sgpr, 36
	.set _ZL13mul_mat_vec_fI6__halfS0_Li7ELi160ELb0ELb0EEvPKT_PKfPKi31ggml_cuda_mm_fusion_args_devicePfi15HIP_vector_typeIjLj3EEiiiSB_iiiSB_iiii.num_named_barrier, 0
	.set _ZL13mul_mat_vec_fI6__halfS0_Li7ELi160ELb0ELb0EEvPKT_PKfPKi31ggml_cuda_mm_fusion_args_devicePfi15HIP_vector_typeIjLj3EEiiiSB_iiiSB_iiii.private_seg_size, 0
	.set _ZL13mul_mat_vec_fI6__halfS0_Li7ELi160ELb0ELb0EEvPKT_PKfPKi31ggml_cuda_mm_fusion_args_devicePfi15HIP_vector_typeIjLj3EEiiiSB_iiiSB_iiii.uses_vcc, 1
	.set _ZL13mul_mat_vec_fI6__halfS0_Li7ELi160ELb0ELb0EEvPKT_PKfPKi31ggml_cuda_mm_fusion_args_devicePfi15HIP_vector_typeIjLj3EEiiiSB_iiiSB_iiii.uses_flat_scratch, 0
	.set _ZL13mul_mat_vec_fI6__halfS0_Li7ELi160ELb0ELb0EEvPKT_PKfPKi31ggml_cuda_mm_fusion_args_devicePfi15HIP_vector_typeIjLj3EEiiiSB_iiiSB_iiii.has_dyn_sized_stack, 0
	.set _ZL13mul_mat_vec_fI6__halfS0_Li7ELi160ELb0ELb0EEvPKT_PKfPKi31ggml_cuda_mm_fusion_args_devicePfi15HIP_vector_typeIjLj3EEiiiSB_iiiSB_iiii.has_recursion, 0
	.set _ZL13mul_mat_vec_fI6__halfS0_Li7ELi160ELb0ELb0EEvPKT_PKfPKi31ggml_cuda_mm_fusion_args_devicePfi15HIP_vector_typeIjLj3EEiiiSB_iiiSB_iiii.has_indirect_call, 0
	.section	.AMDGPU.csdata,"",@progbits
; Kernel info:
; codeLenInByte = 3000
; TotalNumSgprs: 38
; NumVgprs: 29
; ScratchSize: 0
; MemoryBound: 0
; FloatMode: 240
; IeeeMode: 1
; LDSByteSize: 0 bytes/workgroup (compile time only)
; SGPRBlocks: 0
; VGPRBlocks: 3
; NumSGPRsForWavesPerEU: 38
; NumVGPRsForWavesPerEU: 29
; Occupancy: 16
; WaveLimiterHint : 0
; COMPUTE_PGM_RSRC2:SCRATCH_EN: 0
; COMPUTE_PGM_RSRC2:USER_SGPR: 6
; COMPUTE_PGM_RSRC2:TRAP_HANDLER: 0
; COMPUTE_PGM_RSRC2:TGID_X_EN: 1
; COMPUTE_PGM_RSRC2:TGID_Y_EN: 1
; COMPUTE_PGM_RSRC2:TGID_Z_EN: 1
; COMPUTE_PGM_RSRC2:TIDIG_COMP_CNT: 0
	.section	.text._ZL13mul_mat_vec_fI6__halfS0_Li7ELi192ELb0ELb0EEvPKT_PKfPKi31ggml_cuda_mm_fusion_args_devicePfi15HIP_vector_typeIjLj3EEiiiSB_iiiSB_iiii,"axG",@progbits,_ZL13mul_mat_vec_fI6__halfS0_Li7ELi192ELb0ELb0EEvPKT_PKfPKi31ggml_cuda_mm_fusion_args_devicePfi15HIP_vector_typeIjLj3EEiiiSB_iiiSB_iiii,comdat
	.globl	_ZL13mul_mat_vec_fI6__halfS0_Li7ELi192ELb0ELb0EEvPKT_PKfPKi31ggml_cuda_mm_fusion_args_devicePfi15HIP_vector_typeIjLj3EEiiiSB_iiiSB_iiii ; -- Begin function _ZL13mul_mat_vec_fI6__halfS0_Li7ELi192ELb0ELb0EEvPKT_PKfPKi31ggml_cuda_mm_fusion_args_devicePfi15HIP_vector_typeIjLj3EEiiiSB_iiiSB_iiii
	.p2align	8
	.type	_ZL13mul_mat_vec_fI6__halfS0_Li7ELi192ELb0ELb0EEvPKT_PKfPKi31ggml_cuda_mm_fusion_args_devicePfi15HIP_vector_typeIjLj3EEiiiSB_iiiSB_iiii,@function
_ZL13mul_mat_vec_fI6__halfS0_Li7ELi192ELb0ELb0EEvPKT_PKfPKi31ggml_cuda_mm_fusion_args_devicePfi15HIP_vector_typeIjLj3EEiiiSB_iiiSB_iiii: ; @_ZL13mul_mat_vec_fI6__halfS0_Li7ELi192ELb0ELb0EEvPKT_PKfPKi31ggml_cuda_mm_fusion_args_devicePfi15HIP_vector_typeIjLj3EEiiiSB_iiiSB_iiii
; %bb.0:
	s_clause 0x2
	s_load_dwordx2 s[0:1], s[4:5], 0x10
	s_load_dwordx8 s[12:19], s[4:5], 0x40
	s_load_dwordx4 s[20:23], s[4:5], 0x80
	s_waitcnt lgkmcnt(0)
	s_cmp_eq_u64 s[0:1], 0
	s_cselect_b32 s10, -1, 0
	s_cmp_lg_u64 s[0:1], 0
	s_cselect_b32 s11, -1, 0
	s_and_b32 vcc_lo, exec_lo, s10
	s_cbranch_vccnz .LBB165_2
; %bb.1:
	s_mul_i32 s2, s23, s8
	s_mov_b32 s3, 0
	s_add_i32 s2, s2, s7
	s_lshl_b64 s[24:25], s[2:3], 2
	s_add_u32 s0, s0, s24
	s_addc_u32 s1, s1, s25
	s_load_dword s9, s[0:1], 0x0
	s_cbranch_execz .LBB165_3
	s_branch .LBB165_4
.LBB165_2:
                                        ; implicit-def: $sgpr9
.LBB165_3:
	s_load_dwordx2 s[0:1], s[4:5], 0x5c
	s_waitcnt lgkmcnt(0)
	s_mul_hi_u32 s0, s0, s7
	s_add_i32 s0, s7, s0
	s_lshr_b32 s9, s0, s1
.LBB165_4:
	s_load_dwordx4 s[24:27], s[4:5], 0x68
	s_andn2_b32 vcc_lo, exec_lo, s11
	s_mov_b32 s19, s7
	s_cbranch_vccnz .LBB165_6
; %bb.5:
	s_mul_hi_u32 s0, s13, s7
	s_add_i32 s0, s7, s0
	s_lshr_b32 s0, s0, s14
	s_mul_i32 s0, s0, s15
	s_sub_i32 s19, s7, s0
.LBB165_6:
	s_load_dword s14, s[4:5], 0x78
	v_cmp_gt_u32_e32 vcc_lo, 32, v0
	v_lshl_add_u32 v5, v0, 2, 0
	s_and_saveexec_b32 s0, vcc_lo
; %bb.7:
	v_mov_b32_e32 v1, 0
	ds_write_b32 v5, v1
; %bb.8:
	s_or_b32 exec_lo, exec_lo, s0
	v_mov_b32_e32 v10, 0
	v_mov_b32_e32 v13, 0
	;; [unrolled: 1-line block ×7, first 2 shown]
	s_and_b32 s0, exec_lo, s10
	s_cselect_b32 s10, s8, 0
	s_mov_b32 s11, exec_lo
	s_waitcnt lgkmcnt(0)
	s_barrier
	buffer_gl0_inv
	v_cmpx_gt_i32_e64 s12, v0
	s_cbranch_execz .LBB165_12
; %bb.9:
	s_load_dwordx4 s[0:3], s[4:5], 0x0
	s_mul_hi_u32 s15, s27, s10
	s_mul_hi_i32 s29, s21, s10
	s_mul_i32 s28, s21, s10
	s_mul_i32 s8, s9, s24
	s_mul_i32 s24, s16, s6
	s_mul_i32 s30, s19, s25
	s_add_i32 s15, s10, s15
	s_lshl_b64 s[28:29], s[28:29], 2
	s_ashr_i32 s9, s8, 31
	s_ashr_i32 s25, s24, 31
	;; [unrolled: 1-line block ×3, first 2 shown]
	s_lshr_b32 s14, s15, s14
	s_mov_b32 s34, s17
	s_mul_hi_i32 s21, s14, s20
	s_mul_i32 s20, s14, s20
	v_lshlrev_b32_e32 v2, 3, v0
	v_lshlrev_b32_e32 v1, 2, v0
	v_mov_b32_e32 v6, 0
	v_mov_b32_e32 v7, 0
	s_waitcnt lgkmcnt(0)
	s_add_u32 s15, s2, s28
	s_addc_u32 s16, s3, s29
	s_lshl_b64 s[30:31], s[30:31], 2
	v_mov_b32_e32 v8, 0
	s_add_u32 s14, s15, s30
	s_addc_u32 s15, s16, s31
	s_lshl_b64 s[8:9], s[8:9], 1
	s_ashr_i32 s35, s17, 31
	s_add_i32 s16, s17, s17
	s_lshl_b32 s19, s17, 2
	s_lshl_b64 s[20:21], s[20:21], 1
	s_lshl_b64 s[24:25], s[24:25], 1
	s_add_u32 s0, s0, s8
	s_addc_u32 s1, s1, s9
	s_add_u32 s0, s0, s24
	s_addc_u32 s1, s1, s25
	;; [unrolled: 2-line block ×3, first 2 shown]
	s_lshl_b64 s[8:9], s[34:35], 3
	s_add_u32 s2, s2, s30
	s_addc_u32 s3, s3, s31
	s_add_u32 s2, s2, s28
	s_addc_u32 s3, s3, s29
	v_add_co_u32 v3, s2, s2, v2
	v_add_co_ci_u32_e64 v4, null, s3, 0, s2
	v_add_co_u32 v1, s0, s0, v1
	v_add_co_ci_u32_e64 v2, null, s1, 0, s0
	;; [unrolled: 2-line block ×3, first 2 shown]
	v_mov_b32_e32 v9, 0
	v_mov_b32_e32 v12, 0
	;; [unrolled: 1-line block ×5, first 2 shown]
	s_mul_i32 s13, s17, 3
	s_mul_i32 s1, s17, 5
	;; [unrolled: 1-line block ×3, first 2 shown]
	s_mov_b32 s2, 0
.LBB165_10:                             ; =>This Inner Loop Header: Depth=1
	v_add_nc_u32_e32 v18, s16, v11
	v_add_nc_u32_e32 v20, s13, v11
	v_add_nc_u32_e32 v22, s19, v11
	v_add_nc_u32_e32 v24, s1, v11
	v_add_nc_u32_e32 v26, s3, v11
	v_ashrrev_i32_e32 v19, 31, v18
	v_ashrrev_i32_e32 v21, 31, v20
	;; [unrolled: 1-line block ×3, first 2 shown]
	v_add_co_u32 v16, s0, v3, s8
	v_lshlrev_b64 v[18:19], 3, v[18:19]
	v_ashrrev_i32_e32 v25, 31, v24
	v_add_co_ci_u32_e64 v17, null, s9, v4, s0
	v_lshlrev_b64 v[20:21], 3, v[20:21]
	v_ashrrev_i32_e32 v27, 31, v26
	v_lshlrev_b64 v[22:23], 3, v[22:23]
	v_lshlrev_b64 v[24:25], 3, v[24:25]
	v_add_co_u32 v18, s0, s14, v18
	s_clause 0x1
	global_load_dwordx2 v[14:15], v[3:4], off offset:-4
	global_load_dwordx2 v[16:17], v[16:17], off offset:-4
	v_lshlrev_b64 v[26:27], 3, v[26:27]
	v_add_co_ci_u32_e64 v19, null, s15, v19, s0
	v_add_co_u32 v20, s0, s14, v20
	v_add_co_ci_u32_e64 v21, null, s15, v21, s0
	v_add_co_u32 v22, s0, s14, v22
	;; [unrolled: 2-line block ×4, first 2 shown]
	v_add_co_ci_u32_e64 v27, null, s15, v27, s0
	s_clause 0x4
	global_load_dwordx2 v[18:19], v[18:19], off
	global_load_dwordx2 v[20:21], v[20:21], off
	;; [unrolled: 1-line block ×5, first 2 shown]
	global_load_dword v28, v[1:2], off
	v_add_nc_u32_e32 v11, 0xc0, v11
	v_add_co_u32 v1, s0, 0x300, v1
	v_add_co_ci_u32_e64 v2, null, 0, v2, s0
	v_add_co_u32 v3, s0, 0x600, v3
	v_add_co_ci_u32_e64 v4, null, 0, v4, s0
	v_cmp_le_i32_e64 s0, s12, v11
	s_or_b32 s2, s0, s2
	s_waitcnt vmcnt(7)
	v_cvt_f16_f32_e32 v14, v14
	v_cvt_f16_f32_e32 v15, v15
	s_waitcnt vmcnt(6)
	v_cvt_f16_f32_e32 v16, v16
	v_cvt_f16_f32_e32 v17, v17
	v_pack_b32_f16 v14, v14, v15
	v_pack_b32_f16 v15, v16, v17
	s_waitcnt vmcnt(4)
	v_cvt_f16_f32_e32 v16, v20
	v_cvt_f16_f32_e32 v17, v21
	s_waitcnt vmcnt(2)
	v_cvt_f16_f32_e32 v20, v24
	v_cvt_f16_f32_e32 v21, v25
	s_waitcnt vmcnt(0)
	v_pk_fma_f16 v10, v28, v14, v10
	v_pk_fma_f16 v13, v28, v15, v13
	v_cvt_f16_f32_e32 v14, v18
	v_cvt_f16_f32_e32 v15, v19
	;; [unrolled: 1-line block ×6, first 2 shown]
	v_pack_b32_f16 v14, v14, v15
	v_pack_b32_f16 v15, v16, v17
	;; [unrolled: 1-line block ×5, first 2 shown]
	v_pk_fma_f16 v12, v28, v14, v12
	v_pk_fma_f16 v9, v28, v15, v9
	;; [unrolled: 1-line block ×5, first 2 shown]
	s_andn2_b32 exec_lo, exec_lo, s2
	s_cbranch_execnz .LBB165_10
; %bb.11:
	s_or_b32 exec_lo, exec_lo, s2
.LBB165_12:
	s_or_b32 exec_lo, exec_lo, s11
	v_mbcnt_lo_u32_b32 v2, -1, 0
	v_cvt_f32_f16_e32 v3, v10
	v_cvt_f32_f16_sdwa v4, v10 dst_sel:DWORD dst_unused:UNUSED_PAD src0_sel:WORD_1
	v_cvt_f32_f16_e32 v17, v13
	v_cvt_f32_f16_sdwa v18, v13 dst_sel:DWORD dst_unused:UNUSED_PAD src0_sel:WORD_1
	v_xor_b32_e32 v1, 16, v2
	v_cvt_f32_f16_sdwa v16, v12 dst_sel:DWORD dst_unused:UNUSED_PAD src0_sel:WORD_1
	v_add_f32_e32 v4, v3, v4
	v_xor_b32_e32 v3, 8, v2
	v_cmp_gt_i32_e64 s0, 32, v1
	v_cndmask_b32_e64 v1, v2, v1, s0
	v_cmp_gt_i32_e64 s0, 32, v3
	v_lshlrev_b32_e32 v1, 2, v1
	v_cndmask_b32_e64 v3, v2, v3, s0
	ds_bpermute_b32 v10, v1, v4
	v_lshlrev_b32_e32 v3, 2, v3
	s_waitcnt lgkmcnt(0)
	v_add_f32_e32 v10, v4, v10
	v_xor_b32_e32 v4, 4, v2
	ds_bpermute_b32 v11, v3, v10
	v_cmp_gt_i32_e64 s0, 32, v4
	v_cndmask_b32_e64 v4, v2, v4, s0
	v_lshlrev_b32_e32 v4, 2, v4
	s_waitcnt lgkmcnt(0)
	v_add_f32_e32 v11, v10, v11
	v_xor_b32_e32 v10, 2, v2
	ds_bpermute_b32 v14, v4, v11
	v_cmp_gt_i32_e64 s0, 32, v10
	v_cndmask_b32_e64 v10, v2, v10, s0
	;; [unrolled: 7-line block ×3, first 2 shown]
	v_lshlrev_b32_e32 v11, 2, v2
	s_waitcnt lgkmcnt(0)
	v_add_f32_e32 v2, v14, v15
	v_lshrrev_b32_e32 v15, 3, v0
	ds_bpermute_b32 v14, v11, v2
	v_and_b32_e32 v15, 0x7c, v15
	v_add_nc_u32_e32 v13, 0, v15
	s_waitcnt lgkmcnt(0)
	v_add_f32_e32 v2, v2, v14
	v_cvt_f32_f16_e32 v14, v12
	v_add_f32_e32 v12, v17, v18
	ds_write_b32 v13, v2
	s_waitcnt lgkmcnt(0)
	s_barrier
	buffer_gl0_inv
	s_and_saveexec_b32 s0, vcc_lo
	s_cbranch_execz .LBB165_14
; %bb.13:
	ds_read_b32 v2, v5
	s_waitcnt lgkmcnt(0)
	ds_bpermute_b32 v15, v1, v2
	s_waitcnt lgkmcnt(0)
	v_add_f32_e32 v2, v2, v15
	ds_bpermute_b32 v15, v3, v2
	s_waitcnt lgkmcnt(0)
	v_add_f32_e32 v2, v2, v15
	ds_bpermute_b32 v15, v4, v2
	s_waitcnt lgkmcnt(0)
	v_add_f32_e32 v2, v2, v15
	ds_bpermute_b32 v15, v10, v2
	s_waitcnt lgkmcnt(0)
	v_add_f32_e32 v2, v2, v15
	ds_bpermute_b32 v15, v11, v2
	s_waitcnt lgkmcnt(0)
	v_add_f32_e32 v2, v2, v15
.LBB165_14:
	s_or_b32 exec_lo, exec_lo, s0
	ds_bpermute_b32 v15, v1, v12
	v_add_f32_e32 v14, v14, v16
	s_waitcnt lgkmcnt(0)
	s_barrier
	buffer_gl0_inv
	v_add_f32_e32 v12, v12, v15
	ds_bpermute_b32 v15, v3, v12
	s_waitcnt lgkmcnt(0)
	v_add_f32_e32 v12, v12, v15
	ds_bpermute_b32 v15, v4, v12
	s_waitcnt lgkmcnt(0)
	v_add_f32_e32 v12, v12, v15
	ds_bpermute_b32 v15, v10, v12
	s_waitcnt lgkmcnt(0)
	v_add_f32_e32 v17, v12, v15
	v_cvt_f32_f16_e32 v12, v9
	v_cvt_f32_f16_sdwa v15, v9 dst_sel:DWORD dst_unused:UNUSED_PAD src0_sel:WORD_1
	ds_bpermute_b32 v18, v11, v17
	s_waitcnt lgkmcnt(0)
	v_add_f32_e32 v9, v17, v18
	ds_write_b32 v13, v9
	s_waitcnt lgkmcnt(0)
	s_barrier
	buffer_gl0_inv
	s_and_saveexec_b32 s0, vcc_lo
	s_cbranch_execz .LBB165_16
; %bb.15:
	ds_read_b32 v9, v5
	s_waitcnt lgkmcnt(0)
	ds_bpermute_b32 v16, v1, v9
	s_waitcnt lgkmcnt(0)
	v_add_f32_e32 v9, v9, v16
	ds_bpermute_b32 v16, v3, v9
	s_waitcnt lgkmcnt(0)
	v_add_f32_e32 v9, v9, v16
	ds_bpermute_b32 v16, v4, v9
	s_waitcnt lgkmcnt(0)
	v_add_f32_e32 v9, v9, v16
	ds_bpermute_b32 v16, v10, v9
	s_waitcnt lgkmcnt(0)
	v_add_f32_e32 v9, v9, v16
	ds_bpermute_b32 v16, v11, v9
	s_waitcnt lgkmcnt(0)
	v_add_f32_e32 v9, v9, v16
.LBB165_16:
	s_or_b32 exec_lo, exec_lo, s0
	ds_bpermute_b32 v16, v1, v14
	v_add_f32_e32 v12, v12, v15
	s_waitcnt lgkmcnt(0)
	s_barrier
	buffer_gl0_inv
	v_add_f32_e32 v14, v14, v16
	ds_bpermute_b32 v16, v3, v14
	s_waitcnt lgkmcnt(0)
	v_add_f32_e32 v14, v14, v16
	ds_bpermute_b32 v16, v4, v14
	s_waitcnt lgkmcnt(0)
	v_add_f32_e32 v14, v14, v16
	ds_bpermute_b32 v16, v10, v14
	s_waitcnt lgkmcnt(0)
	v_add_f32_e32 v17, v14, v16
	v_cvt_f32_f16_e32 v14, v8
	v_cvt_f32_f16_sdwa v16, v8 dst_sel:DWORD dst_unused:UNUSED_PAD src0_sel:WORD_1
	ds_bpermute_b32 v18, v11, v17
	s_waitcnt lgkmcnt(0)
	;; [unrolled: 46-line block ×4, first 2 shown]
	v_add_f32_e32 v6, v17, v18
	ds_write_b32 v13, v6
	s_waitcnt lgkmcnt(0)
	s_barrier
	buffer_gl0_inv
	s_and_saveexec_b32 s0, vcc_lo
	s_cbranch_execz .LBB165_22
; %bb.21:
	ds_read_b32 v6, v5
	s_waitcnt lgkmcnt(0)
	ds_bpermute_b32 v15, v1, v6
	s_waitcnt lgkmcnt(0)
	v_add_f32_e32 v6, v6, v15
	ds_bpermute_b32 v15, v3, v6
	s_waitcnt lgkmcnt(0)
	v_add_f32_e32 v6, v6, v15
	;; [unrolled: 3-line block ×5, first 2 shown]
.LBB165_22:
	s_or_b32 exec_lo, exec_lo, s0
	ds_bpermute_b32 v15, v1, v12
	v_add_f32_e32 v14, v14, v16
	s_waitcnt lgkmcnt(0)
	s_barrier
	buffer_gl0_inv
	v_add_f32_e32 v12, v12, v15
	ds_bpermute_b32 v15, v3, v12
	s_waitcnt lgkmcnt(0)
	v_add_f32_e32 v12, v12, v15
	ds_bpermute_b32 v15, v4, v12
	s_waitcnt lgkmcnt(0)
	;; [unrolled: 3-line block ×4, first 2 shown]
	v_add_f32_e32 v12, v12, v15
	ds_write_b32 v13, v12
	s_waitcnt lgkmcnt(0)
	s_barrier
	buffer_gl0_inv
	s_and_saveexec_b32 s0, vcc_lo
	s_cbranch_execz .LBB165_24
; %bb.23:
	ds_read_b32 v12, v5
	s_waitcnt lgkmcnt(0)
	ds_bpermute_b32 v15, v1, v12
	s_waitcnt lgkmcnt(0)
	v_add_f32_e32 v12, v12, v15
	ds_bpermute_b32 v15, v3, v12
	s_waitcnt lgkmcnt(0)
	v_add_f32_e32 v12, v12, v15
	;; [unrolled: 3-line block ×5, first 2 shown]
.LBB165_24:
	s_or_b32 exec_lo, exec_lo, s0
	ds_bpermute_b32 v15, v1, v14
	s_waitcnt lgkmcnt(0)
	s_barrier
	buffer_gl0_inv
	v_add_f32_e32 v14, v14, v15
	ds_bpermute_b32 v15, v3, v14
	s_waitcnt lgkmcnt(0)
	v_add_f32_e32 v14, v14, v15
	ds_bpermute_b32 v15, v4, v14
	s_waitcnt lgkmcnt(0)
	;; [unrolled: 3-line block ×4, first 2 shown]
	v_add_f32_e32 v14, v14, v15
	ds_write_b32 v13, v14
	s_waitcnt lgkmcnt(0)
	s_barrier
	buffer_gl0_inv
	s_and_saveexec_b32 s0, vcc_lo
	s_cbranch_execz .LBB165_26
; %bb.25:
	ds_read_b32 v5, v5
	s_waitcnt lgkmcnt(0)
	ds_bpermute_b32 v1, v1, v5
	s_waitcnt lgkmcnt(0)
	v_add_f32_e32 v1, v5, v1
	ds_bpermute_b32 v3, v3, v1
	s_waitcnt lgkmcnt(0)
	v_add_f32_e32 v1, v1, v3
	;; [unrolled: 3-line block ×5, first 2 shown]
.LBB165_26:
	s_or_b32 exec_lo, exec_lo, s0
	s_barrier
	buffer_gl0_inv
	s_mov_b32 s0, exec_lo
	v_cmpx_gt_u32_e32 7, v0
	s_cbranch_execz .LBB165_28
; %bb.27:
	v_cmp_eq_u32_e32 vcc_lo, 1, v0
	s_load_dwordx2 s[0:1], s[4:5], 0x38
	s_mul_hi_i32 s3, s22, s10
	s_mul_i32 s2, s22, s10
	s_mul_i32 s4, s26, s7
	v_cndmask_b32_e32 v1, v2, v9, vcc_lo
	v_cmp_eq_u32_e32 vcc_lo, 2, v0
	s_lshl_b64 s[2:3], s[2:3], 2
	s_ashr_i32 s5, s4, 31
	v_cndmask_b32_e32 v3, v1, v8, vcc_lo
	v_cmp_eq_u32_e32 vcc_lo, 3, v0
	v_mad_u64_u32 v[1:2], null, s18, v0, s[6:7]
	v_cndmask_b32_e32 v2, v3, v7, vcc_lo
	v_cmp_eq_u32_e32 vcc_lo, 4, v0
	s_waitcnt lgkmcnt(0)
	s_add_u32 s2, s0, s2
	s_addc_u32 s3, s1, s3
	v_cndmask_b32_e32 v3, v2, v6, vcc_lo
	v_ashrrev_i32_e32 v2, 31, v1
	v_cmp_eq_u32_e32 vcc_lo, 5, v0
	s_lshl_b64 s[0:1], s[4:5], 2
	s_add_u32 s0, s2, s0
	v_lshlrev_b64 v[1:2], 2, v[1:2]
	v_cndmask_b32_e32 v3, v3, v12, vcc_lo
	v_cmp_eq_u32_e32 vcc_lo, 6, v0
	s_addc_u32 s1, s3, s1
	v_cndmask_b32_e32 v3, v3, v14, vcc_lo
	v_add_co_u32 v0, vcc_lo, s0, v1
	v_add_co_ci_u32_e64 v1, null, s1, v2, vcc_lo
	global_store_dword v[0:1], v3, off
.LBB165_28:
	s_endpgm
	.section	.rodata,"a",@progbits
	.p2align	6, 0x0
	.amdhsa_kernel _ZL13mul_mat_vec_fI6__halfS0_Li7ELi192ELb0ELb0EEvPKT_PKfPKi31ggml_cuda_mm_fusion_args_devicePfi15HIP_vector_typeIjLj3EEiiiSB_iiiSB_iiii
		.amdhsa_group_segment_fixed_size 0
		.amdhsa_private_segment_fixed_size 0
		.amdhsa_kernarg_size 144
		.amdhsa_user_sgpr_count 6
		.amdhsa_user_sgpr_private_segment_buffer 1
		.amdhsa_user_sgpr_dispatch_ptr 0
		.amdhsa_user_sgpr_queue_ptr 0
		.amdhsa_user_sgpr_kernarg_segment_ptr 1
		.amdhsa_user_sgpr_dispatch_id 0
		.amdhsa_user_sgpr_flat_scratch_init 0
		.amdhsa_user_sgpr_private_segment_size 0
		.amdhsa_wavefront_size32 1
		.amdhsa_uses_dynamic_stack 0
		.amdhsa_system_sgpr_private_segment_wavefront_offset 0
		.amdhsa_system_sgpr_workgroup_id_x 1
		.amdhsa_system_sgpr_workgroup_id_y 1
		.amdhsa_system_sgpr_workgroup_id_z 1
		.amdhsa_system_sgpr_workgroup_info 0
		.amdhsa_system_vgpr_workitem_id 0
		.amdhsa_next_free_vgpr 29
		.amdhsa_next_free_sgpr 36
		.amdhsa_reserve_vcc 1
		.amdhsa_reserve_flat_scratch 0
		.amdhsa_float_round_mode_32 0
		.amdhsa_float_round_mode_16_64 0
		.amdhsa_float_denorm_mode_32 3
		.amdhsa_float_denorm_mode_16_64 3
		.amdhsa_dx10_clamp 1
		.amdhsa_ieee_mode 1
		.amdhsa_fp16_overflow 0
		.amdhsa_workgroup_processor_mode 1
		.amdhsa_memory_ordered 1
		.amdhsa_forward_progress 1
		.amdhsa_shared_vgpr_count 0
		.amdhsa_exception_fp_ieee_invalid_op 0
		.amdhsa_exception_fp_denorm_src 0
		.amdhsa_exception_fp_ieee_div_zero 0
		.amdhsa_exception_fp_ieee_overflow 0
		.amdhsa_exception_fp_ieee_underflow 0
		.amdhsa_exception_fp_ieee_inexact 0
		.amdhsa_exception_int_div_zero 0
	.end_amdhsa_kernel
	.section	.text._ZL13mul_mat_vec_fI6__halfS0_Li7ELi192ELb0ELb0EEvPKT_PKfPKi31ggml_cuda_mm_fusion_args_devicePfi15HIP_vector_typeIjLj3EEiiiSB_iiiSB_iiii,"axG",@progbits,_ZL13mul_mat_vec_fI6__halfS0_Li7ELi192ELb0ELb0EEvPKT_PKfPKi31ggml_cuda_mm_fusion_args_devicePfi15HIP_vector_typeIjLj3EEiiiSB_iiiSB_iiii,comdat
.Lfunc_end165:
	.size	_ZL13mul_mat_vec_fI6__halfS0_Li7ELi192ELb0ELb0EEvPKT_PKfPKi31ggml_cuda_mm_fusion_args_devicePfi15HIP_vector_typeIjLj3EEiiiSB_iiiSB_iiii, .Lfunc_end165-_ZL13mul_mat_vec_fI6__halfS0_Li7ELi192ELb0ELb0EEvPKT_PKfPKi31ggml_cuda_mm_fusion_args_devicePfi15HIP_vector_typeIjLj3EEiiiSB_iiiSB_iiii
                                        ; -- End function
	.set _ZL13mul_mat_vec_fI6__halfS0_Li7ELi192ELb0ELb0EEvPKT_PKfPKi31ggml_cuda_mm_fusion_args_devicePfi15HIP_vector_typeIjLj3EEiiiSB_iiiSB_iiii.num_vgpr, 29
	.set _ZL13mul_mat_vec_fI6__halfS0_Li7ELi192ELb0ELb0EEvPKT_PKfPKi31ggml_cuda_mm_fusion_args_devicePfi15HIP_vector_typeIjLj3EEiiiSB_iiiSB_iiii.num_agpr, 0
	.set _ZL13mul_mat_vec_fI6__halfS0_Li7ELi192ELb0ELb0EEvPKT_PKfPKi31ggml_cuda_mm_fusion_args_devicePfi15HIP_vector_typeIjLj3EEiiiSB_iiiSB_iiii.numbered_sgpr, 36
	.set _ZL13mul_mat_vec_fI6__halfS0_Li7ELi192ELb0ELb0EEvPKT_PKfPKi31ggml_cuda_mm_fusion_args_devicePfi15HIP_vector_typeIjLj3EEiiiSB_iiiSB_iiii.num_named_barrier, 0
	.set _ZL13mul_mat_vec_fI6__halfS0_Li7ELi192ELb0ELb0EEvPKT_PKfPKi31ggml_cuda_mm_fusion_args_devicePfi15HIP_vector_typeIjLj3EEiiiSB_iiiSB_iiii.private_seg_size, 0
	.set _ZL13mul_mat_vec_fI6__halfS0_Li7ELi192ELb0ELb0EEvPKT_PKfPKi31ggml_cuda_mm_fusion_args_devicePfi15HIP_vector_typeIjLj3EEiiiSB_iiiSB_iiii.uses_vcc, 1
	.set _ZL13mul_mat_vec_fI6__halfS0_Li7ELi192ELb0ELb0EEvPKT_PKfPKi31ggml_cuda_mm_fusion_args_devicePfi15HIP_vector_typeIjLj3EEiiiSB_iiiSB_iiii.uses_flat_scratch, 0
	.set _ZL13mul_mat_vec_fI6__halfS0_Li7ELi192ELb0ELb0EEvPKT_PKfPKi31ggml_cuda_mm_fusion_args_devicePfi15HIP_vector_typeIjLj3EEiiiSB_iiiSB_iiii.has_dyn_sized_stack, 0
	.set _ZL13mul_mat_vec_fI6__halfS0_Li7ELi192ELb0ELb0EEvPKT_PKfPKi31ggml_cuda_mm_fusion_args_devicePfi15HIP_vector_typeIjLj3EEiiiSB_iiiSB_iiii.has_recursion, 0
	.set _ZL13mul_mat_vec_fI6__halfS0_Li7ELi192ELb0ELb0EEvPKT_PKfPKi31ggml_cuda_mm_fusion_args_devicePfi15HIP_vector_typeIjLj3EEiiiSB_iiiSB_iiii.has_indirect_call, 0
	.section	.AMDGPU.csdata,"",@progbits
; Kernel info:
; codeLenInByte = 3000
; TotalNumSgprs: 38
; NumVgprs: 29
; ScratchSize: 0
; MemoryBound: 0
; FloatMode: 240
; IeeeMode: 1
; LDSByteSize: 0 bytes/workgroup (compile time only)
; SGPRBlocks: 0
; VGPRBlocks: 3
; NumSGPRsForWavesPerEU: 38
; NumVGPRsForWavesPerEU: 29
; Occupancy: 16
; WaveLimiterHint : 0
; COMPUTE_PGM_RSRC2:SCRATCH_EN: 0
; COMPUTE_PGM_RSRC2:USER_SGPR: 6
; COMPUTE_PGM_RSRC2:TRAP_HANDLER: 0
; COMPUTE_PGM_RSRC2:TGID_X_EN: 1
; COMPUTE_PGM_RSRC2:TGID_Y_EN: 1
; COMPUTE_PGM_RSRC2:TGID_Z_EN: 1
; COMPUTE_PGM_RSRC2:TIDIG_COMP_CNT: 0
	.section	.text._ZL13mul_mat_vec_fI6__halfS0_Li7ELi224ELb0ELb0EEvPKT_PKfPKi31ggml_cuda_mm_fusion_args_devicePfi15HIP_vector_typeIjLj3EEiiiSB_iiiSB_iiii,"axG",@progbits,_ZL13mul_mat_vec_fI6__halfS0_Li7ELi224ELb0ELb0EEvPKT_PKfPKi31ggml_cuda_mm_fusion_args_devicePfi15HIP_vector_typeIjLj3EEiiiSB_iiiSB_iiii,comdat
	.globl	_ZL13mul_mat_vec_fI6__halfS0_Li7ELi224ELb0ELb0EEvPKT_PKfPKi31ggml_cuda_mm_fusion_args_devicePfi15HIP_vector_typeIjLj3EEiiiSB_iiiSB_iiii ; -- Begin function _ZL13mul_mat_vec_fI6__halfS0_Li7ELi224ELb0ELb0EEvPKT_PKfPKi31ggml_cuda_mm_fusion_args_devicePfi15HIP_vector_typeIjLj3EEiiiSB_iiiSB_iiii
	.p2align	8
	.type	_ZL13mul_mat_vec_fI6__halfS0_Li7ELi224ELb0ELb0EEvPKT_PKfPKi31ggml_cuda_mm_fusion_args_devicePfi15HIP_vector_typeIjLj3EEiiiSB_iiiSB_iiii,@function
_ZL13mul_mat_vec_fI6__halfS0_Li7ELi224ELb0ELb0EEvPKT_PKfPKi31ggml_cuda_mm_fusion_args_devicePfi15HIP_vector_typeIjLj3EEiiiSB_iiiSB_iiii: ; @_ZL13mul_mat_vec_fI6__halfS0_Li7ELi224ELb0ELb0EEvPKT_PKfPKi31ggml_cuda_mm_fusion_args_devicePfi15HIP_vector_typeIjLj3EEiiiSB_iiiSB_iiii
; %bb.0:
	s_clause 0x2
	s_load_dwordx2 s[0:1], s[4:5], 0x10
	s_load_dwordx8 s[12:19], s[4:5], 0x40
	s_load_dwordx4 s[20:23], s[4:5], 0x80
	s_waitcnt lgkmcnt(0)
	s_cmp_eq_u64 s[0:1], 0
	s_cselect_b32 s10, -1, 0
	s_cmp_lg_u64 s[0:1], 0
	s_cselect_b32 s11, -1, 0
	s_and_b32 vcc_lo, exec_lo, s10
	s_cbranch_vccnz .LBB166_2
; %bb.1:
	s_mul_i32 s2, s23, s8
	s_mov_b32 s3, 0
	s_add_i32 s2, s2, s7
	s_lshl_b64 s[24:25], s[2:3], 2
	s_add_u32 s0, s0, s24
	s_addc_u32 s1, s1, s25
	s_load_dword s9, s[0:1], 0x0
	s_cbranch_execz .LBB166_3
	s_branch .LBB166_4
.LBB166_2:
                                        ; implicit-def: $sgpr9
.LBB166_3:
	s_load_dwordx2 s[0:1], s[4:5], 0x5c
	s_waitcnt lgkmcnt(0)
	s_mul_hi_u32 s0, s0, s7
	s_add_i32 s0, s7, s0
	s_lshr_b32 s9, s0, s1
.LBB166_4:
	s_load_dwordx4 s[24:27], s[4:5], 0x68
	s_andn2_b32 vcc_lo, exec_lo, s11
	s_mov_b32 s19, s7
	s_cbranch_vccnz .LBB166_6
; %bb.5:
	s_mul_hi_u32 s0, s13, s7
	s_add_i32 s0, s7, s0
	s_lshr_b32 s0, s0, s14
	s_mul_i32 s0, s0, s15
	s_sub_i32 s19, s7, s0
.LBB166_6:
	s_load_dword s14, s[4:5], 0x78
	v_cmp_gt_u32_e32 vcc_lo, 32, v0
	v_lshl_add_u32 v5, v0, 2, 0
	s_and_saveexec_b32 s0, vcc_lo
; %bb.7:
	v_mov_b32_e32 v1, 0
	ds_write_b32 v5, v1
; %bb.8:
	s_or_b32 exec_lo, exec_lo, s0
	v_mov_b32_e32 v10, 0
	v_mov_b32_e32 v13, 0
	v_mov_b32_e32 v12, 0
	v_mov_b32_e32 v9, 0
	v_mov_b32_e32 v8, 0
	v_mov_b32_e32 v7, 0
	v_mov_b32_e32 v6, 0
	s_and_b32 s0, exec_lo, s10
	s_cselect_b32 s10, s8, 0
	s_mov_b32 s11, exec_lo
	s_waitcnt lgkmcnt(0)
	s_barrier
	buffer_gl0_inv
	v_cmpx_gt_i32_e64 s12, v0
	s_cbranch_execz .LBB166_12
; %bb.9:
	s_load_dwordx4 s[0:3], s[4:5], 0x0
	s_mul_hi_u32 s15, s27, s10
	s_mul_hi_i32 s29, s21, s10
	s_mul_i32 s28, s21, s10
	s_mul_i32 s8, s9, s24
	;; [unrolled: 1-line block ×4, first 2 shown]
	s_add_i32 s15, s10, s15
	s_lshl_b64 s[28:29], s[28:29], 2
	s_ashr_i32 s9, s8, 31
	s_ashr_i32 s25, s24, 31
	s_ashr_i32 s31, s30, 31
	s_lshr_b32 s14, s15, s14
	s_mov_b32 s34, s17
	s_mul_hi_i32 s21, s14, s20
	s_mul_i32 s20, s14, s20
	v_lshlrev_b32_e32 v2, 3, v0
	v_lshlrev_b32_e32 v1, 2, v0
	v_mov_b32_e32 v6, 0
	v_mov_b32_e32 v7, 0
	s_waitcnt lgkmcnt(0)
	s_add_u32 s15, s2, s28
	s_addc_u32 s16, s3, s29
	s_lshl_b64 s[30:31], s[30:31], 2
	v_mov_b32_e32 v8, 0
	s_add_u32 s14, s15, s30
	s_addc_u32 s15, s16, s31
	s_lshl_b64 s[8:9], s[8:9], 1
	s_ashr_i32 s35, s17, 31
	s_add_i32 s16, s17, s17
	s_lshl_b32 s19, s17, 2
	s_lshl_b64 s[20:21], s[20:21], 1
	s_lshl_b64 s[24:25], s[24:25], 1
	s_add_u32 s0, s0, s8
	s_addc_u32 s1, s1, s9
	s_add_u32 s0, s0, s24
	s_addc_u32 s1, s1, s25
	;; [unrolled: 2-line block ×3, first 2 shown]
	s_lshl_b64 s[8:9], s[34:35], 3
	s_add_u32 s2, s2, s30
	s_addc_u32 s3, s3, s31
	s_add_u32 s2, s2, s28
	s_addc_u32 s3, s3, s29
	v_add_co_u32 v3, s2, s2, v2
	v_add_co_ci_u32_e64 v4, null, s3, 0, s2
	v_add_co_u32 v1, s0, s0, v1
	v_add_co_ci_u32_e64 v2, null, s1, 0, s0
	;; [unrolled: 2-line block ×3, first 2 shown]
	v_mov_b32_e32 v9, 0
	v_mov_b32_e32 v12, 0
	;; [unrolled: 1-line block ×5, first 2 shown]
	s_mul_i32 s13, s17, 3
	s_mul_i32 s1, s17, 5
	;; [unrolled: 1-line block ×3, first 2 shown]
	s_mov_b32 s2, 0
.LBB166_10:                             ; =>This Inner Loop Header: Depth=1
	v_add_nc_u32_e32 v18, s16, v11
	v_add_nc_u32_e32 v20, s13, v11
	;; [unrolled: 1-line block ×5, first 2 shown]
	v_ashrrev_i32_e32 v19, 31, v18
	v_ashrrev_i32_e32 v21, 31, v20
	;; [unrolled: 1-line block ×3, first 2 shown]
	v_add_co_u32 v16, s0, v3, s8
	v_lshlrev_b64 v[18:19], 3, v[18:19]
	v_ashrrev_i32_e32 v25, 31, v24
	v_add_co_ci_u32_e64 v17, null, s9, v4, s0
	v_lshlrev_b64 v[20:21], 3, v[20:21]
	v_ashrrev_i32_e32 v27, 31, v26
	v_lshlrev_b64 v[22:23], 3, v[22:23]
	v_lshlrev_b64 v[24:25], 3, v[24:25]
	v_add_co_u32 v18, s0, s14, v18
	s_clause 0x1
	global_load_dwordx2 v[14:15], v[3:4], off offset:-4
	global_load_dwordx2 v[16:17], v[16:17], off offset:-4
	v_lshlrev_b64 v[26:27], 3, v[26:27]
	v_add_co_ci_u32_e64 v19, null, s15, v19, s0
	v_add_co_u32 v20, s0, s14, v20
	v_add_co_ci_u32_e64 v21, null, s15, v21, s0
	v_add_co_u32 v22, s0, s14, v22
	;; [unrolled: 2-line block ×4, first 2 shown]
	v_add_co_ci_u32_e64 v27, null, s15, v27, s0
	s_clause 0x4
	global_load_dwordx2 v[18:19], v[18:19], off
	global_load_dwordx2 v[20:21], v[20:21], off
	;; [unrolled: 1-line block ×5, first 2 shown]
	global_load_dword v28, v[1:2], off
	v_add_nc_u32_e32 v11, 0xe0, v11
	v_add_co_u32 v1, s0, 0x380, v1
	v_add_co_ci_u32_e64 v2, null, 0, v2, s0
	v_add_co_u32 v3, s0, 0x700, v3
	v_add_co_ci_u32_e64 v4, null, 0, v4, s0
	v_cmp_le_i32_e64 s0, s12, v11
	s_or_b32 s2, s0, s2
	s_waitcnt vmcnt(7)
	v_cvt_f16_f32_e32 v14, v14
	v_cvt_f16_f32_e32 v15, v15
	s_waitcnt vmcnt(6)
	v_cvt_f16_f32_e32 v16, v16
	v_cvt_f16_f32_e32 v17, v17
	v_pack_b32_f16 v14, v14, v15
	v_pack_b32_f16 v15, v16, v17
	s_waitcnt vmcnt(4)
	v_cvt_f16_f32_e32 v16, v20
	v_cvt_f16_f32_e32 v17, v21
	s_waitcnt vmcnt(2)
	v_cvt_f16_f32_e32 v20, v24
	v_cvt_f16_f32_e32 v21, v25
	s_waitcnt vmcnt(0)
	v_pk_fma_f16 v10, v28, v14, v10
	v_pk_fma_f16 v13, v28, v15, v13
	v_cvt_f16_f32_e32 v14, v18
	v_cvt_f16_f32_e32 v15, v19
	;; [unrolled: 1-line block ×6, first 2 shown]
	v_pack_b32_f16 v14, v14, v15
	v_pack_b32_f16 v15, v16, v17
	;; [unrolled: 1-line block ×5, first 2 shown]
	v_pk_fma_f16 v12, v28, v14, v12
	v_pk_fma_f16 v9, v28, v15, v9
	;; [unrolled: 1-line block ×5, first 2 shown]
	s_andn2_b32 exec_lo, exec_lo, s2
	s_cbranch_execnz .LBB166_10
; %bb.11:
	s_or_b32 exec_lo, exec_lo, s2
.LBB166_12:
	s_or_b32 exec_lo, exec_lo, s11
	v_mbcnt_lo_u32_b32 v2, -1, 0
	v_cvt_f32_f16_e32 v3, v10
	v_cvt_f32_f16_sdwa v4, v10 dst_sel:DWORD dst_unused:UNUSED_PAD src0_sel:WORD_1
	v_cvt_f32_f16_e32 v17, v13
	v_cvt_f32_f16_sdwa v18, v13 dst_sel:DWORD dst_unused:UNUSED_PAD src0_sel:WORD_1
	v_xor_b32_e32 v1, 16, v2
	v_cvt_f32_f16_sdwa v16, v12 dst_sel:DWORD dst_unused:UNUSED_PAD src0_sel:WORD_1
	v_add_f32_e32 v4, v3, v4
	v_xor_b32_e32 v3, 8, v2
	v_cmp_gt_i32_e64 s0, 32, v1
	v_cndmask_b32_e64 v1, v2, v1, s0
	v_cmp_gt_i32_e64 s0, 32, v3
	v_lshlrev_b32_e32 v1, 2, v1
	v_cndmask_b32_e64 v3, v2, v3, s0
	ds_bpermute_b32 v10, v1, v4
	v_lshlrev_b32_e32 v3, 2, v3
	s_waitcnt lgkmcnt(0)
	v_add_f32_e32 v10, v4, v10
	v_xor_b32_e32 v4, 4, v2
	ds_bpermute_b32 v11, v3, v10
	v_cmp_gt_i32_e64 s0, 32, v4
	v_cndmask_b32_e64 v4, v2, v4, s0
	v_lshlrev_b32_e32 v4, 2, v4
	s_waitcnt lgkmcnt(0)
	v_add_f32_e32 v11, v10, v11
	v_xor_b32_e32 v10, 2, v2
	ds_bpermute_b32 v14, v4, v11
	v_cmp_gt_i32_e64 s0, 32, v10
	v_cndmask_b32_e64 v10, v2, v10, s0
	;; [unrolled: 7-line block ×3, first 2 shown]
	v_lshlrev_b32_e32 v11, 2, v2
	s_waitcnt lgkmcnt(0)
	v_add_f32_e32 v2, v14, v15
	v_lshrrev_b32_e32 v15, 3, v0
	ds_bpermute_b32 v14, v11, v2
	v_and_b32_e32 v15, 0x7c, v15
	v_add_nc_u32_e32 v13, 0, v15
	s_waitcnt lgkmcnt(0)
	v_add_f32_e32 v2, v2, v14
	v_cvt_f32_f16_e32 v14, v12
	v_add_f32_e32 v12, v17, v18
	ds_write_b32 v13, v2
	s_waitcnt lgkmcnt(0)
	s_barrier
	buffer_gl0_inv
	s_and_saveexec_b32 s0, vcc_lo
	s_cbranch_execz .LBB166_14
; %bb.13:
	ds_read_b32 v2, v5
	s_waitcnt lgkmcnt(0)
	ds_bpermute_b32 v15, v1, v2
	s_waitcnt lgkmcnt(0)
	v_add_f32_e32 v2, v2, v15
	ds_bpermute_b32 v15, v3, v2
	s_waitcnt lgkmcnt(0)
	v_add_f32_e32 v2, v2, v15
	ds_bpermute_b32 v15, v4, v2
	s_waitcnt lgkmcnt(0)
	v_add_f32_e32 v2, v2, v15
	ds_bpermute_b32 v15, v10, v2
	s_waitcnt lgkmcnt(0)
	v_add_f32_e32 v2, v2, v15
	ds_bpermute_b32 v15, v11, v2
	s_waitcnt lgkmcnt(0)
	v_add_f32_e32 v2, v2, v15
.LBB166_14:
	s_or_b32 exec_lo, exec_lo, s0
	ds_bpermute_b32 v15, v1, v12
	v_add_f32_e32 v14, v14, v16
	s_waitcnt lgkmcnt(0)
	s_barrier
	buffer_gl0_inv
	v_add_f32_e32 v12, v12, v15
	ds_bpermute_b32 v15, v3, v12
	s_waitcnt lgkmcnt(0)
	v_add_f32_e32 v12, v12, v15
	ds_bpermute_b32 v15, v4, v12
	s_waitcnt lgkmcnt(0)
	v_add_f32_e32 v12, v12, v15
	ds_bpermute_b32 v15, v10, v12
	s_waitcnt lgkmcnt(0)
	v_add_f32_e32 v17, v12, v15
	v_cvt_f32_f16_e32 v12, v9
	v_cvt_f32_f16_sdwa v15, v9 dst_sel:DWORD dst_unused:UNUSED_PAD src0_sel:WORD_1
	ds_bpermute_b32 v18, v11, v17
	s_waitcnt lgkmcnt(0)
	v_add_f32_e32 v9, v17, v18
	ds_write_b32 v13, v9
	s_waitcnt lgkmcnt(0)
	s_barrier
	buffer_gl0_inv
	s_and_saveexec_b32 s0, vcc_lo
	s_cbranch_execz .LBB166_16
; %bb.15:
	ds_read_b32 v9, v5
	s_waitcnt lgkmcnt(0)
	ds_bpermute_b32 v16, v1, v9
	s_waitcnt lgkmcnt(0)
	v_add_f32_e32 v9, v9, v16
	ds_bpermute_b32 v16, v3, v9
	s_waitcnt lgkmcnt(0)
	v_add_f32_e32 v9, v9, v16
	ds_bpermute_b32 v16, v4, v9
	s_waitcnt lgkmcnt(0)
	v_add_f32_e32 v9, v9, v16
	ds_bpermute_b32 v16, v10, v9
	s_waitcnt lgkmcnt(0)
	v_add_f32_e32 v9, v9, v16
	ds_bpermute_b32 v16, v11, v9
	s_waitcnt lgkmcnt(0)
	v_add_f32_e32 v9, v9, v16
.LBB166_16:
	s_or_b32 exec_lo, exec_lo, s0
	ds_bpermute_b32 v16, v1, v14
	v_add_f32_e32 v12, v12, v15
	s_waitcnt lgkmcnt(0)
	s_barrier
	buffer_gl0_inv
	v_add_f32_e32 v14, v14, v16
	ds_bpermute_b32 v16, v3, v14
	s_waitcnt lgkmcnt(0)
	v_add_f32_e32 v14, v14, v16
	ds_bpermute_b32 v16, v4, v14
	s_waitcnt lgkmcnt(0)
	v_add_f32_e32 v14, v14, v16
	ds_bpermute_b32 v16, v10, v14
	s_waitcnt lgkmcnt(0)
	v_add_f32_e32 v17, v14, v16
	v_cvt_f32_f16_e32 v14, v8
	v_cvt_f32_f16_sdwa v16, v8 dst_sel:DWORD dst_unused:UNUSED_PAD src0_sel:WORD_1
	ds_bpermute_b32 v18, v11, v17
	s_waitcnt lgkmcnt(0)
	;; [unrolled: 46-line block ×4, first 2 shown]
	v_add_f32_e32 v6, v17, v18
	ds_write_b32 v13, v6
	s_waitcnt lgkmcnt(0)
	s_barrier
	buffer_gl0_inv
	s_and_saveexec_b32 s0, vcc_lo
	s_cbranch_execz .LBB166_22
; %bb.21:
	ds_read_b32 v6, v5
	s_waitcnt lgkmcnt(0)
	ds_bpermute_b32 v15, v1, v6
	s_waitcnt lgkmcnt(0)
	v_add_f32_e32 v6, v6, v15
	ds_bpermute_b32 v15, v3, v6
	s_waitcnt lgkmcnt(0)
	v_add_f32_e32 v6, v6, v15
	;; [unrolled: 3-line block ×5, first 2 shown]
.LBB166_22:
	s_or_b32 exec_lo, exec_lo, s0
	ds_bpermute_b32 v15, v1, v12
	v_add_f32_e32 v14, v14, v16
	s_waitcnt lgkmcnt(0)
	s_barrier
	buffer_gl0_inv
	v_add_f32_e32 v12, v12, v15
	ds_bpermute_b32 v15, v3, v12
	s_waitcnt lgkmcnt(0)
	v_add_f32_e32 v12, v12, v15
	ds_bpermute_b32 v15, v4, v12
	s_waitcnt lgkmcnt(0)
	;; [unrolled: 3-line block ×4, first 2 shown]
	v_add_f32_e32 v12, v12, v15
	ds_write_b32 v13, v12
	s_waitcnt lgkmcnt(0)
	s_barrier
	buffer_gl0_inv
	s_and_saveexec_b32 s0, vcc_lo
	s_cbranch_execz .LBB166_24
; %bb.23:
	ds_read_b32 v12, v5
	s_waitcnt lgkmcnt(0)
	ds_bpermute_b32 v15, v1, v12
	s_waitcnt lgkmcnt(0)
	v_add_f32_e32 v12, v12, v15
	ds_bpermute_b32 v15, v3, v12
	s_waitcnt lgkmcnt(0)
	v_add_f32_e32 v12, v12, v15
	;; [unrolled: 3-line block ×5, first 2 shown]
.LBB166_24:
	s_or_b32 exec_lo, exec_lo, s0
	ds_bpermute_b32 v15, v1, v14
	s_waitcnt lgkmcnt(0)
	s_barrier
	buffer_gl0_inv
	v_add_f32_e32 v14, v14, v15
	ds_bpermute_b32 v15, v3, v14
	s_waitcnt lgkmcnt(0)
	v_add_f32_e32 v14, v14, v15
	ds_bpermute_b32 v15, v4, v14
	s_waitcnt lgkmcnt(0)
	;; [unrolled: 3-line block ×4, first 2 shown]
	v_add_f32_e32 v14, v14, v15
	ds_write_b32 v13, v14
	s_waitcnt lgkmcnt(0)
	s_barrier
	buffer_gl0_inv
	s_and_saveexec_b32 s0, vcc_lo
	s_cbranch_execz .LBB166_26
; %bb.25:
	ds_read_b32 v5, v5
	s_waitcnt lgkmcnt(0)
	ds_bpermute_b32 v1, v1, v5
	s_waitcnt lgkmcnt(0)
	v_add_f32_e32 v1, v5, v1
	ds_bpermute_b32 v3, v3, v1
	s_waitcnt lgkmcnt(0)
	v_add_f32_e32 v1, v1, v3
	;; [unrolled: 3-line block ×5, first 2 shown]
.LBB166_26:
	s_or_b32 exec_lo, exec_lo, s0
	s_barrier
	buffer_gl0_inv
	s_mov_b32 s0, exec_lo
	v_cmpx_gt_u32_e32 7, v0
	s_cbranch_execz .LBB166_28
; %bb.27:
	v_cmp_eq_u32_e32 vcc_lo, 1, v0
	s_load_dwordx2 s[0:1], s[4:5], 0x38
	s_mul_hi_i32 s3, s22, s10
	s_mul_i32 s2, s22, s10
	s_mul_i32 s4, s26, s7
	v_cndmask_b32_e32 v1, v2, v9, vcc_lo
	v_cmp_eq_u32_e32 vcc_lo, 2, v0
	s_lshl_b64 s[2:3], s[2:3], 2
	s_ashr_i32 s5, s4, 31
	v_cndmask_b32_e32 v3, v1, v8, vcc_lo
	v_cmp_eq_u32_e32 vcc_lo, 3, v0
	v_mad_u64_u32 v[1:2], null, s18, v0, s[6:7]
	v_cndmask_b32_e32 v2, v3, v7, vcc_lo
	v_cmp_eq_u32_e32 vcc_lo, 4, v0
	s_waitcnt lgkmcnt(0)
	s_add_u32 s2, s0, s2
	s_addc_u32 s3, s1, s3
	v_cndmask_b32_e32 v3, v2, v6, vcc_lo
	v_ashrrev_i32_e32 v2, 31, v1
	v_cmp_eq_u32_e32 vcc_lo, 5, v0
	s_lshl_b64 s[0:1], s[4:5], 2
	s_add_u32 s0, s2, s0
	v_lshlrev_b64 v[1:2], 2, v[1:2]
	v_cndmask_b32_e32 v3, v3, v12, vcc_lo
	v_cmp_eq_u32_e32 vcc_lo, 6, v0
	s_addc_u32 s1, s3, s1
	v_cndmask_b32_e32 v3, v3, v14, vcc_lo
	v_add_co_u32 v0, vcc_lo, s0, v1
	v_add_co_ci_u32_e64 v1, null, s1, v2, vcc_lo
	global_store_dword v[0:1], v3, off
.LBB166_28:
	s_endpgm
	.section	.rodata,"a",@progbits
	.p2align	6, 0x0
	.amdhsa_kernel _ZL13mul_mat_vec_fI6__halfS0_Li7ELi224ELb0ELb0EEvPKT_PKfPKi31ggml_cuda_mm_fusion_args_devicePfi15HIP_vector_typeIjLj3EEiiiSB_iiiSB_iiii
		.amdhsa_group_segment_fixed_size 0
		.amdhsa_private_segment_fixed_size 0
		.amdhsa_kernarg_size 144
		.amdhsa_user_sgpr_count 6
		.amdhsa_user_sgpr_private_segment_buffer 1
		.amdhsa_user_sgpr_dispatch_ptr 0
		.amdhsa_user_sgpr_queue_ptr 0
		.amdhsa_user_sgpr_kernarg_segment_ptr 1
		.amdhsa_user_sgpr_dispatch_id 0
		.amdhsa_user_sgpr_flat_scratch_init 0
		.amdhsa_user_sgpr_private_segment_size 0
		.amdhsa_wavefront_size32 1
		.amdhsa_uses_dynamic_stack 0
		.amdhsa_system_sgpr_private_segment_wavefront_offset 0
		.amdhsa_system_sgpr_workgroup_id_x 1
		.amdhsa_system_sgpr_workgroup_id_y 1
		.amdhsa_system_sgpr_workgroup_id_z 1
		.amdhsa_system_sgpr_workgroup_info 0
		.amdhsa_system_vgpr_workitem_id 0
		.amdhsa_next_free_vgpr 29
		.amdhsa_next_free_sgpr 36
		.amdhsa_reserve_vcc 1
		.amdhsa_reserve_flat_scratch 0
		.amdhsa_float_round_mode_32 0
		.amdhsa_float_round_mode_16_64 0
		.amdhsa_float_denorm_mode_32 3
		.amdhsa_float_denorm_mode_16_64 3
		.amdhsa_dx10_clamp 1
		.amdhsa_ieee_mode 1
		.amdhsa_fp16_overflow 0
		.amdhsa_workgroup_processor_mode 1
		.amdhsa_memory_ordered 1
		.amdhsa_forward_progress 1
		.amdhsa_shared_vgpr_count 0
		.amdhsa_exception_fp_ieee_invalid_op 0
		.amdhsa_exception_fp_denorm_src 0
		.amdhsa_exception_fp_ieee_div_zero 0
		.amdhsa_exception_fp_ieee_overflow 0
		.amdhsa_exception_fp_ieee_underflow 0
		.amdhsa_exception_fp_ieee_inexact 0
		.amdhsa_exception_int_div_zero 0
	.end_amdhsa_kernel
	.section	.text._ZL13mul_mat_vec_fI6__halfS0_Li7ELi224ELb0ELb0EEvPKT_PKfPKi31ggml_cuda_mm_fusion_args_devicePfi15HIP_vector_typeIjLj3EEiiiSB_iiiSB_iiii,"axG",@progbits,_ZL13mul_mat_vec_fI6__halfS0_Li7ELi224ELb0ELb0EEvPKT_PKfPKi31ggml_cuda_mm_fusion_args_devicePfi15HIP_vector_typeIjLj3EEiiiSB_iiiSB_iiii,comdat
.Lfunc_end166:
	.size	_ZL13mul_mat_vec_fI6__halfS0_Li7ELi224ELb0ELb0EEvPKT_PKfPKi31ggml_cuda_mm_fusion_args_devicePfi15HIP_vector_typeIjLj3EEiiiSB_iiiSB_iiii, .Lfunc_end166-_ZL13mul_mat_vec_fI6__halfS0_Li7ELi224ELb0ELb0EEvPKT_PKfPKi31ggml_cuda_mm_fusion_args_devicePfi15HIP_vector_typeIjLj3EEiiiSB_iiiSB_iiii
                                        ; -- End function
	.set _ZL13mul_mat_vec_fI6__halfS0_Li7ELi224ELb0ELb0EEvPKT_PKfPKi31ggml_cuda_mm_fusion_args_devicePfi15HIP_vector_typeIjLj3EEiiiSB_iiiSB_iiii.num_vgpr, 29
	.set _ZL13mul_mat_vec_fI6__halfS0_Li7ELi224ELb0ELb0EEvPKT_PKfPKi31ggml_cuda_mm_fusion_args_devicePfi15HIP_vector_typeIjLj3EEiiiSB_iiiSB_iiii.num_agpr, 0
	.set _ZL13mul_mat_vec_fI6__halfS0_Li7ELi224ELb0ELb0EEvPKT_PKfPKi31ggml_cuda_mm_fusion_args_devicePfi15HIP_vector_typeIjLj3EEiiiSB_iiiSB_iiii.numbered_sgpr, 36
	.set _ZL13mul_mat_vec_fI6__halfS0_Li7ELi224ELb0ELb0EEvPKT_PKfPKi31ggml_cuda_mm_fusion_args_devicePfi15HIP_vector_typeIjLj3EEiiiSB_iiiSB_iiii.num_named_barrier, 0
	.set _ZL13mul_mat_vec_fI6__halfS0_Li7ELi224ELb0ELb0EEvPKT_PKfPKi31ggml_cuda_mm_fusion_args_devicePfi15HIP_vector_typeIjLj3EEiiiSB_iiiSB_iiii.private_seg_size, 0
	.set _ZL13mul_mat_vec_fI6__halfS0_Li7ELi224ELb0ELb0EEvPKT_PKfPKi31ggml_cuda_mm_fusion_args_devicePfi15HIP_vector_typeIjLj3EEiiiSB_iiiSB_iiii.uses_vcc, 1
	.set _ZL13mul_mat_vec_fI6__halfS0_Li7ELi224ELb0ELb0EEvPKT_PKfPKi31ggml_cuda_mm_fusion_args_devicePfi15HIP_vector_typeIjLj3EEiiiSB_iiiSB_iiii.uses_flat_scratch, 0
	.set _ZL13mul_mat_vec_fI6__halfS0_Li7ELi224ELb0ELb0EEvPKT_PKfPKi31ggml_cuda_mm_fusion_args_devicePfi15HIP_vector_typeIjLj3EEiiiSB_iiiSB_iiii.has_dyn_sized_stack, 0
	.set _ZL13mul_mat_vec_fI6__halfS0_Li7ELi224ELb0ELb0EEvPKT_PKfPKi31ggml_cuda_mm_fusion_args_devicePfi15HIP_vector_typeIjLj3EEiiiSB_iiiSB_iiii.has_recursion, 0
	.set _ZL13mul_mat_vec_fI6__halfS0_Li7ELi224ELb0ELb0EEvPKT_PKfPKi31ggml_cuda_mm_fusion_args_devicePfi15HIP_vector_typeIjLj3EEiiiSB_iiiSB_iiii.has_indirect_call, 0
	.section	.AMDGPU.csdata,"",@progbits
; Kernel info:
; codeLenInByte = 3000
; TotalNumSgprs: 38
; NumVgprs: 29
; ScratchSize: 0
; MemoryBound: 0
; FloatMode: 240
; IeeeMode: 1
; LDSByteSize: 0 bytes/workgroup (compile time only)
; SGPRBlocks: 0
; VGPRBlocks: 3
; NumSGPRsForWavesPerEU: 38
; NumVGPRsForWavesPerEU: 29
; Occupancy: 16
; WaveLimiterHint : 0
; COMPUTE_PGM_RSRC2:SCRATCH_EN: 0
; COMPUTE_PGM_RSRC2:USER_SGPR: 6
; COMPUTE_PGM_RSRC2:TRAP_HANDLER: 0
; COMPUTE_PGM_RSRC2:TGID_X_EN: 1
; COMPUTE_PGM_RSRC2:TGID_Y_EN: 1
; COMPUTE_PGM_RSRC2:TGID_Z_EN: 1
; COMPUTE_PGM_RSRC2:TIDIG_COMP_CNT: 0
	.section	.text._ZL13mul_mat_vec_fI6__halfS0_Li7ELi256ELb0ELb0EEvPKT_PKfPKi31ggml_cuda_mm_fusion_args_devicePfi15HIP_vector_typeIjLj3EEiiiSB_iiiSB_iiii,"axG",@progbits,_ZL13mul_mat_vec_fI6__halfS0_Li7ELi256ELb0ELb0EEvPKT_PKfPKi31ggml_cuda_mm_fusion_args_devicePfi15HIP_vector_typeIjLj3EEiiiSB_iiiSB_iiii,comdat
	.globl	_ZL13mul_mat_vec_fI6__halfS0_Li7ELi256ELb0ELb0EEvPKT_PKfPKi31ggml_cuda_mm_fusion_args_devicePfi15HIP_vector_typeIjLj3EEiiiSB_iiiSB_iiii ; -- Begin function _ZL13mul_mat_vec_fI6__halfS0_Li7ELi256ELb0ELb0EEvPKT_PKfPKi31ggml_cuda_mm_fusion_args_devicePfi15HIP_vector_typeIjLj3EEiiiSB_iiiSB_iiii
	.p2align	8
	.type	_ZL13mul_mat_vec_fI6__halfS0_Li7ELi256ELb0ELb0EEvPKT_PKfPKi31ggml_cuda_mm_fusion_args_devicePfi15HIP_vector_typeIjLj3EEiiiSB_iiiSB_iiii,@function
_ZL13mul_mat_vec_fI6__halfS0_Li7ELi256ELb0ELb0EEvPKT_PKfPKi31ggml_cuda_mm_fusion_args_devicePfi15HIP_vector_typeIjLj3EEiiiSB_iiiSB_iiii: ; @_ZL13mul_mat_vec_fI6__halfS0_Li7ELi256ELb0ELb0EEvPKT_PKfPKi31ggml_cuda_mm_fusion_args_devicePfi15HIP_vector_typeIjLj3EEiiiSB_iiiSB_iiii
; %bb.0:
	s_clause 0x2
	s_load_dwordx2 s[0:1], s[4:5], 0x10
	s_load_dwordx8 s[12:19], s[4:5], 0x40
	s_load_dwordx4 s[20:23], s[4:5], 0x80
	s_waitcnt lgkmcnt(0)
	s_cmp_eq_u64 s[0:1], 0
	s_cselect_b32 s10, -1, 0
	s_cmp_lg_u64 s[0:1], 0
	s_cselect_b32 s11, -1, 0
	s_and_b32 vcc_lo, exec_lo, s10
	s_cbranch_vccnz .LBB167_2
; %bb.1:
	s_mul_i32 s2, s23, s8
	s_mov_b32 s3, 0
	s_add_i32 s2, s2, s7
	s_lshl_b64 s[24:25], s[2:3], 2
	s_add_u32 s0, s0, s24
	s_addc_u32 s1, s1, s25
	s_load_dword s9, s[0:1], 0x0
	s_cbranch_execz .LBB167_3
	s_branch .LBB167_4
.LBB167_2:
                                        ; implicit-def: $sgpr9
.LBB167_3:
	s_load_dwordx2 s[0:1], s[4:5], 0x5c
	s_waitcnt lgkmcnt(0)
	s_mul_hi_u32 s0, s0, s7
	s_add_i32 s0, s7, s0
	s_lshr_b32 s9, s0, s1
.LBB167_4:
	s_load_dwordx4 s[24:27], s[4:5], 0x68
	s_andn2_b32 vcc_lo, exec_lo, s11
	s_mov_b32 s19, s7
	s_cbranch_vccnz .LBB167_6
; %bb.5:
	s_mul_hi_u32 s0, s13, s7
	s_add_i32 s0, s7, s0
	s_lshr_b32 s0, s0, s14
	s_mul_i32 s0, s0, s15
	s_sub_i32 s19, s7, s0
.LBB167_6:
	s_load_dword s14, s[4:5], 0x78
	v_cmp_gt_u32_e32 vcc_lo, 32, v0
	v_lshl_add_u32 v5, v0, 2, 0
	s_and_saveexec_b32 s0, vcc_lo
; %bb.7:
	v_mov_b32_e32 v1, 0
	ds_write_b32 v5, v1
; %bb.8:
	s_or_b32 exec_lo, exec_lo, s0
	v_mov_b32_e32 v10, 0
	v_mov_b32_e32 v13, 0
	;; [unrolled: 1-line block ×7, first 2 shown]
	s_and_b32 s0, exec_lo, s10
	s_cselect_b32 s10, s8, 0
	s_mov_b32 s11, exec_lo
	s_waitcnt lgkmcnt(0)
	s_barrier
	buffer_gl0_inv
	v_cmpx_gt_i32_e64 s12, v0
	s_cbranch_execz .LBB167_12
; %bb.9:
	s_load_dwordx4 s[0:3], s[4:5], 0x0
	s_mul_hi_u32 s15, s27, s10
	s_mul_hi_i32 s29, s21, s10
	s_mul_i32 s28, s21, s10
	s_mul_i32 s8, s9, s24
	s_mul_i32 s24, s16, s6
	s_mul_i32 s30, s19, s25
	s_add_i32 s15, s10, s15
	s_lshl_b64 s[28:29], s[28:29], 2
	s_ashr_i32 s9, s8, 31
	s_ashr_i32 s25, s24, 31
	;; [unrolled: 1-line block ×3, first 2 shown]
	s_lshr_b32 s14, s15, s14
	s_mov_b32 s34, s17
	s_mul_hi_i32 s21, s14, s20
	s_mul_i32 s20, s14, s20
	v_lshlrev_b32_e32 v2, 3, v0
	v_lshlrev_b32_e32 v1, 2, v0
	v_mov_b32_e32 v6, 0
	v_mov_b32_e32 v7, 0
	s_waitcnt lgkmcnt(0)
	s_add_u32 s15, s2, s28
	s_addc_u32 s16, s3, s29
	s_lshl_b64 s[30:31], s[30:31], 2
	v_mov_b32_e32 v8, 0
	s_add_u32 s14, s15, s30
	s_addc_u32 s15, s16, s31
	s_lshl_b64 s[8:9], s[8:9], 1
	s_ashr_i32 s35, s17, 31
	s_add_i32 s16, s17, s17
	s_lshl_b32 s19, s17, 2
	s_lshl_b64 s[20:21], s[20:21], 1
	s_lshl_b64 s[24:25], s[24:25], 1
	s_add_u32 s0, s0, s8
	s_addc_u32 s1, s1, s9
	s_add_u32 s0, s0, s24
	s_addc_u32 s1, s1, s25
	;; [unrolled: 2-line block ×3, first 2 shown]
	s_lshl_b64 s[8:9], s[34:35], 3
	s_add_u32 s2, s2, s30
	s_addc_u32 s3, s3, s31
	s_add_u32 s2, s2, s28
	s_addc_u32 s3, s3, s29
	v_add_co_u32 v3, s2, s2, v2
	v_add_co_ci_u32_e64 v4, null, s3, 0, s2
	v_add_co_u32 v1, s0, s0, v1
	v_add_co_ci_u32_e64 v2, null, s1, 0, s0
	;; [unrolled: 2-line block ×3, first 2 shown]
	v_mov_b32_e32 v9, 0
	v_mov_b32_e32 v12, 0
	;; [unrolled: 1-line block ×5, first 2 shown]
	s_mul_i32 s13, s17, 3
	s_mul_i32 s1, s17, 5
	;; [unrolled: 1-line block ×3, first 2 shown]
	s_mov_b32 s2, 0
.LBB167_10:                             ; =>This Inner Loop Header: Depth=1
	v_add_nc_u32_e32 v18, s16, v11
	v_add_nc_u32_e32 v20, s13, v11
	v_add_nc_u32_e32 v22, s19, v11
	v_add_nc_u32_e32 v24, s1, v11
	v_add_nc_u32_e32 v26, s3, v11
	v_ashrrev_i32_e32 v19, 31, v18
	v_ashrrev_i32_e32 v21, 31, v20
	;; [unrolled: 1-line block ×3, first 2 shown]
	v_add_co_u32 v16, s0, v3, s8
	v_lshlrev_b64 v[18:19], 3, v[18:19]
	v_ashrrev_i32_e32 v25, 31, v24
	v_add_co_ci_u32_e64 v17, null, s9, v4, s0
	v_lshlrev_b64 v[20:21], 3, v[20:21]
	v_ashrrev_i32_e32 v27, 31, v26
	v_lshlrev_b64 v[22:23], 3, v[22:23]
	v_lshlrev_b64 v[24:25], 3, v[24:25]
	v_add_co_u32 v18, s0, s14, v18
	s_clause 0x1
	global_load_dwordx2 v[14:15], v[3:4], off offset:-4
	global_load_dwordx2 v[16:17], v[16:17], off offset:-4
	v_lshlrev_b64 v[26:27], 3, v[26:27]
	v_add_co_ci_u32_e64 v19, null, s15, v19, s0
	v_add_co_u32 v20, s0, s14, v20
	v_add_co_ci_u32_e64 v21, null, s15, v21, s0
	v_add_co_u32 v22, s0, s14, v22
	;; [unrolled: 2-line block ×4, first 2 shown]
	v_add_co_ci_u32_e64 v27, null, s15, v27, s0
	s_clause 0x4
	global_load_dwordx2 v[18:19], v[18:19], off
	global_load_dwordx2 v[20:21], v[20:21], off
	;; [unrolled: 1-line block ×5, first 2 shown]
	global_load_dword v28, v[1:2], off
	v_add_nc_u32_e32 v11, 0x100, v11
	v_add_co_u32 v1, s0, 0x400, v1
	v_add_co_ci_u32_e64 v2, null, 0, v2, s0
	v_add_co_u32 v3, s0, 0x800, v3
	v_add_co_ci_u32_e64 v4, null, 0, v4, s0
	v_cmp_le_i32_e64 s0, s12, v11
	s_or_b32 s2, s0, s2
	s_waitcnt vmcnt(7)
	v_cvt_f16_f32_e32 v14, v14
	v_cvt_f16_f32_e32 v15, v15
	s_waitcnt vmcnt(6)
	v_cvt_f16_f32_e32 v16, v16
	v_cvt_f16_f32_e32 v17, v17
	v_pack_b32_f16 v14, v14, v15
	v_pack_b32_f16 v15, v16, v17
	s_waitcnt vmcnt(4)
	v_cvt_f16_f32_e32 v16, v20
	v_cvt_f16_f32_e32 v17, v21
	s_waitcnt vmcnt(2)
	v_cvt_f16_f32_e32 v20, v24
	v_cvt_f16_f32_e32 v21, v25
	s_waitcnt vmcnt(0)
	v_pk_fma_f16 v10, v28, v14, v10
	v_pk_fma_f16 v13, v28, v15, v13
	v_cvt_f16_f32_e32 v14, v18
	v_cvt_f16_f32_e32 v15, v19
	;; [unrolled: 1-line block ×6, first 2 shown]
	v_pack_b32_f16 v14, v14, v15
	v_pack_b32_f16 v15, v16, v17
	v_pack_b32_f16 v16, v18, v19
	v_pack_b32_f16 v17, v20, v21
	v_pack_b32_f16 v18, v22, v23
	v_pk_fma_f16 v12, v28, v14, v12
	v_pk_fma_f16 v9, v28, v15, v9
	;; [unrolled: 1-line block ×5, first 2 shown]
	s_andn2_b32 exec_lo, exec_lo, s2
	s_cbranch_execnz .LBB167_10
; %bb.11:
	s_or_b32 exec_lo, exec_lo, s2
.LBB167_12:
	s_or_b32 exec_lo, exec_lo, s11
	v_mbcnt_lo_u32_b32 v2, -1, 0
	v_cvt_f32_f16_e32 v3, v10
	v_cvt_f32_f16_sdwa v4, v10 dst_sel:DWORD dst_unused:UNUSED_PAD src0_sel:WORD_1
	v_cvt_f32_f16_e32 v17, v13
	v_cvt_f32_f16_sdwa v18, v13 dst_sel:DWORD dst_unused:UNUSED_PAD src0_sel:WORD_1
	v_xor_b32_e32 v1, 16, v2
	v_cvt_f32_f16_sdwa v16, v12 dst_sel:DWORD dst_unused:UNUSED_PAD src0_sel:WORD_1
	v_add_f32_e32 v4, v3, v4
	v_xor_b32_e32 v3, 8, v2
	v_cmp_gt_i32_e64 s0, 32, v1
	v_cndmask_b32_e64 v1, v2, v1, s0
	v_cmp_gt_i32_e64 s0, 32, v3
	v_lshlrev_b32_e32 v1, 2, v1
	v_cndmask_b32_e64 v3, v2, v3, s0
	ds_bpermute_b32 v10, v1, v4
	v_lshlrev_b32_e32 v3, 2, v3
	s_waitcnt lgkmcnt(0)
	v_add_f32_e32 v10, v4, v10
	v_xor_b32_e32 v4, 4, v2
	ds_bpermute_b32 v11, v3, v10
	v_cmp_gt_i32_e64 s0, 32, v4
	v_cndmask_b32_e64 v4, v2, v4, s0
	v_lshlrev_b32_e32 v4, 2, v4
	s_waitcnt lgkmcnt(0)
	v_add_f32_e32 v11, v10, v11
	v_xor_b32_e32 v10, 2, v2
	ds_bpermute_b32 v14, v4, v11
	v_cmp_gt_i32_e64 s0, 32, v10
	v_cndmask_b32_e64 v10, v2, v10, s0
	;; [unrolled: 7-line block ×3, first 2 shown]
	v_lshlrev_b32_e32 v11, 2, v2
	s_waitcnt lgkmcnt(0)
	v_add_f32_e32 v2, v14, v15
	v_lshrrev_b32_e32 v15, 3, v0
	ds_bpermute_b32 v14, v11, v2
	v_and_b32_e32 v15, 0x7c, v15
	v_add_nc_u32_e32 v13, 0, v15
	s_waitcnt lgkmcnt(0)
	v_add_f32_e32 v2, v2, v14
	v_cvt_f32_f16_e32 v14, v12
	v_add_f32_e32 v12, v17, v18
	ds_write_b32 v13, v2
	s_waitcnt lgkmcnt(0)
	s_barrier
	buffer_gl0_inv
	s_and_saveexec_b32 s0, vcc_lo
	s_cbranch_execz .LBB167_14
; %bb.13:
	ds_read_b32 v2, v5
	s_waitcnt lgkmcnt(0)
	ds_bpermute_b32 v15, v1, v2
	s_waitcnt lgkmcnt(0)
	v_add_f32_e32 v2, v2, v15
	ds_bpermute_b32 v15, v3, v2
	s_waitcnt lgkmcnt(0)
	v_add_f32_e32 v2, v2, v15
	ds_bpermute_b32 v15, v4, v2
	s_waitcnt lgkmcnt(0)
	v_add_f32_e32 v2, v2, v15
	ds_bpermute_b32 v15, v10, v2
	s_waitcnt lgkmcnt(0)
	v_add_f32_e32 v2, v2, v15
	ds_bpermute_b32 v15, v11, v2
	s_waitcnt lgkmcnt(0)
	v_add_f32_e32 v2, v2, v15
.LBB167_14:
	s_or_b32 exec_lo, exec_lo, s0
	ds_bpermute_b32 v15, v1, v12
	v_add_f32_e32 v14, v14, v16
	s_waitcnt lgkmcnt(0)
	s_barrier
	buffer_gl0_inv
	v_add_f32_e32 v12, v12, v15
	ds_bpermute_b32 v15, v3, v12
	s_waitcnt lgkmcnt(0)
	v_add_f32_e32 v12, v12, v15
	ds_bpermute_b32 v15, v4, v12
	s_waitcnt lgkmcnt(0)
	v_add_f32_e32 v12, v12, v15
	ds_bpermute_b32 v15, v10, v12
	s_waitcnt lgkmcnt(0)
	v_add_f32_e32 v17, v12, v15
	v_cvt_f32_f16_e32 v12, v9
	v_cvt_f32_f16_sdwa v15, v9 dst_sel:DWORD dst_unused:UNUSED_PAD src0_sel:WORD_1
	ds_bpermute_b32 v18, v11, v17
	s_waitcnt lgkmcnt(0)
	v_add_f32_e32 v9, v17, v18
	ds_write_b32 v13, v9
	s_waitcnt lgkmcnt(0)
	s_barrier
	buffer_gl0_inv
	s_and_saveexec_b32 s0, vcc_lo
	s_cbranch_execz .LBB167_16
; %bb.15:
	ds_read_b32 v9, v5
	s_waitcnt lgkmcnt(0)
	ds_bpermute_b32 v16, v1, v9
	s_waitcnt lgkmcnt(0)
	v_add_f32_e32 v9, v9, v16
	ds_bpermute_b32 v16, v3, v9
	s_waitcnt lgkmcnt(0)
	v_add_f32_e32 v9, v9, v16
	ds_bpermute_b32 v16, v4, v9
	s_waitcnt lgkmcnt(0)
	v_add_f32_e32 v9, v9, v16
	ds_bpermute_b32 v16, v10, v9
	s_waitcnt lgkmcnt(0)
	v_add_f32_e32 v9, v9, v16
	ds_bpermute_b32 v16, v11, v9
	s_waitcnt lgkmcnt(0)
	v_add_f32_e32 v9, v9, v16
.LBB167_16:
	s_or_b32 exec_lo, exec_lo, s0
	ds_bpermute_b32 v16, v1, v14
	v_add_f32_e32 v12, v12, v15
	s_waitcnt lgkmcnt(0)
	s_barrier
	buffer_gl0_inv
	v_add_f32_e32 v14, v14, v16
	ds_bpermute_b32 v16, v3, v14
	s_waitcnt lgkmcnt(0)
	v_add_f32_e32 v14, v14, v16
	ds_bpermute_b32 v16, v4, v14
	s_waitcnt lgkmcnt(0)
	v_add_f32_e32 v14, v14, v16
	ds_bpermute_b32 v16, v10, v14
	s_waitcnt lgkmcnt(0)
	v_add_f32_e32 v17, v14, v16
	v_cvt_f32_f16_e32 v14, v8
	v_cvt_f32_f16_sdwa v16, v8 dst_sel:DWORD dst_unused:UNUSED_PAD src0_sel:WORD_1
	ds_bpermute_b32 v18, v11, v17
	s_waitcnt lgkmcnt(0)
	;; [unrolled: 46-line block ×4, first 2 shown]
	v_add_f32_e32 v6, v17, v18
	ds_write_b32 v13, v6
	s_waitcnt lgkmcnt(0)
	s_barrier
	buffer_gl0_inv
	s_and_saveexec_b32 s0, vcc_lo
	s_cbranch_execz .LBB167_22
; %bb.21:
	ds_read_b32 v6, v5
	s_waitcnt lgkmcnt(0)
	ds_bpermute_b32 v15, v1, v6
	s_waitcnt lgkmcnt(0)
	v_add_f32_e32 v6, v6, v15
	ds_bpermute_b32 v15, v3, v6
	s_waitcnt lgkmcnt(0)
	v_add_f32_e32 v6, v6, v15
	;; [unrolled: 3-line block ×5, first 2 shown]
.LBB167_22:
	s_or_b32 exec_lo, exec_lo, s0
	ds_bpermute_b32 v15, v1, v12
	v_add_f32_e32 v14, v14, v16
	s_waitcnt lgkmcnt(0)
	s_barrier
	buffer_gl0_inv
	v_add_f32_e32 v12, v12, v15
	ds_bpermute_b32 v15, v3, v12
	s_waitcnt lgkmcnt(0)
	v_add_f32_e32 v12, v12, v15
	ds_bpermute_b32 v15, v4, v12
	s_waitcnt lgkmcnt(0)
	v_add_f32_e32 v12, v12, v15
	ds_bpermute_b32 v15, v10, v12
	s_waitcnt lgkmcnt(0)
	v_add_f32_e32 v12, v12, v15
	ds_bpermute_b32 v15, v11, v12
	s_waitcnt lgkmcnt(0)
	v_add_f32_e32 v12, v12, v15
	ds_write_b32 v13, v12
	s_waitcnt lgkmcnt(0)
	s_barrier
	buffer_gl0_inv
	s_and_saveexec_b32 s0, vcc_lo
	s_cbranch_execz .LBB167_24
; %bb.23:
	ds_read_b32 v12, v5
	s_waitcnt lgkmcnt(0)
	ds_bpermute_b32 v15, v1, v12
	s_waitcnt lgkmcnt(0)
	v_add_f32_e32 v12, v12, v15
	ds_bpermute_b32 v15, v3, v12
	s_waitcnt lgkmcnt(0)
	v_add_f32_e32 v12, v12, v15
	;; [unrolled: 3-line block ×5, first 2 shown]
.LBB167_24:
	s_or_b32 exec_lo, exec_lo, s0
	ds_bpermute_b32 v15, v1, v14
	s_waitcnt lgkmcnt(0)
	s_barrier
	buffer_gl0_inv
	v_add_f32_e32 v14, v14, v15
	ds_bpermute_b32 v15, v3, v14
	s_waitcnt lgkmcnt(0)
	v_add_f32_e32 v14, v14, v15
	ds_bpermute_b32 v15, v4, v14
	s_waitcnt lgkmcnt(0)
	;; [unrolled: 3-line block ×4, first 2 shown]
	v_add_f32_e32 v14, v14, v15
	ds_write_b32 v13, v14
	s_waitcnt lgkmcnt(0)
	s_barrier
	buffer_gl0_inv
	s_and_saveexec_b32 s0, vcc_lo
	s_cbranch_execz .LBB167_26
; %bb.25:
	ds_read_b32 v5, v5
	s_waitcnt lgkmcnt(0)
	ds_bpermute_b32 v1, v1, v5
	s_waitcnt lgkmcnt(0)
	v_add_f32_e32 v1, v5, v1
	ds_bpermute_b32 v3, v3, v1
	s_waitcnt lgkmcnt(0)
	v_add_f32_e32 v1, v1, v3
	;; [unrolled: 3-line block ×5, first 2 shown]
.LBB167_26:
	s_or_b32 exec_lo, exec_lo, s0
	s_barrier
	buffer_gl0_inv
	s_mov_b32 s0, exec_lo
	v_cmpx_gt_u32_e32 7, v0
	s_cbranch_execz .LBB167_28
; %bb.27:
	v_cmp_eq_u32_e32 vcc_lo, 1, v0
	s_load_dwordx2 s[0:1], s[4:5], 0x38
	s_mul_hi_i32 s3, s22, s10
	s_mul_i32 s2, s22, s10
	s_mul_i32 s4, s26, s7
	v_cndmask_b32_e32 v1, v2, v9, vcc_lo
	v_cmp_eq_u32_e32 vcc_lo, 2, v0
	s_lshl_b64 s[2:3], s[2:3], 2
	s_ashr_i32 s5, s4, 31
	v_cndmask_b32_e32 v3, v1, v8, vcc_lo
	v_cmp_eq_u32_e32 vcc_lo, 3, v0
	v_mad_u64_u32 v[1:2], null, s18, v0, s[6:7]
	v_cndmask_b32_e32 v2, v3, v7, vcc_lo
	v_cmp_eq_u32_e32 vcc_lo, 4, v0
	s_waitcnt lgkmcnt(0)
	s_add_u32 s2, s0, s2
	s_addc_u32 s3, s1, s3
	v_cndmask_b32_e32 v3, v2, v6, vcc_lo
	v_ashrrev_i32_e32 v2, 31, v1
	v_cmp_eq_u32_e32 vcc_lo, 5, v0
	s_lshl_b64 s[0:1], s[4:5], 2
	s_add_u32 s0, s2, s0
	v_lshlrev_b64 v[1:2], 2, v[1:2]
	v_cndmask_b32_e32 v3, v3, v12, vcc_lo
	v_cmp_eq_u32_e32 vcc_lo, 6, v0
	s_addc_u32 s1, s3, s1
	v_cndmask_b32_e32 v3, v3, v14, vcc_lo
	v_add_co_u32 v0, vcc_lo, s0, v1
	v_add_co_ci_u32_e64 v1, null, s1, v2, vcc_lo
	global_store_dword v[0:1], v3, off
.LBB167_28:
	s_endpgm
	.section	.rodata,"a",@progbits
	.p2align	6, 0x0
	.amdhsa_kernel _ZL13mul_mat_vec_fI6__halfS0_Li7ELi256ELb0ELb0EEvPKT_PKfPKi31ggml_cuda_mm_fusion_args_devicePfi15HIP_vector_typeIjLj3EEiiiSB_iiiSB_iiii
		.amdhsa_group_segment_fixed_size 0
		.amdhsa_private_segment_fixed_size 0
		.amdhsa_kernarg_size 144
		.amdhsa_user_sgpr_count 6
		.amdhsa_user_sgpr_private_segment_buffer 1
		.amdhsa_user_sgpr_dispatch_ptr 0
		.amdhsa_user_sgpr_queue_ptr 0
		.amdhsa_user_sgpr_kernarg_segment_ptr 1
		.amdhsa_user_sgpr_dispatch_id 0
		.amdhsa_user_sgpr_flat_scratch_init 0
		.amdhsa_user_sgpr_private_segment_size 0
		.amdhsa_wavefront_size32 1
		.amdhsa_uses_dynamic_stack 0
		.amdhsa_system_sgpr_private_segment_wavefront_offset 0
		.amdhsa_system_sgpr_workgroup_id_x 1
		.amdhsa_system_sgpr_workgroup_id_y 1
		.amdhsa_system_sgpr_workgroup_id_z 1
		.amdhsa_system_sgpr_workgroup_info 0
		.amdhsa_system_vgpr_workitem_id 0
		.amdhsa_next_free_vgpr 29
		.amdhsa_next_free_sgpr 36
		.amdhsa_reserve_vcc 1
		.amdhsa_reserve_flat_scratch 0
		.amdhsa_float_round_mode_32 0
		.amdhsa_float_round_mode_16_64 0
		.amdhsa_float_denorm_mode_32 3
		.amdhsa_float_denorm_mode_16_64 3
		.amdhsa_dx10_clamp 1
		.amdhsa_ieee_mode 1
		.amdhsa_fp16_overflow 0
		.amdhsa_workgroup_processor_mode 1
		.amdhsa_memory_ordered 1
		.amdhsa_forward_progress 1
		.amdhsa_shared_vgpr_count 0
		.amdhsa_exception_fp_ieee_invalid_op 0
		.amdhsa_exception_fp_denorm_src 0
		.amdhsa_exception_fp_ieee_div_zero 0
		.amdhsa_exception_fp_ieee_overflow 0
		.amdhsa_exception_fp_ieee_underflow 0
		.amdhsa_exception_fp_ieee_inexact 0
		.amdhsa_exception_int_div_zero 0
	.end_amdhsa_kernel
	.section	.text._ZL13mul_mat_vec_fI6__halfS0_Li7ELi256ELb0ELb0EEvPKT_PKfPKi31ggml_cuda_mm_fusion_args_devicePfi15HIP_vector_typeIjLj3EEiiiSB_iiiSB_iiii,"axG",@progbits,_ZL13mul_mat_vec_fI6__halfS0_Li7ELi256ELb0ELb0EEvPKT_PKfPKi31ggml_cuda_mm_fusion_args_devicePfi15HIP_vector_typeIjLj3EEiiiSB_iiiSB_iiii,comdat
.Lfunc_end167:
	.size	_ZL13mul_mat_vec_fI6__halfS0_Li7ELi256ELb0ELb0EEvPKT_PKfPKi31ggml_cuda_mm_fusion_args_devicePfi15HIP_vector_typeIjLj3EEiiiSB_iiiSB_iiii, .Lfunc_end167-_ZL13mul_mat_vec_fI6__halfS0_Li7ELi256ELb0ELb0EEvPKT_PKfPKi31ggml_cuda_mm_fusion_args_devicePfi15HIP_vector_typeIjLj3EEiiiSB_iiiSB_iiii
                                        ; -- End function
	.set _ZL13mul_mat_vec_fI6__halfS0_Li7ELi256ELb0ELb0EEvPKT_PKfPKi31ggml_cuda_mm_fusion_args_devicePfi15HIP_vector_typeIjLj3EEiiiSB_iiiSB_iiii.num_vgpr, 29
	.set _ZL13mul_mat_vec_fI6__halfS0_Li7ELi256ELb0ELb0EEvPKT_PKfPKi31ggml_cuda_mm_fusion_args_devicePfi15HIP_vector_typeIjLj3EEiiiSB_iiiSB_iiii.num_agpr, 0
	.set _ZL13mul_mat_vec_fI6__halfS0_Li7ELi256ELb0ELb0EEvPKT_PKfPKi31ggml_cuda_mm_fusion_args_devicePfi15HIP_vector_typeIjLj3EEiiiSB_iiiSB_iiii.numbered_sgpr, 36
	.set _ZL13mul_mat_vec_fI6__halfS0_Li7ELi256ELb0ELb0EEvPKT_PKfPKi31ggml_cuda_mm_fusion_args_devicePfi15HIP_vector_typeIjLj3EEiiiSB_iiiSB_iiii.num_named_barrier, 0
	.set _ZL13mul_mat_vec_fI6__halfS0_Li7ELi256ELb0ELb0EEvPKT_PKfPKi31ggml_cuda_mm_fusion_args_devicePfi15HIP_vector_typeIjLj3EEiiiSB_iiiSB_iiii.private_seg_size, 0
	.set _ZL13mul_mat_vec_fI6__halfS0_Li7ELi256ELb0ELb0EEvPKT_PKfPKi31ggml_cuda_mm_fusion_args_devicePfi15HIP_vector_typeIjLj3EEiiiSB_iiiSB_iiii.uses_vcc, 1
	.set _ZL13mul_mat_vec_fI6__halfS0_Li7ELi256ELb0ELb0EEvPKT_PKfPKi31ggml_cuda_mm_fusion_args_devicePfi15HIP_vector_typeIjLj3EEiiiSB_iiiSB_iiii.uses_flat_scratch, 0
	.set _ZL13mul_mat_vec_fI6__halfS0_Li7ELi256ELb0ELb0EEvPKT_PKfPKi31ggml_cuda_mm_fusion_args_devicePfi15HIP_vector_typeIjLj3EEiiiSB_iiiSB_iiii.has_dyn_sized_stack, 0
	.set _ZL13mul_mat_vec_fI6__halfS0_Li7ELi256ELb0ELb0EEvPKT_PKfPKi31ggml_cuda_mm_fusion_args_devicePfi15HIP_vector_typeIjLj3EEiiiSB_iiiSB_iiii.has_recursion, 0
	.set _ZL13mul_mat_vec_fI6__halfS0_Li7ELi256ELb0ELb0EEvPKT_PKfPKi31ggml_cuda_mm_fusion_args_devicePfi15HIP_vector_typeIjLj3EEiiiSB_iiiSB_iiii.has_indirect_call, 0
	.section	.AMDGPU.csdata,"",@progbits
; Kernel info:
; codeLenInByte = 3000
; TotalNumSgprs: 38
; NumVgprs: 29
; ScratchSize: 0
; MemoryBound: 0
; FloatMode: 240
; IeeeMode: 1
; LDSByteSize: 0 bytes/workgroup (compile time only)
; SGPRBlocks: 0
; VGPRBlocks: 3
; NumSGPRsForWavesPerEU: 38
; NumVGPRsForWavesPerEU: 29
; Occupancy: 16
; WaveLimiterHint : 0
; COMPUTE_PGM_RSRC2:SCRATCH_EN: 0
; COMPUTE_PGM_RSRC2:USER_SGPR: 6
; COMPUTE_PGM_RSRC2:TRAP_HANDLER: 0
; COMPUTE_PGM_RSRC2:TGID_X_EN: 1
; COMPUTE_PGM_RSRC2:TGID_Y_EN: 1
; COMPUTE_PGM_RSRC2:TGID_Z_EN: 1
; COMPUTE_PGM_RSRC2:TIDIG_COMP_CNT: 0
	.section	.text._ZL13mul_mat_vec_fI6__halfS0_Li8ELi32ELb0ELb0EEvPKT_PKfPKi31ggml_cuda_mm_fusion_args_devicePfi15HIP_vector_typeIjLj3EEiiiSB_iiiSB_iiii,"axG",@progbits,_ZL13mul_mat_vec_fI6__halfS0_Li8ELi32ELb0ELb0EEvPKT_PKfPKi31ggml_cuda_mm_fusion_args_devicePfi15HIP_vector_typeIjLj3EEiiiSB_iiiSB_iiii,comdat
	.globl	_ZL13mul_mat_vec_fI6__halfS0_Li8ELi32ELb0ELb0EEvPKT_PKfPKi31ggml_cuda_mm_fusion_args_devicePfi15HIP_vector_typeIjLj3EEiiiSB_iiiSB_iiii ; -- Begin function _ZL13mul_mat_vec_fI6__halfS0_Li8ELi32ELb0ELb0EEvPKT_PKfPKi31ggml_cuda_mm_fusion_args_devicePfi15HIP_vector_typeIjLj3EEiiiSB_iiiSB_iiii
	.p2align	8
	.type	_ZL13mul_mat_vec_fI6__halfS0_Li8ELi32ELb0ELb0EEvPKT_PKfPKi31ggml_cuda_mm_fusion_args_devicePfi15HIP_vector_typeIjLj3EEiiiSB_iiiSB_iiii,@function
_ZL13mul_mat_vec_fI6__halfS0_Li8ELi32ELb0ELb0EEvPKT_PKfPKi31ggml_cuda_mm_fusion_args_devicePfi15HIP_vector_typeIjLj3EEiiiSB_iiiSB_iiii: ; @_ZL13mul_mat_vec_fI6__halfS0_Li8ELi32ELb0ELb0EEvPKT_PKfPKi31ggml_cuda_mm_fusion_args_devicePfi15HIP_vector_typeIjLj3EEiiiSB_iiiSB_iiii
; %bb.0:
	s_clause 0x2
	s_load_dwordx2 s[20:21], s[4:5], 0x10
	s_load_dwordx8 s[12:19], s[4:5], 0x40
	s_load_dwordx4 s[0:3], s[4:5], 0x80
	s_waitcnt lgkmcnt(0)
	s_cmp_eq_u64 s[20:21], 0
	s_cselect_b32 s9, -1, 0
	s_cmp_lg_u64 s[20:21], 0
	s_cselect_b32 s25, -1, 0
	s_and_b32 vcc_lo, exec_lo, s9
	s_cbranch_vccnz .LBB168_2
; %bb.1:
	s_mul_i32 s3, s3, s8
	s_mov_b32 s11, 0
	s_add_i32 s10, s3, s7
	s_lshl_b64 s[22:23], s[10:11], 2
	s_add_u32 s20, s20, s22
	s_addc_u32 s21, s21, s23
	s_load_dword s24, s[20:21], 0x0
	s_load_dwordx4 s[20:23], s[4:5], 0x68
	s_cbranch_execz .LBB168_3
	s_branch .LBB168_4
.LBB168_2:
                                        ; implicit-def: $sgpr24
	s_load_dwordx4 s[20:23], s[4:5], 0x68
.LBB168_3:
	s_load_dwordx2 s[10:11], s[4:5], 0x5c
	s_waitcnt lgkmcnt(0)
	s_mul_hi_u32 s3, s10, s7
	s_add_i32 s3, s7, s3
	s_lshr_b32 s24, s3, s11
.LBB168_4:
	s_load_dword s19, s[4:5], 0x78
	s_andn2_b32 vcc_lo, exec_lo, s25
	s_mov_b32 s25, s7
	s_cbranch_vccnz .LBB168_6
; %bb.5:
	s_mul_hi_u32 s3, s13, s7
	s_add_i32 s3, s7, s3
	s_lshr_b32 s3, s3, s14
	s_mul_i32 s3, s3, s15
	s_sub_i32 s25, s7, s3
.LBB168_6:
	v_mov_b32_e32 v12, 0
	v_mov_b32_e32 v11, 0
	;; [unrolled: 1-line block ×8, first 2 shown]
	s_and_b32 s3, exec_lo, s9
	s_cselect_b32 s3, s8, 0
	s_mov_b32 s13, exec_lo
	v_cmpx_gt_i32_e64 s12, v0
	s_cbranch_execz .LBB168_10
; %bb.7:
	s_load_dwordx4 s[8:11], s[4:5], 0x0
	s_waitcnt lgkmcnt(0)
	s_mul_hi_u32 s23, s23, s3
	s_mul_hi_i32 s29, s1, s3
	s_mul_i32 s28, s1, s3
	s_mul_i32 s24, s24, s20
	s_add_i32 s1, s3, s23
	s_lshl_b64 s[28:29], s[28:29], 2
	s_mul_i32 s26, s16, s6
	s_mul_i32 s20, s25, s21
	s_ashr_i32 s25, s24, 31
	s_lshr_b32 s16, s1, s19
	s_mov_b32 s30, s17
	s_mul_hi_i32 s1, s16, s0
	s_mul_i32 s0, s16, s0
	v_lshlrev_b32_e32 v2, 3, v0
	v_lshlrev_b32_e32 v1, 2, v0
	v_mov_b32_e32 v5, 0
	v_mov_b32_e32 v6, 0
	;; [unrolled: 1-line block ×4, first 2 shown]
	s_add_u32 s19, s10, s28
	s_addc_u32 s23, s11, s29
	s_ashr_i32 s21, s20, 31
	s_ashr_i32 s27, s26, 31
	s_lshl_b64 s[34:35], s[20:21], 2
	v_mov_b32_e32 v9, 0
	s_add_u32 s16, s19, s34
	s_addc_u32 s19, s23, s35
	s_lshl_b64 s[24:25], s[24:25], 1
	s_ashr_i32 s31, s17, 31
	s_add_i32 s20, s17, s17
	s_lshl_b32 s21, s17, 2
	s_lshl_b64 s[0:1], s[0:1], 1
	s_lshl_b64 s[26:27], s[26:27], 1
	s_add_u32 s8, s8, s24
	s_addc_u32 s9, s9, s25
	s_add_u32 s8, s8, s26
	s_addc_u32 s9, s9, s27
	s_add_u32 s8, s8, s0
	s_addc_u32 s9, s9, s1
	s_lshl_b64 s[0:1], s[30:31], 3
	s_add_u32 s10, s10, s34
	s_addc_u32 s11, s11, s35
	s_add_u32 s10, s10, s28
	s_addc_u32 s11, s11, s29
	v_add_co_u32 v3, s10, s10, v2
	v_add_co_ci_u32_e64 v4, null, s11, 0, s10
	v_add_co_u32 v1, s8, s8, v1
	v_add_co_u32 v3, vcc_lo, v3, 4
	v_add_co_ci_u32_e64 v2, null, s9, 0, s8
	v_add_co_ci_u32_e64 v4, null, 0, v4, vcc_lo
	v_mov_b32_e32 v10, 0
	v_mov_b32_e32 v11, 0
	;; [unrolled: 1-line block ×4, first 2 shown]
	s_mul_i32 s14, s17, 3
	s_mul_i32 s15, s17, 5
	;; [unrolled: 1-line block ×4, first 2 shown]
	s_mov_b32 s9, 0
.LBB168_8:                              ; =>This Inner Loop Header: Depth=1
	v_add_nc_u32_e32 v18, s20, v13
	v_add_nc_u32_e32 v20, s14, v13
	;; [unrolled: 1-line block ×5, first 2 shown]
	v_ashrrev_i32_e32 v19, 31, v18
	v_ashrrev_i32_e32 v21, 31, v20
	;; [unrolled: 1-line block ×3, first 2 shown]
	v_add_nc_u32_e32 v28, s10, v13
	v_ashrrev_i32_e32 v25, 31, v24
	v_lshlrev_b64 v[18:19], 3, v[18:19]
	v_add_co_u32 v16, vcc_lo, v3, s0
	v_lshlrev_b64 v[20:21], 3, v[20:21]
	v_ashrrev_i32_e32 v27, 31, v26
	v_add_co_ci_u32_e64 v17, null, s1, v4, vcc_lo
	v_lshlrev_b64 v[22:23], 3, v[22:23]
	v_ashrrev_i32_e32 v29, 31, v28
	v_lshlrev_b64 v[24:25], 3, v[24:25]
	v_add_co_u32 v18, vcc_lo, s16, v18
	v_lshlrev_b64 v[26:27], 3, v[26:27]
	v_add_co_ci_u32_e64 v19, null, s19, v19, vcc_lo
	v_add_co_u32 v20, vcc_lo, s16, v20
	s_clause 0x1
	global_load_dwordx2 v[14:15], v[3:4], off offset:-4
	global_load_dwordx2 v[16:17], v[16:17], off offset:-4
	v_lshlrev_b64 v[28:29], 3, v[28:29]
	v_add_co_ci_u32_e64 v21, null, s19, v21, vcc_lo
	v_add_co_u32 v22, vcc_lo, s16, v22
	v_add_co_ci_u32_e64 v23, null, s19, v23, vcc_lo
	v_add_co_u32 v24, vcc_lo, s16, v24
	;; [unrolled: 2-line block ×4, first 2 shown]
	v_add_co_ci_u32_e64 v29, null, s19, v29, vcc_lo
	s_clause 0x5
	global_load_dwordx2 v[18:19], v[18:19], off
	global_load_dwordx2 v[20:21], v[20:21], off
	;; [unrolled: 1-line block ×6, first 2 shown]
	global_load_dword v30, v[1:2], off
	v_add_nc_u32_e32 v13, 32, v13
	v_add_co_u32 v1, vcc_lo, 0x80, v1
	v_add_co_ci_u32_e64 v2, null, 0, v2, vcc_lo
	v_add_co_u32 v3, vcc_lo, 0x100, v3
	v_add_co_ci_u32_e64 v4, null, 0, v4, vcc_lo
	v_cmp_le_i32_e32 vcc_lo, s12, v13
	s_or_b32 s9, vcc_lo, s9
	s_waitcnt vmcnt(8)
	v_cvt_f16_f32_e32 v14, v14
	v_cvt_f16_f32_e32 v15, v15
	s_waitcnt vmcnt(7)
	v_cvt_f16_f32_e32 v16, v16
	v_cvt_f16_f32_e32 v17, v17
	v_pack_b32_f16 v14, v14, v15
	v_pack_b32_f16 v15, v16, v17
	s_waitcnt vmcnt(5)
	v_cvt_f16_f32_e32 v16, v20
	v_cvt_f16_f32_e32 v17, v21
	s_waitcnt vmcnt(3)
	v_cvt_f16_f32_e32 v20, v24
	v_cvt_f16_f32_e32 v21, v25
	s_waitcnt vmcnt(1)
	v_cvt_f16_f32_e32 v24, v28
	s_waitcnt vmcnt(0)
	v_pk_fma_f16 v12, v30, v14, v12
	v_pk_fma_f16 v11, v30, v15, v11
	v_cvt_f16_f32_e32 v14, v18
	v_cvt_f16_f32_e32 v15, v19
	v_cvt_f16_f32_e32 v18, v22
	v_cvt_f16_f32_e32 v19, v23
	v_cvt_f16_f32_e32 v22, v26
	v_cvt_f16_f32_e32 v23, v27
	v_cvt_f16_f32_e32 v25, v29
	v_pack_b32_f16 v14, v14, v15
	v_pack_b32_f16 v15, v16, v17
	;; [unrolled: 1-line block ×6, first 2 shown]
	v_pk_fma_f16 v10, v30, v14, v10
	v_pk_fma_f16 v9, v30, v15, v9
	v_pk_fma_f16 v8, v30, v16, v8
	v_pk_fma_f16 v7, v30, v17, v7
	v_pk_fma_f16 v6, v30, v18, v6
	v_pk_fma_f16 v5, v30, v19, v5
	s_andn2_b32 exec_lo, exec_lo, s9
	s_cbranch_execnz .LBB168_8
; %bb.9:
	s_or_b32 exec_lo, exec_lo, s9
.LBB168_10:
	s_or_b32 exec_lo, exec_lo, s13
	v_cvt_f32_f16_e32 v3, v11
	v_cvt_f32_f16_sdwa v4, v11 dst_sel:DWORD dst_unused:UNUSED_PAD src0_sel:WORD_1
	v_mbcnt_lo_u32_b32 v11, -1, 0
	v_cvt_f32_f16_e32 v1, v12
	v_cvt_f32_f16_sdwa v2, v12 dst_sel:DWORD dst_unused:UNUSED_PAD src0_sel:WORD_1
	v_cvt_f32_f16_e32 v12, v10
	v_cvt_f32_f16_sdwa v10, v10 dst_sel:DWORD dst_unused:UNUSED_PAD src0_sel:WORD_1
	v_xor_b32_e32 v14, 16, v11
	v_cvt_f32_f16_e32 v13, v9
	v_cvt_f32_f16_sdwa v9, v9 dst_sel:DWORD dst_unused:UNUSED_PAD src0_sel:WORD_1
	v_add_f32_e32 v1, v1, v2
	v_add_f32_e32 v2, v3, v4
	v_cmp_gt_i32_e32 vcc_lo, 32, v14
	v_add_f32_e32 v3, v12, v10
	v_add_f32_e32 v4, v13, v9
	v_cvt_f32_f16_e32 v10, v8
	v_cvt_f32_f16_sdwa v8, v8 dst_sel:DWORD dst_unused:UNUSED_PAD src0_sel:WORD_1
	v_cndmask_b32_e32 v9, v11, v14, vcc_lo
	v_cvt_f32_f16_e32 v12, v7
	v_cvt_f32_f16_sdwa v7, v7 dst_sel:DWORD dst_unused:UNUSED_PAD src0_sel:WORD_1
	v_cvt_f32_f16_e32 v13, v6
	v_cvt_f32_f16_sdwa v6, v6 dst_sel:DWORD dst_unused:UNUSED_PAD src0_sel:WORD_1
	;; [unrolled: 2-line block ×3, first 2 shown]
	v_lshlrev_b32_e32 v9, 2, v9
	v_add_f32_e32 v8, v10, v8
	v_add_f32_e32 v7, v12, v7
	;; [unrolled: 1-line block ×4, first 2 shown]
	ds_bpermute_b32 v15, v9, v1
	ds_bpermute_b32 v16, v9, v2
	;; [unrolled: 1-line block ×8, first 2 shown]
	v_xor_b32_e32 v10, 8, v11
	s_mov_b32 s0, exec_lo
	v_cmp_gt_i32_e32 vcc_lo, 32, v10
	v_cndmask_b32_e32 v10, v11, v10, vcc_lo
	s_waitcnt lgkmcnt(0)
	v_add_f32_e32 v1, v1, v15
	v_add_f32_e32 v2, v2, v16
	;; [unrolled: 1-line block ×3, first 2 shown]
	v_lshlrev_b32_e32 v10, 2, v10
	v_add_f32_e32 v4, v4, v12
	v_add_f32_e32 v8, v8, v13
	;; [unrolled: 1-line block ×5, first 2 shown]
	ds_bpermute_b32 v15, v10, v1
	ds_bpermute_b32 v16, v10, v2
	;; [unrolled: 1-line block ×8, first 2 shown]
	v_xor_b32_e32 v18, 4, v11
	v_cmp_gt_i32_e32 vcc_lo, 32, v18
	v_cndmask_b32_e32 v18, v11, v18, vcc_lo
	s_waitcnt lgkmcnt(7)
	v_add_f32_e32 v1, v1, v15
	s_waitcnt lgkmcnt(6)
	v_add_f32_e32 v2, v2, v16
	;; [unrolled: 2-line block ×3, first 2 shown]
	v_lshlrev_b32_e32 v18, 2, v18
	s_waitcnt lgkmcnt(4)
	v_add_f32_e32 v4, v4, v9
	s_waitcnt lgkmcnt(3)
	v_add_f32_e32 v8, v8, v12
	;; [unrolled: 2-line block ×5, first 2 shown]
	ds_bpermute_b32 v9, v18, v1
	ds_bpermute_b32 v10, v18, v2
	ds_bpermute_b32 v12, v18, v3
	ds_bpermute_b32 v13, v18, v4
	ds_bpermute_b32 v14, v18, v8
	ds_bpermute_b32 v15, v18, v7
	ds_bpermute_b32 v16, v18, v6
	ds_bpermute_b32 v17, v18, v5
	v_xor_b32_e32 v18, 2, v11
	v_cmp_gt_i32_e32 vcc_lo, 32, v18
	v_cndmask_b32_e32 v18, v11, v18, vcc_lo
	s_waitcnt lgkmcnt(7)
	v_add_f32_e32 v1, v1, v9
	s_waitcnt lgkmcnt(6)
	v_add_f32_e32 v2, v2, v10
	;; [unrolled: 2-line block ×3, first 2 shown]
	v_lshlrev_b32_e32 v18, 2, v18
	s_waitcnt lgkmcnt(4)
	v_add_f32_e32 v4, v4, v13
	s_waitcnt lgkmcnt(3)
	v_add_f32_e32 v8, v8, v14
	;; [unrolled: 2-line block ×5, first 2 shown]
	ds_bpermute_b32 v5, v18, v1
	ds_bpermute_b32 v6, v18, v2
	;; [unrolled: 1-line block ×8, first 2 shown]
	v_xor_b32_e32 v10, 1, v11
	v_cmp_gt_i32_e32 vcc_lo, 32, v10
	v_cndmask_b32_e32 v10, v11, v10, vcc_lo
	s_waitcnt lgkmcnt(7)
	v_add_f32_e32 v12, v1, v5
	s_waitcnt lgkmcnt(6)
	v_add_f32_e32 v13, v2, v6
	v_lshlrev_b32_e32 v21, 2, v10
	s_waitcnt lgkmcnt(5)
	v_add_f32_e32 v10, v3, v7
	s_waitcnt lgkmcnt(4)
	v_add_f32_e32 v7, v4, v16
	;; [unrolled: 2-line block ×6, first 2 shown]
	ds_bpermute_b32 v15, v21, v12
	ds_bpermute_b32 v16, v21, v13
	ds_bpermute_b32 v14, v21, v10
	ds_bpermute_b32 v11, v21, v7
	ds_bpermute_b32 v8, v21, v5
	ds_bpermute_b32 v9, v21, v6
	ds_bpermute_b32 v4, v21, v2
	ds_bpermute_b32 v3, v21, v1
	v_cmpx_gt_u32_e32 8, v0
	s_cbranch_execz .LBB168_12
; %bb.11:
	s_waitcnt lgkmcnt(7)
	v_add_f32_e32 v12, v12, v15
	s_waitcnt lgkmcnt(6)
	v_add_f32_e32 v13, v13, v16
	v_cmp_eq_u32_e32 vcc_lo, 1, v0
	s_waitcnt lgkmcnt(5)
	v_add_f32_e32 v10, v10, v14
	s_load_dwordx2 s[0:1], s[4:5], 0x38
	s_waitcnt lgkmcnt(0)
	v_add_f32_e32 v7, v7, v11
	v_add_f32_e32 v8, v5, v8
	v_cndmask_b32_e32 v12, v12, v13, vcc_lo
	v_cmp_eq_u32_e32 vcc_lo, 2, v0
	v_add_f32_e32 v9, v6, v9
	v_mad_u64_u32 v[5:6], null, s18, v0, s[6:7]
	s_mul_hi_i32 s5, s2, s3
	v_cndmask_b32_e32 v10, v12, v10, vcc_lo
	v_cmp_eq_u32_e32 vcc_lo, 3, v0
	s_mul_i32 s4, s2, s3
	v_add_f32_e32 v2, v2, v4
	s_lshl_b64 s[4:5], s[4:5], 2
	s_mul_i32 s2, s22, s7
	v_cndmask_b32_e32 v7, v10, v7, vcc_lo
	v_cmp_eq_u32_e32 vcc_lo, 4, v0
	v_add_f32_e32 v3, v1, v3
	s_add_u32 s4, s0, s4
	v_cndmask_b32_e32 v6, v7, v8, vcc_lo
	v_cmp_eq_u32_e32 vcc_lo, 5, v0
	s_addc_u32 s5, s1, s5
	s_ashr_i32 s3, s2, 31
	s_lshl_b64 s[0:1], s[2:3], 2
	v_cndmask_b32_e32 v4, v6, v9, vcc_lo
	v_ashrrev_i32_e32 v6, 31, v5
	v_cmp_eq_u32_e32 vcc_lo, 6, v0
	s_add_u32 s0, s4, s0
	s_addc_u32 s1, s5, s1
	v_cndmask_b32_e32 v4, v4, v2, vcc_lo
	v_lshlrev_b64 v[1:2], 2, v[5:6]
	v_cmp_eq_u32_e32 vcc_lo, 7, v0
	v_cndmask_b32_e32 v3, v4, v3, vcc_lo
	v_add_co_u32 v0, vcc_lo, s0, v1
	v_add_co_ci_u32_e64 v1, null, s1, v2, vcc_lo
	global_store_dword v[0:1], v3, off
.LBB168_12:
	s_endpgm
	.section	.rodata,"a",@progbits
	.p2align	6, 0x0
	.amdhsa_kernel _ZL13mul_mat_vec_fI6__halfS0_Li8ELi32ELb0ELb0EEvPKT_PKfPKi31ggml_cuda_mm_fusion_args_devicePfi15HIP_vector_typeIjLj3EEiiiSB_iiiSB_iiii
		.amdhsa_group_segment_fixed_size 0
		.amdhsa_private_segment_fixed_size 0
		.amdhsa_kernarg_size 144
		.amdhsa_user_sgpr_count 6
		.amdhsa_user_sgpr_private_segment_buffer 1
		.amdhsa_user_sgpr_dispatch_ptr 0
		.amdhsa_user_sgpr_queue_ptr 0
		.amdhsa_user_sgpr_kernarg_segment_ptr 1
		.amdhsa_user_sgpr_dispatch_id 0
		.amdhsa_user_sgpr_flat_scratch_init 0
		.amdhsa_user_sgpr_private_segment_size 0
		.amdhsa_wavefront_size32 1
		.amdhsa_uses_dynamic_stack 0
		.amdhsa_system_sgpr_private_segment_wavefront_offset 0
		.amdhsa_system_sgpr_workgroup_id_x 1
		.amdhsa_system_sgpr_workgroup_id_y 1
		.amdhsa_system_sgpr_workgroup_id_z 1
		.amdhsa_system_sgpr_workgroup_info 0
		.amdhsa_system_vgpr_workitem_id 0
		.amdhsa_next_free_vgpr 31
		.amdhsa_next_free_sgpr 36
		.amdhsa_reserve_vcc 1
		.amdhsa_reserve_flat_scratch 0
		.amdhsa_float_round_mode_32 0
		.amdhsa_float_round_mode_16_64 0
		.amdhsa_float_denorm_mode_32 3
		.amdhsa_float_denorm_mode_16_64 3
		.amdhsa_dx10_clamp 1
		.amdhsa_ieee_mode 1
		.amdhsa_fp16_overflow 0
		.amdhsa_workgroup_processor_mode 1
		.amdhsa_memory_ordered 1
		.amdhsa_forward_progress 1
		.amdhsa_shared_vgpr_count 0
		.amdhsa_exception_fp_ieee_invalid_op 0
		.amdhsa_exception_fp_denorm_src 0
		.amdhsa_exception_fp_ieee_div_zero 0
		.amdhsa_exception_fp_ieee_overflow 0
		.amdhsa_exception_fp_ieee_underflow 0
		.amdhsa_exception_fp_ieee_inexact 0
		.amdhsa_exception_int_div_zero 0
	.end_amdhsa_kernel
	.section	.text._ZL13mul_mat_vec_fI6__halfS0_Li8ELi32ELb0ELb0EEvPKT_PKfPKi31ggml_cuda_mm_fusion_args_devicePfi15HIP_vector_typeIjLj3EEiiiSB_iiiSB_iiii,"axG",@progbits,_ZL13mul_mat_vec_fI6__halfS0_Li8ELi32ELb0ELb0EEvPKT_PKfPKi31ggml_cuda_mm_fusion_args_devicePfi15HIP_vector_typeIjLj3EEiiiSB_iiiSB_iiii,comdat
.Lfunc_end168:
	.size	_ZL13mul_mat_vec_fI6__halfS0_Li8ELi32ELb0ELb0EEvPKT_PKfPKi31ggml_cuda_mm_fusion_args_devicePfi15HIP_vector_typeIjLj3EEiiiSB_iiiSB_iiii, .Lfunc_end168-_ZL13mul_mat_vec_fI6__halfS0_Li8ELi32ELb0ELb0EEvPKT_PKfPKi31ggml_cuda_mm_fusion_args_devicePfi15HIP_vector_typeIjLj3EEiiiSB_iiiSB_iiii
                                        ; -- End function
	.set _ZL13mul_mat_vec_fI6__halfS0_Li8ELi32ELb0ELb0EEvPKT_PKfPKi31ggml_cuda_mm_fusion_args_devicePfi15HIP_vector_typeIjLj3EEiiiSB_iiiSB_iiii.num_vgpr, 31
	.set _ZL13mul_mat_vec_fI6__halfS0_Li8ELi32ELb0ELb0EEvPKT_PKfPKi31ggml_cuda_mm_fusion_args_devicePfi15HIP_vector_typeIjLj3EEiiiSB_iiiSB_iiii.num_agpr, 0
	.set _ZL13mul_mat_vec_fI6__halfS0_Li8ELi32ELb0ELb0EEvPKT_PKfPKi31ggml_cuda_mm_fusion_args_devicePfi15HIP_vector_typeIjLj3EEiiiSB_iiiSB_iiii.numbered_sgpr, 36
	.set _ZL13mul_mat_vec_fI6__halfS0_Li8ELi32ELb0ELb0EEvPKT_PKfPKi31ggml_cuda_mm_fusion_args_devicePfi15HIP_vector_typeIjLj3EEiiiSB_iiiSB_iiii.num_named_barrier, 0
	.set _ZL13mul_mat_vec_fI6__halfS0_Li8ELi32ELb0ELb0EEvPKT_PKfPKi31ggml_cuda_mm_fusion_args_devicePfi15HIP_vector_typeIjLj3EEiiiSB_iiiSB_iiii.private_seg_size, 0
	.set _ZL13mul_mat_vec_fI6__halfS0_Li8ELi32ELb0ELb0EEvPKT_PKfPKi31ggml_cuda_mm_fusion_args_devicePfi15HIP_vector_typeIjLj3EEiiiSB_iiiSB_iiii.uses_vcc, 1
	.set _ZL13mul_mat_vec_fI6__halfS0_Li8ELi32ELb0ELb0EEvPKT_PKfPKi31ggml_cuda_mm_fusion_args_devicePfi15HIP_vector_typeIjLj3EEiiiSB_iiiSB_iiii.uses_flat_scratch, 0
	.set _ZL13mul_mat_vec_fI6__halfS0_Li8ELi32ELb0ELb0EEvPKT_PKfPKi31ggml_cuda_mm_fusion_args_devicePfi15HIP_vector_typeIjLj3EEiiiSB_iiiSB_iiii.has_dyn_sized_stack, 0
	.set _ZL13mul_mat_vec_fI6__halfS0_Li8ELi32ELb0ELb0EEvPKT_PKfPKi31ggml_cuda_mm_fusion_args_devicePfi15HIP_vector_typeIjLj3EEiiiSB_iiiSB_iiii.has_recursion, 0
	.set _ZL13mul_mat_vec_fI6__halfS0_Li8ELi32ELb0ELb0EEvPKT_PKfPKi31ggml_cuda_mm_fusion_args_devicePfi15HIP_vector_typeIjLj3EEiiiSB_iiiSB_iiii.has_indirect_call, 0
	.section	.AMDGPU.csdata,"",@progbits
; Kernel info:
; codeLenInByte = 2052
; TotalNumSgprs: 38
; NumVgprs: 31
; ScratchSize: 0
; MemoryBound: 0
; FloatMode: 240
; IeeeMode: 1
; LDSByteSize: 0 bytes/workgroup (compile time only)
; SGPRBlocks: 0
; VGPRBlocks: 3
; NumSGPRsForWavesPerEU: 38
; NumVGPRsForWavesPerEU: 31
; Occupancy: 16
; WaveLimiterHint : 0
; COMPUTE_PGM_RSRC2:SCRATCH_EN: 0
; COMPUTE_PGM_RSRC2:USER_SGPR: 6
; COMPUTE_PGM_RSRC2:TRAP_HANDLER: 0
; COMPUTE_PGM_RSRC2:TGID_X_EN: 1
; COMPUTE_PGM_RSRC2:TGID_Y_EN: 1
; COMPUTE_PGM_RSRC2:TGID_Z_EN: 1
; COMPUTE_PGM_RSRC2:TIDIG_COMP_CNT: 0
	.section	.text._ZL13mul_mat_vec_fI6__halfS0_Li8ELi64ELb0ELb0EEvPKT_PKfPKi31ggml_cuda_mm_fusion_args_devicePfi15HIP_vector_typeIjLj3EEiiiSB_iiiSB_iiii,"axG",@progbits,_ZL13mul_mat_vec_fI6__halfS0_Li8ELi64ELb0ELb0EEvPKT_PKfPKi31ggml_cuda_mm_fusion_args_devicePfi15HIP_vector_typeIjLj3EEiiiSB_iiiSB_iiii,comdat
	.globl	_ZL13mul_mat_vec_fI6__halfS0_Li8ELi64ELb0ELb0EEvPKT_PKfPKi31ggml_cuda_mm_fusion_args_devicePfi15HIP_vector_typeIjLj3EEiiiSB_iiiSB_iiii ; -- Begin function _ZL13mul_mat_vec_fI6__halfS0_Li8ELi64ELb0ELb0EEvPKT_PKfPKi31ggml_cuda_mm_fusion_args_devicePfi15HIP_vector_typeIjLj3EEiiiSB_iiiSB_iiii
	.p2align	8
	.type	_ZL13mul_mat_vec_fI6__halfS0_Li8ELi64ELb0ELb0EEvPKT_PKfPKi31ggml_cuda_mm_fusion_args_devicePfi15HIP_vector_typeIjLj3EEiiiSB_iiiSB_iiii,@function
_ZL13mul_mat_vec_fI6__halfS0_Li8ELi64ELb0ELb0EEvPKT_PKfPKi31ggml_cuda_mm_fusion_args_devicePfi15HIP_vector_typeIjLj3EEiiiSB_iiiSB_iiii: ; @_ZL13mul_mat_vec_fI6__halfS0_Li8ELi64ELb0ELb0EEvPKT_PKfPKi31ggml_cuda_mm_fusion_args_devicePfi15HIP_vector_typeIjLj3EEiiiSB_iiiSB_iiii
; %bb.0:
	s_clause 0x2
	s_load_dwordx2 s[0:1], s[4:5], 0x10
	s_load_dwordx8 s[12:19], s[4:5], 0x40
	s_load_dwordx4 s[20:23], s[4:5], 0x80
	s_waitcnt lgkmcnt(0)
	s_cmp_eq_u64 s[0:1], 0
	s_cselect_b32 s10, -1, 0
	s_cmp_lg_u64 s[0:1], 0
	s_cselect_b32 s11, -1, 0
	s_and_b32 vcc_lo, exec_lo, s10
	s_cbranch_vccnz .LBB169_2
; %bb.1:
	s_mul_i32 s2, s23, s8
	s_mov_b32 s3, 0
	s_add_i32 s2, s2, s7
	s_lshl_b64 s[24:25], s[2:3], 2
	s_add_u32 s0, s0, s24
	s_addc_u32 s1, s1, s25
	s_load_dword s9, s[0:1], 0x0
	s_cbranch_execz .LBB169_3
	s_branch .LBB169_4
.LBB169_2:
                                        ; implicit-def: $sgpr9
.LBB169_3:
	s_load_dwordx2 s[0:1], s[4:5], 0x5c
	s_waitcnt lgkmcnt(0)
	s_mul_hi_u32 s0, s0, s7
	s_add_i32 s0, s7, s0
	s_lshr_b32 s9, s0, s1
.LBB169_4:
	s_load_dwordx4 s[24:27], s[4:5], 0x68
	s_andn2_b32 vcc_lo, exec_lo, s11
	s_mov_b32 s19, s7
	s_cbranch_vccnz .LBB169_6
; %bb.5:
	s_mul_hi_u32 s0, s13, s7
	s_add_i32 s0, s7, s0
	s_lshr_b32 s0, s0, s14
	s_mul_i32 s0, s0, s15
	s_sub_i32 s19, s7, s0
.LBB169_6:
	s_load_dword s14, s[4:5], 0x78
	v_cmp_gt_u32_e32 vcc_lo, 32, v0
	v_lshl_add_u32 v5, v0, 2, 0
	s_and_saveexec_b32 s0, vcc_lo
; %bb.7:
	v_mov_b32_e32 v1, 0
	ds_write_b32 v5, v1
; %bb.8:
	s_or_b32 exec_lo, exec_lo, s0
	v_mov_b32_e32 v10, 0
	v_mov_b32_e32 v13, 0
	;; [unrolled: 1-line block ×8, first 2 shown]
	s_and_b32 s0, exec_lo, s10
	s_cselect_b32 s10, s8, 0
	s_mov_b32 s11, exec_lo
	s_waitcnt lgkmcnt(0)
	s_barrier
	buffer_gl0_inv
	v_cmpx_gt_i32_e64 s12, v0
	s_cbranch_execz .LBB169_12
; %bb.9:
	s_load_dwordx4 s[0:3], s[4:5], 0x0
	s_mul_hi_u32 s15, s27, s10
	s_mul_hi_i32 s29, s21, s10
	s_mul_i32 s28, s21, s10
	s_mul_i32 s8, s9, s24
	;; [unrolled: 1-line block ×4, first 2 shown]
	s_add_i32 s15, s10, s15
	s_lshl_b64 s[28:29], s[28:29], 2
	s_ashr_i32 s9, s8, 31
	s_ashr_i32 s25, s24, 31
	;; [unrolled: 1-line block ×3, first 2 shown]
	s_lshr_b32 s14, s15, s14
	s_mov_b32 s34, s17
	s_mul_hi_i32 s37, s14, s20
	s_mul_i32 s36, s14, s20
	v_lshlrev_b32_e32 v2, 3, v0
	v_lshlrev_b32_e32 v1, 2, v0
	v_mov_b32_e32 v6, 0
	v_mov_b32_e32 v7, 0
	s_waitcnt lgkmcnt(0)
	s_add_u32 s15, s2, s28
	s_addc_u32 s16, s3, s29
	s_lshl_b64 s[30:31], s[30:31], 2
	v_mov_b32_e32 v8, 0
	s_add_u32 s14, s15, s30
	s_addc_u32 s15, s16, s31
	s_lshl_b64 s[8:9], s[8:9], 1
	s_ashr_i32 s35, s17, 31
	s_add_i32 s16, s17, s17
	s_lshl_b32 s19, s17, 2
	s_lshl_b64 s[36:37], s[36:37], 1
	s_lshl_b64 s[24:25], s[24:25], 1
	s_add_u32 s0, s0, s8
	s_addc_u32 s1, s1, s9
	s_add_u32 s0, s0, s24
	s_addc_u32 s1, s1, s25
	;; [unrolled: 2-line block ×3, first 2 shown]
	s_lshl_b64 s[8:9], s[34:35], 3
	s_add_u32 s2, s2, s30
	s_addc_u32 s3, s3, s31
	s_add_u32 s2, s2, s28
	s_addc_u32 s3, s3, s29
	v_add_co_u32 v3, s2, s2, v2
	v_add_co_ci_u32_e64 v4, null, s3, 0, s2
	v_add_co_u32 v1, s0, s0, v1
	v_add_co_ci_u32_e64 v2, null, s1, 0, s0
	;; [unrolled: 2-line block ×3, first 2 shown]
	v_mov_b32_e32 v9, 0
	v_mov_b32_e32 v11, 0
	;; [unrolled: 1-line block ×6, first 2 shown]
	s_mul_i32 s13, s17, 3
	s_mul_i32 s20, s17, 5
	;; [unrolled: 1-line block ×4, first 2 shown]
	s_mov_b32 s2, 0
.LBB169_10:                             ; =>This Inner Loop Header: Depth=1
	v_add_nc_u32_e32 v19, s16, v12
	v_add_nc_u32_e32 v21, s13, v12
	;; [unrolled: 1-line block ×5, first 2 shown]
	v_ashrrev_i32_e32 v20, 31, v19
	v_ashrrev_i32_e32 v22, 31, v21
	;; [unrolled: 1-line block ×3, first 2 shown]
	v_add_nc_u32_e32 v29, s3, v12
	v_ashrrev_i32_e32 v26, 31, v25
	v_lshlrev_b64 v[19:20], 3, v[19:20]
	v_add_co_u32 v17, s0, v3, s8
	v_lshlrev_b64 v[21:22], 3, v[21:22]
	v_ashrrev_i32_e32 v28, 31, v27
	v_add_co_ci_u32_e64 v18, null, s9, v4, s0
	v_lshlrev_b64 v[23:24], 3, v[23:24]
	v_ashrrev_i32_e32 v30, 31, v29
	v_lshlrev_b64 v[25:26], 3, v[25:26]
	v_add_co_u32 v19, s0, s14, v19
	v_lshlrev_b64 v[27:28], 3, v[27:28]
	v_add_co_ci_u32_e64 v20, null, s15, v20, s0
	v_add_co_u32 v21, s0, s14, v21
	s_clause 0x1
	global_load_dwordx2 v[15:16], v[3:4], off offset:-4
	global_load_dwordx2 v[17:18], v[17:18], off offset:-4
	v_lshlrev_b64 v[29:30], 3, v[29:30]
	v_add_co_ci_u32_e64 v22, null, s15, v22, s0
	v_add_co_u32 v23, s0, s14, v23
	v_add_co_ci_u32_e64 v24, null, s15, v24, s0
	v_add_co_u32 v25, s0, s14, v25
	v_add_co_ci_u32_e64 v26, null, s15, v26, s0
	v_add_co_u32 v27, s0, s14, v27
	v_add_co_ci_u32_e64 v28, null, s15, v28, s0
	v_add_co_u32 v29, s0, s14, v29
	v_add_co_ci_u32_e64 v30, null, s15, v30, s0
	s_clause 0x5
	global_load_dwordx2 v[19:20], v[19:20], off
	global_load_dwordx2 v[21:22], v[21:22], off
	;; [unrolled: 1-line block ×6, first 2 shown]
	global_load_dword v31, v[1:2], off
	v_add_nc_u32_e32 v12, 64, v12
	v_add_co_u32 v1, s0, 0x100, v1
	v_add_co_ci_u32_e64 v2, null, 0, v2, s0
	v_add_co_u32 v3, s0, 0x200, v3
	v_add_co_ci_u32_e64 v4, null, 0, v4, s0
	v_cmp_le_i32_e64 s0, s12, v12
	s_or_b32 s2, s0, s2
	s_waitcnt vmcnt(8)
	v_cvt_f16_f32_e32 v15, v15
	v_cvt_f16_f32_e32 v16, v16
	s_waitcnt vmcnt(7)
	v_cvt_f16_f32_e32 v17, v17
	v_cvt_f16_f32_e32 v18, v18
	v_pack_b32_f16 v15, v15, v16
	v_pack_b32_f16 v16, v17, v18
	s_waitcnt vmcnt(5)
	v_cvt_f16_f32_e32 v17, v21
	v_cvt_f16_f32_e32 v18, v22
	s_waitcnt vmcnt(3)
	v_cvt_f16_f32_e32 v21, v25
	v_cvt_f16_f32_e32 v22, v26
	s_waitcnt vmcnt(1)
	v_cvt_f16_f32_e32 v25, v29
	s_waitcnt vmcnt(0)
	v_pk_fma_f16 v10, v31, v15, v10
	v_pk_fma_f16 v13, v31, v16, v13
	v_cvt_f16_f32_e32 v15, v19
	v_cvt_f16_f32_e32 v16, v20
	;; [unrolled: 1-line block ×7, first 2 shown]
	v_pack_b32_f16 v15, v15, v16
	v_pack_b32_f16 v16, v17, v18
	;; [unrolled: 1-line block ×6, first 2 shown]
	v_pk_fma_f16 v14, v31, v15, v14
	v_pk_fma_f16 v11, v31, v16, v11
	;; [unrolled: 1-line block ×6, first 2 shown]
	s_andn2_b32 exec_lo, exec_lo, s2
	s_cbranch_execnz .LBB169_10
; %bb.11:
	s_or_b32 exec_lo, exec_lo, s2
.LBB169_12:
	s_or_b32 exec_lo, exec_lo, s11
	v_mbcnt_lo_u32_b32 v2, -1, 0
	v_cvt_f32_f16_e32 v3, v10
	v_cvt_f32_f16_sdwa v4, v10 dst_sel:DWORD dst_unused:UNUSED_PAD src0_sel:WORD_1
	v_cvt_f32_f16_e32 v18, v13
	v_cvt_f32_f16_sdwa v19, v13 dst_sel:DWORD dst_unused:UNUSED_PAD src0_sel:WORD_1
	v_xor_b32_e32 v1, 16, v2
	v_cvt_f32_f16_sdwa v17, v14 dst_sel:DWORD dst_unused:UNUSED_PAD src0_sel:WORD_1
	v_add_f32_e32 v4, v3, v4
	v_xor_b32_e32 v3, 8, v2
	v_cmp_gt_i32_e64 s0, 32, v1
	v_cndmask_b32_e64 v1, v2, v1, s0
	v_cmp_gt_i32_e64 s0, 32, v3
	v_lshlrev_b32_e32 v1, 2, v1
	v_cndmask_b32_e64 v3, v2, v3, s0
	ds_bpermute_b32 v10, v1, v4
	v_lshlrev_b32_e32 v3, 2, v3
	s_waitcnt lgkmcnt(0)
	v_add_f32_e32 v10, v4, v10
	v_xor_b32_e32 v4, 4, v2
	ds_bpermute_b32 v12, v3, v10
	v_cmp_gt_i32_e64 s0, 32, v4
	v_cndmask_b32_e64 v4, v2, v4, s0
	v_lshlrev_b32_e32 v4, 2, v4
	s_waitcnt lgkmcnt(0)
	v_add_f32_e32 v12, v10, v12
	v_xor_b32_e32 v10, 2, v2
	ds_bpermute_b32 v15, v4, v12
	v_cmp_gt_i32_e64 s0, 32, v10
	v_cndmask_b32_e64 v10, v2, v10, s0
	;; [unrolled: 7-line block ×3, first 2 shown]
	v_lshlrev_b32_e32 v12, 2, v2
	s_waitcnt lgkmcnt(0)
	v_add_f32_e32 v2, v15, v16
	v_lshrrev_b32_e32 v16, 3, v0
	ds_bpermute_b32 v15, v12, v2
	v_and_b32_e32 v16, 0x7c, v16
	v_add_nc_u32_e32 v13, 0, v16
	s_waitcnt lgkmcnt(0)
	v_add_f32_e32 v2, v2, v15
	v_cvt_f32_f16_e32 v15, v14
	v_add_f32_e32 v14, v18, v19
	ds_write_b32 v13, v2
	s_waitcnt lgkmcnt(0)
	s_barrier
	buffer_gl0_inv
	s_and_saveexec_b32 s0, vcc_lo
	s_cbranch_execz .LBB169_14
; %bb.13:
	ds_read_b32 v2, v5
	s_waitcnt lgkmcnt(0)
	ds_bpermute_b32 v16, v1, v2
	s_waitcnt lgkmcnt(0)
	v_add_f32_e32 v2, v2, v16
	ds_bpermute_b32 v16, v3, v2
	s_waitcnt lgkmcnt(0)
	v_add_f32_e32 v2, v2, v16
	ds_bpermute_b32 v16, v4, v2
	s_waitcnt lgkmcnt(0)
	v_add_f32_e32 v2, v2, v16
	ds_bpermute_b32 v16, v10, v2
	s_waitcnt lgkmcnt(0)
	v_add_f32_e32 v2, v2, v16
	ds_bpermute_b32 v16, v12, v2
	s_waitcnt lgkmcnt(0)
	v_add_f32_e32 v2, v2, v16
.LBB169_14:
	s_or_b32 exec_lo, exec_lo, s0
	ds_bpermute_b32 v16, v1, v14
	v_add_f32_e32 v15, v15, v17
	s_waitcnt lgkmcnt(0)
	s_barrier
	buffer_gl0_inv
	v_add_f32_e32 v14, v14, v16
	ds_bpermute_b32 v16, v3, v14
	s_waitcnt lgkmcnt(0)
	v_add_f32_e32 v14, v14, v16
	ds_bpermute_b32 v16, v4, v14
	s_waitcnt lgkmcnt(0)
	v_add_f32_e32 v14, v14, v16
	ds_bpermute_b32 v16, v10, v14
	s_waitcnt lgkmcnt(0)
	v_add_f32_e32 v18, v14, v16
	v_cvt_f32_f16_e32 v14, v11
	v_cvt_f32_f16_sdwa v16, v11 dst_sel:DWORD dst_unused:UNUSED_PAD src0_sel:WORD_1
	ds_bpermute_b32 v19, v12, v18
	s_waitcnt lgkmcnt(0)
	v_add_f32_e32 v11, v18, v19
	ds_write_b32 v13, v11
	s_waitcnt lgkmcnt(0)
	s_barrier
	buffer_gl0_inv
	s_and_saveexec_b32 s0, vcc_lo
	s_cbranch_execz .LBB169_16
; %bb.15:
	ds_read_b32 v11, v5
	s_waitcnt lgkmcnt(0)
	ds_bpermute_b32 v17, v1, v11
	s_waitcnt lgkmcnt(0)
	v_add_f32_e32 v11, v11, v17
	ds_bpermute_b32 v17, v3, v11
	s_waitcnt lgkmcnt(0)
	v_add_f32_e32 v11, v11, v17
	ds_bpermute_b32 v17, v4, v11
	s_waitcnt lgkmcnt(0)
	v_add_f32_e32 v11, v11, v17
	ds_bpermute_b32 v17, v10, v11
	s_waitcnt lgkmcnt(0)
	v_add_f32_e32 v11, v11, v17
	ds_bpermute_b32 v17, v12, v11
	s_waitcnt lgkmcnt(0)
	v_add_f32_e32 v11, v11, v17
.LBB169_16:
	s_or_b32 exec_lo, exec_lo, s0
	ds_bpermute_b32 v17, v1, v15
	v_add_f32_e32 v14, v14, v16
	s_waitcnt lgkmcnt(0)
	s_barrier
	buffer_gl0_inv
	v_add_f32_e32 v15, v15, v17
	ds_bpermute_b32 v17, v3, v15
	s_waitcnt lgkmcnt(0)
	v_add_f32_e32 v15, v15, v17
	ds_bpermute_b32 v17, v4, v15
	s_waitcnt lgkmcnt(0)
	v_add_f32_e32 v15, v15, v17
	ds_bpermute_b32 v17, v10, v15
	s_waitcnt lgkmcnt(0)
	v_add_f32_e32 v18, v15, v17
	v_cvt_f32_f16_e32 v15, v9
	v_cvt_f32_f16_sdwa v17, v9 dst_sel:DWORD dst_unused:UNUSED_PAD src0_sel:WORD_1
	ds_bpermute_b32 v19, v12, v18
	s_waitcnt lgkmcnt(0)
	;; [unrolled: 46-line block ×4, first 2 shown]
	v_add_f32_e32 v7, v18, v19
	ds_write_b32 v13, v7
	s_waitcnt lgkmcnt(0)
	s_barrier
	buffer_gl0_inv
	s_and_saveexec_b32 s0, vcc_lo
	s_cbranch_execz .LBB169_22
; %bb.21:
	ds_read_b32 v7, v5
	s_waitcnt lgkmcnt(0)
	ds_bpermute_b32 v16, v1, v7
	s_waitcnt lgkmcnt(0)
	v_add_f32_e32 v7, v7, v16
	ds_bpermute_b32 v16, v3, v7
	s_waitcnt lgkmcnt(0)
	v_add_f32_e32 v7, v7, v16
	;; [unrolled: 3-line block ×5, first 2 shown]
.LBB169_22:
	s_or_b32 exec_lo, exec_lo, s0
	ds_bpermute_b32 v16, v1, v14
	v_cvt_f32_f16_sdwa v18, v6 dst_sel:DWORD dst_unused:UNUSED_PAD src0_sel:WORD_1
	s_waitcnt lgkmcnt(0)
	s_barrier
	buffer_gl0_inv
	v_add_f32_e32 v14, v14, v16
	ds_bpermute_b32 v16, v3, v14
	s_waitcnt lgkmcnt(0)
	v_add_f32_e32 v14, v14, v16
	ds_bpermute_b32 v16, v4, v14
	s_waitcnt lgkmcnt(0)
	;; [unrolled: 3-line block ×3, first 2 shown]
	v_add_f32_e32 v14, v14, v16
	v_cvt_f32_f16_e32 v16, v6
	ds_bpermute_b32 v19, v12, v14
	s_waitcnt lgkmcnt(0)
	v_add_f32_e32 v6, v14, v19
	v_add_f32_e32 v14, v15, v17
	ds_write_b32 v13, v6
	s_waitcnt lgkmcnt(0)
	s_barrier
	buffer_gl0_inv
	s_and_saveexec_b32 s0, vcc_lo
	s_cbranch_execz .LBB169_24
; %bb.23:
	ds_read_b32 v6, v5
	s_waitcnt lgkmcnt(0)
	ds_bpermute_b32 v15, v1, v6
	s_waitcnt lgkmcnt(0)
	v_add_f32_e32 v6, v6, v15
	ds_bpermute_b32 v15, v3, v6
	s_waitcnt lgkmcnt(0)
	v_add_f32_e32 v6, v6, v15
	;; [unrolled: 3-line block ×5, first 2 shown]
.LBB169_24:
	s_or_b32 exec_lo, exec_lo, s0
	ds_bpermute_b32 v15, v1, v14
	s_waitcnt lgkmcnt(0)
	s_barrier
	buffer_gl0_inv
	v_add_f32_e32 v14, v14, v15
	ds_bpermute_b32 v15, v3, v14
	s_waitcnt lgkmcnt(0)
	v_add_f32_e32 v14, v14, v15
	ds_bpermute_b32 v15, v4, v14
	s_waitcnt lgkmcnt(0)
	;; [unrolled: 3-line block ×4, first 2 shown]
	v_add_f32_e32 v14, v14, v15
	v_add_f32_e32 v15, v16, v18
	ds_write_b32 v13, v14
	s_waitcnt lgkmcnt(0)
	s_barrier
	buffer_gl0_inv
	s_and_saveexec_b32 s0, vcc_lo
	s_cbranch_execz .LBB169_26
; %bb.25:
	ds_read_b32 v14, v5
	s_waitcnt lgkmcnt(0)
	ds_bpermute_b32 v16, v1, v14
	s_waitcnt lgkmcnt(0)
	v_add_f32_e32 v14, v14, v16
	ds_bpermute_b32 v16, v3, v14
	s_waitcnt lgkmcnt(0)
	v_add_f32_e32 v14, v14, v16
	;; [unrolled: 3-line block ×5, first 2 shown]
.LBB169_26:
	s_or_b32 exec_lo, exec_lo, s0
	ds_bpermute_b32 v16, v1, v15
	s_waitcnt lgkmcnt(0)
	s_barrier
	buffer_gl0_inv
	v_add_f32_e32 v15, v15, v16
	ds_bpermute_b32 v16, v3, v15
	s_waitcnt lgkmcnt(0)
	v_add_f32_e32 v15, v15, v16
	ds_bpermute_b32 v16, v4, v15
	s_waitcnt lgkmcnt(0)
	;; [unrolled: 3-line block ×4, first 2 shown]
	v_add_f32_e32 v15, v15, v16
	ds_write_b32 v13, v15
	s_waitcnt lgkmcnt(0)
	s_barrier
	buffer_gl0_inv
	s_and_saveexec_b32 s0, vcc_lo
	s_cbranch_execz .LBB169_28
; %bb.27:
	ds_read_b32 v5, v5
	s_waitcnt lgkmcnt(0)
	ds_bpermute_b32 v1, v1, v5
	s_waitcnt lgkmcnt(0)
	v_add_f32_e32 v1, v5, v1
	ds_bpermute_b32 v3, v3, v1
	s_waitcnt lgkmcnt(0)
	v_add_f32_e32 v1, v1, v3
	;; [unrolled: 3-line block ×5, first 2 shown]
.LBB169_28:
	s_or_b32 exec_lo, exec_lo, s0
	s_barrier
	buffer_gl0_inv
	s_mov_b32 s0, exec_lo
	v_cmpx_gt_u32_e32 8, v0
	s_cbranch_execz .LBB169_30
; %bb.29:
	v_cmp_eq_u32_e32 vcc_lo, 1, v0
	s_load_dwordx2 s[0:1], s[4:5], 0x38
	s_mul_hi_i32 s3, s22, s10
	s_mul_i32 s2, s22, s10
	s_mul_i32 s4, s26, s7
	v_cndmask_b32_e32 v1, v2, v11, vcc_lo
	v_cmp_eq_u32_e32 vcc_lo, 2, v0
	s_lshl_b64 s[2:3], s[2:3], 2
	s_ashr_i32 s5, s4, 31
	v_cndmask_b32_e32 v3, v1, v9, vcc_lo
	v_cmp_eq_u32_e32 vcc_lo, 3, v0
	v_mad_u64_u32 v[1:2], null, s18, v0, s[6:7]
	v_cndmask_b32_e32 v2, v3, v8, vcc_lo
	v_cmp_eq_u32_e32 vcc_lo, 4, v0
	s_waitcnt lgkmcnt(0)
	s_add_u32 s2, s0, s2
	s_addc_u32 s3, s1, s3
	v_cndmask_b32_e32 v3, v2, v7, vcc_lo
	v_cmp_eq_u32_e32 vcc_lo, 5, v0
	v_ashrrev_i32_e32 v2, 31, v1
	s_lshl_b64 s[0:1], s[4:5], 2
	s_add_u32 s0, s2, s0
	v_cndmask_b32_e32 v3, v3, v6, vcc_lo
	v_cmp_eq_u32_e32 vcc_lo, 6, v0
	v_lshlrev_b64 v[1:2], 2, v[1:2]
	s_addc_u32 s1, s3, s1
	v_cndmask_b32_e32 v3, v3, v14, vcc_lo
	v_cmp_eq_u32_e32 vcc_lo, 7, v0
	v_cndmask_b32_e32 v3, v3, v15, vcc_lo
	v_add_co_u32 v0, vcc_lo, s0, v1
	v_add_co_ci_u32_e64 v1, null, s1, v2, vcc_lo
	global_store_dword v[0:1], v3, off
.LBB169_30:
	s_endpgm
	.section	.rodata,"a",@progbits
	.p2align	6, 0x0
	.amdhsa_kernel _ZL13mul_mat_vec_fI6__halfS0_Li8ELi64ELb0ELb0EEvPKT_PKfPKi31ggml_cuda_mm_fusion_args_devicePfi15HIP_vector_typeIjLj3EEiiiSB_iiiSB_iiii
		.amdhsa_group_segment_fixed_size 0
		.amdhsa_private_segment_fixed_size 0
		.amdhsa_kernarg_size 144
		.amdhsa_user_sgpr_count 6
		.amdhsa_user_sgpr_private_segment_buffer 1
		.amdhsa_user_sgpr_dispatch_ptr 0
		.amdhsa_user_sgpr_queue_ptr 0
		.amdhsa_user_sgpr_kernarg_segment_ptr 1
		.amdhsa_user_sgpr_dispatch_id 0
		.amdhsa_user_sgpr_flat_scratch_init 0
		.amdhsa_user_sgpr_private_segment_size 0
		.amdhsa_wavefront_size32 1
		.amdhsa_uses_dynamic_stack 0
		.amdhsa_system_sgpr_private_segment_wavefront_offset 0
		.amdhsa_system_sgpr_workgroup_id_x 1
		.amdhsa_system_sgpr_workgroup_id_y 1
		.amdhsa_system_sgpr_workgroup_id_z 1
		.amdhsa_system_sgpr_workgroup_info 0
		.amdhsa_system_vgpr_workitem_id 0
		.amdhsa_next_free_vgpr 32
		.amdhsa_next_free_sgpr 38
		.amdhsa_reserve_vcc 1
		.amdhsa_reserve_flat_scratch 0
		.amdhsa_float_round_mode_32 0
		.amdhsa_float_round_mode_16_64 0
		.amdhsa_float_denorm_mode_32 3
		.amdhsa_float_denorm_mode_16_64 3
		.amdhsa_dx10_clamp 1
		.amdhsa_ieee_mode 1
		.amdhsa_fp16_overflow 0
		.amdhsa_workgroup_processor_mode 1
		.amdhsa_memory_ordered 1
		.amdhsa_forward_progress 1
		.amdhsa_shared_vgpr_count 0
		.amdhsa_exception_fp_ieee_invalid_op 0
		.amdhsa_exception_fp_denorm_src 0
		.amdhsa_exception_fp_ieee_div_zero 0
		.amdhsa_exception_fp_ieee_overflow 0
		.amdhsa_exception_fp_ieee_underflow 0
		.amdhsa_exception_fp_ieee_inexact 0
		.amdhsa_exception_int_div_zero 0
	.end_amdhsa_kernel
	.section	.text._ZL13mul_mat_vec_fI6__halfS0_Li8ELi64ELb0ELb0EEvPKT_PKfPKi31ggml_cuda_mm_fusion_args_devicePfi15HIP_vector_typeIjLj3EEiiiSB_iiiSB_iiii,"axG",@progbits,_ZL13mul_mat_vec_fI6__halfS0_Li8ELi64ELb0ELb0EEvPKT_PKfPKi31ggml_cuda_mm_fusion_args_devicePfi15HIP_vector_typeIjLj3EEiiiSB_iiiSB_iiii,comdat
.Lfunc_end169:
	.size	_ZL13mul_mat_vec_fI6__halfS0_Li8ELi64ELb0ELb0EEvPKT_PKfPKi31ggml_cuda_mm_fusion_args_devicePfi15HIP_vector_typeIjLj3EEiiiSB_iiiSB_iiii, .Lfunc_end169-_ZL13mul_mat_vec_fI6__halfS0_Li8ELi64ELb0ELb0EEvPKT_PKfPKi31ggml_cuda_mm_fusion_args_devicePfi15HIP_vector_typeIjLj3EEiiiSB_iiiSB_iiii
                                        ; -- End function
	.set _ZL13mul_mat_vec_fI6__halfS0_Li8ELi64ELb0ELb0EEvPKT_PKfPKi31ggml_cuda_mm_fusion_args_devicePfi15HIP_vector_typeIjLj3EEiiiSB_iiiSB_iiii.num_vgpr, 32
	.set _ZL13mul_mat_vec_fI6__halfS0_Li8ELi64ELb0ELb0EEvPKT_PKfPKi31ggml_cuda_mm_fusion_args_devicePfi15HIP_vector_typeIjLj3EEiiiSB_iiiSB_iiii.num_agpr, 0
	.set _ZL13mul_mat_vec_fI6__halfS0_Li8ELi64ELb0ELb0EEvPKT_PKfPKi31ggml_cuda_mm_fusion_args_devicePfi15HIP_vector_typeIjLj3EEiiiSB_iiiSB_iiii.numbered_sgpr, 38
	.set _ZL13mul_mat_vec_fI6__halfS0_Li8ELi64ELb0ELb0EEvPKT_PKfPKi31ggml_cuda_mm_fusion_args_devicePfi15HIP_vector_typeIjLj3EEiiiSB_iiiSB_iiii.num_named_barrier, 0
	.set _ZL13mul_mat_vec_fI6__halfS0_Li8ELi64ELb0ELb0EEvPKT_PKfPKi31ggml_cuda_mm_fusion_args_devicePfi15HIP_vector_typeIjLj3EEiiiSB_iiiSB_iiii.private_seg_size, 0
	.set _ZL13mul_mat_vec_fI6__halfS0_Li8ELi64ELb0ELb0EEvPKT_PKfPKi31ggml_cuda_mm_fusion_args_devicePfi15HIP_vector_typeIjLj3EEiiiSB_iiiSB_iiii.uses_vcc, 1
	.set _ZL13mul_mat_vec_fI6__halfS0_Li8ELi64ELb0ELb0EEvPKT_PKfPKi31ggml_cuda_mm_fusion_args_devicePfi15HIP_vector_typeIjLj3EEiiiSB_iiiSB_iiii.uses_flat_scratch, 0
	.set _ZL13mul_mat_vec_fI6__halfS0_Li8ELi64ELb0ELb0EEvPKT_PKfPKi31ggml_cuda_mm_fusion_args_devicePfi15HIP_vector_typeIjLj3EEiiiSB_iiiSB_iiii.has_dyn_sized_stack, 0
	.set _ZL13mul_mat_vec_fI6__halfS0_Li8ELi64ELb0ELb0EEvPKT_PKfPKi31ggml_cuda_mm_fusion_args_devicePfi15HIP_vector_typeIjLj3EEiiiSB_iiiSB_iiii.has_recursion, 0
	.set _ZL13mul_mat_vec_fI6__halfS0_Li8ELi64ELb0ELb0EEvPKT_PKfPKi31ggml_cuda_mm_fusion_args_devicePfi15HIP_vector_typeIjLj3EEiiiSB_iiiSB_iiii.has_indirect_call, 0
	.section	.AMDGPU.csdata,"",@progbits
; Kernel info:
; codeLenInByte = 3320
; TotalNumSgprs: 40
; NumVgprs: 32
; ScratchSize: 0
; MemoryBound: 0
; FloatMode: 240
; IeeeMode: 1
; LDSByteSize: 0 bytes/workgroup (compile time only)
; SGPRBlocks: 0
; VGPRBlocks: 3
; NumSGPRsForWavesPerEU: 40
; NumVGPRsForWavesPerEU: 32
; Occupancy: 16
; WaveLimiterHint : 0
; COMPUTE_PGM_RSRC2:SCRATCH_EN: 0
; COMPUTE_PGM_RSRC2:USER_SGPR: 6
; COMPUTE_PGM_RSRC2:TRAP_HANDLER: 0
; COMPUTE_PGM_RSRC2:TGID_X_EN: 1
; COMPUTE_PGM_RSRC2:TGID_Y_EN: 1
; COMPUTE_PGM_RSRC2:TGID_Z_EN: 1
; COMPUTE_PGM_RSRC2:TIDIG_COMP_CNT: 0
	.section	.text._ZL13mul_mat_vec_fI6__halfS0_Li8ELi96ELb0ELb0EEvPKT_PKfPKi31ggml_cuda_mm_fusion_args_devicePfi15HIP_vector_typeIjLj3EEiiiSB_iiiSB_iiii,"axG",@progbits,_ZL13mul_mat_vec_fI6__halfS0_Li8ELi96ELb0ELb0EEvPKT_PKfPKi31ggml_cuda_mm_fusion_args_devicePfi15HIP_vector_typeIjLj3EEiiiSB_iiiSB_iiii,comdat
	.globl	_ZL13mul_mat_vec_fI6__halfS0_Li8ELi96ELb0ELb0EEvPKT_PKfPKi31ggml_cuda_mm_fusion_args_devicePfi15HIP_vector_typeIjLj3EEiiiSB_iiiSB_iiii ; -- Begin function _ZL13mul_mat_vec_fI6__halfS0_Li8ELi96ELb0ELb0EEvPKT_PKfPKi31ggml_cuda_mm_fusion_args_devicePfi15HIP_vector_typeIjLj3EEiiiSB_iiiSB_iiii
	.p2align	8
	.type	_ZL13mul_mat_vec_fI6__halfS0_Li8ELi96ELb0ELb0EEvPKT_PKfPKi31ggml_cuda_mm_fusion_args_devicePfi15HIP_vector_typeIjLj3EEiiiSB_iiiSB_iiii,@function
_ZL13mul_mat_vec_fI6__halfS0_Li8ELi96ELb0ELb0EEvPKT_PKfPKi31ggml_cuda_mm_fusion_args_devicePfi15HIP_vector_typeIjLj3EEiiiSB_iiiSB_iiii: ; @_ZL13mul_mat_vec_fI6__halfS0_Li8ELi96ELb0ELb0EEvPKT_PKfPKi31ggml_cuda_mm_fusion_args_devicePfi15HIP_vector_typeIjLj3EEiiiSB_iiiSB_iiii
; %bb.0:
	s_clause 0x2
	s_load_dwordx2 s[0:1], s[4:5], 0x10
	s_load_dwordx8 s[12:19], s[4:5], 0x40
	s_load_dwordx4 s[20:23], s[4:5], 0x80
	s_waitcnt lgkmcnt(0)
	s_cmp_eq_u64 s[0:1], 0
	s_cselect_b32 s10, -1, 0
	s_cmp_lg_u64 s[0:1], 0
	s_cselect_b32 s11, -1, 0
	s_and_b32 vcc_lo, exec_lo, s10
	s_cbranch_vccnz .LBB170_2
; %bb.1:
	s_mul_i32 s2, s23, s8
	s_mov_b32 s3, 0
	s_add_i32 s2, s2, s7
	s_lshl_b64 s[24:25], s[2:3], 2
	s_add_u32 s0, s0, s24
	s_addc_u32 s1, s1, s25
	s_load_dword s9, s[0:1], 0x0
	s_cbranch_execz .LBB170_3
	s_branch .LBB170_4
.LBB170_2:
                                        ; implicit-def: $sgpr9
.LBB170_3:
	s_load_dwordx2 s[0:1], s[4:5], 0x5c
	s_waitcnt lgkmcnt(0)
	s_mul_hi_u32 s0, s0, s7
	s_add_i32 s0, s7, s0
	s_lshr_b32 s9, s0, s1
.LBB170_4:
	s_load_dwordx4 s[24:27], s[4:5], 0x68
	s_andn2_b32 vcc_lo, exec_lo, s11
	s_mov_b32 s19, s7
	s_cbranch_vccnz .LBB170_6
; %bb.5:
	s_mul_hi_u32 s0, s13, s7
	s_add_i32 s0, s7, s0
	s_lshr_b32 s0, s0, s14
	s_mul_i32 s0, s0, s15
	s_sub_i32 s19, s7, s0
.LBB170_6:
	s_load_dword s14, s[4:5], 0x78
	v_cmp_gt_u32_e32 vcc_lo, 32, v0
	v_lshl_add_u32 v5, v0, 2, 0
	s_and_saveexec_b32 s0, vcc_lo
; %bb.7:
	v_mov_b32_e32 v1, 0
	ds_write_b32 v5, v1
; %bb.8:
	s_or_b32 exec_lo, exec_lo, s0
	v_mov_b32_e32 v10, 0
	v_mov_b32_e32 v13, 0
	;; [unrolled: 1-line block ×8, first 2 shown]
	s_and_b32 s0, exec_lo, s10
	s_cselect_b32 s10, s8, 0
	s_mov_b32 s11, exec_lo
	s_waitcnt lgkmcnt(0)
	s_barrier
	buffer_gl0_inv
	v_cmpx_gt_i32_e64 s12, v0
	s_cbranch_execz .LBB170_12
; %bb.9:
	s_load_dwordx4 s[0:3], s[4:5], 0x0
	s_mul_hi_u32 s15, s27, s10
	s_mul_hi_i32 s29, s21, s10
	s_mul_i32 s28, s21, s10
	s_mul_i32 s8, s9, s24
	;; [unrolled: 1-line block ×4, first 2 shown]
	s_add_i32 s15, s10, s15
	s_lshl_b64 s[28:29], s[28:29], 2
	s_ashr_i32 s9, s8, 31
	s_ashr_i32 s25, s24, 31
	;; [unrolled: 1-line block ×3, first 2 shown]
	s_lshr_b32 s14, s15, s14
	s_mov_b32 s34, s17
	s_mul_hi_i32 s37, s14, s20
	s_mul_i32 s36, s14, s20
	v_lshlrev_b32_e32 v2, 3, v0
	v_lshlrev_b32_e32 v1, 2, v0
	v_mov_b32_e32 v6, 0
	v_mov_b32_e32 v7, 0
	s_waitcnt lgkmcnt(0)
	s_add_u32 s15, s2, s28
	s_addc_u32 s16, s3, s29
	s_lshl_b64 s[30:31], s[30:31], 2
	v_mov_b32_e32 v8, 0
	s_add_u32 s14, s15, s30
	s_addc_u32 s15, s16, s31
	s_lshl_b64 s[8:9], s[8:9], 1
	s_ashr_i32 s35, s17, 31
	s_add_i32 s16, s17, s17
	s_lshl_b32 s19, s17, 2
	s_lshl_b64 s[36:37], s[36:37], 1
	s_lshl_b64 s[24:25], s[24:25], 1
	s_add_u32 s0, s0, s8
	s_addc_u32 s1, s1, s9
	s_add_u32 s0, s0, s24
	s_addc_u32 s1, s1, s25
	;; [unrolled: 2-line block ×3, first 2 shown]
	s_lshl_b64 s[8:9], s[34:35], 3
	s_add_u32 s2, s2, s30
	s_addc_u32 s3, s3, s31
	s_add_u32 s2, s2, s28
	s_addc_u32 s3, s3, s29
	v_add_co_u32 v3, s2, s2, v2
	v_add_co_ci_u32_e64 v4, null, s3, 0, s2
	v_add_co_u32 v1, s0, s0, v1
	v_add_co_ci_u32_e64 v2, null, s1, 0, s0
	;; [unrolled: 2-line block ×3, first 2 shown]
	v_mov_b32_e32 v9, 0
	v_mov_b32_e32 v11, 0
	;; [unrolled: 1-line block ×6, first 2 shown]
	s_mul_i32 s13, s17, 3
	s_mul_i32 s20, s17, 5
	;; [unrolled: 1-line block ×4, first 2 shown]
	s_mov_b32 s2, 0
.LBB170_10:                             ; =>This Inner Loop Header: Depth=1
	v_add_nc_u32_e32 v19, s16, v12
	v_add_nc_u32_e32 v21, s13, v12
	;; [unrolled: 1-line block ×5, first 2 shown]
	v_ashrrev_i32_e32 v20, 31, v19
	v_ashrrev_i32_e32 v22, 31, v21
	;; [unrolled: 1-line block ×3, first 2 shown]
	v_add_nc_u32_e32 v29, s3, v12
	v_ashrrev_i32_e32 v26, 31, v25
	v_lshlrev_b64 v[19:20], 3, v[19:20]
	v_add_co_u32 v17, s0, v3, s8
	v_lshlrev_b64 v[21:22], 3, v[21:22]
	v_ashrrev_i32_e32 v28, 31, v27
	v_add_co_ci_u32_e64 v18, null, s9, v4, s0
	v_lshlrev_b64 v[23:24], 3, v[23:24]
	v_ashrrev_i32_e32 v30, 31, v29
	v_lshlrev_b64 v[25:26], 3, v[25:26]
	v_add_co_u32 v19, s0, s14, v19
	v_lshlrev_b64 v[27:28], 3, v[27:28]
	v_add_co_ci_u32_e64 v20, null, s15, v20, s0
	v_add_co_u32 v21, s0, s14, v21
	s_clause 0x1
	global_load_dwordx2 v[15:16], v[3:4], off offset:-4
	global_load_dwordx2 v[17:18], v[17:18], off offset:-4
	v_lshlrev_b64 v[29:30], 3, v[29:30]
	v_add_co_ci_u32_e64 v22, null, s15, v22, s0
	v_add_co_u32 v23, s0, s14, v23
	v_add_co_ci_u32_e64 v24, null, s15, v24, s0
	v_add_co_u32 v25, s0, s14, v25
	;; [unrolled: 2-line block ×4, first 2 shown]
	v_add_co_ci_u32_e64 v30, null, s15, v30, s0
	s_clause 0x5
	global_load_dwordx2 v[19:20], v[19:20], off
	global_load_dwordx2 v[21:22], v[21:22], off
	;; [unrolled: 1-line block ×6, first 2 shown]
	global_load_dword v31, v[1:2], off
	v_add_nc_u32_e32 v12, 0x60, v12
	v_add_co_u32 v1, s0, 0x180, v1
	v_add_co_ci_u32_e64 v2, null, 0, v2, s0
	v_add_co_u32 v3, s0, 0x300, v3
	v_add_co_ci_u32_e64 v4, null, 0, v4, s0
	v_cmp_le_i32_e64 s0, s12, v12
	s_or_b32 s2, s0, s2
	s_waitcnt vmcnt(8)
	v_cvt_f16_f32_e32 v15, v15
	v_cvt_f16_f32_e32 v16, v16
	s_waitcnt vmcnt(7)
	v_cvt_f16_f32_e32 v17, v17
	v_cvt_f16_f32_e32 v18, v18
	v_pack_b32_f16 v15, v15, v16
	v_pack_b32_f16 v16, v17, v18
	s_waitcnt vmcnt(5)
	v_cvt_f16_f32_e32 v17, v21
	v_cvt_f16_f32_e32 v18, v22
	s_waitcnt vmcnt(3)
	v_cvt_f16_f32_e32 v21, v25
	v_cvt_f16_f32_e32 v22, v26
	s_waitcnt vmcnt(1)
	v_cvt_f16_f32_e32 v25, v29
	s_waitcnt vmcnt(0)
	v_pk_fma_f16 v10, v31, v15, v10
	v_pk_fma_f16 v13, v31, v16, v13
	v_cvt_f16_f32_e32 v15, v19
	v_cvt_f16_f32_e32 v16, v20
	;; [unrolled: 1-line block ×7, first 2 shown]
	v_pack_b32_f16 v15, v15, v16
	v_pack_b32_f16 v16, v17, v18
	;; [unrolled: 1-line block ×6, first 2 shown]
	v_pk_fma_f16 v14, v31, v15, v14
	v_pk_fma_f16 v11, v31, v16, v11
	;; [unrolled: 1-line block ×6, first 2 shown]
	s_andn2_b32 exec_lo, exec_lo, s2
	s_cbranch_execnz .LBB170_10
; %bb.11:
	s_or_b32 exec_lo, exec_lo, s2
.LBB170_12:
	s_or_b32 exec_lo, exec_lo, s11
	v_mbcnt_lo_u32_b32 v2, -1, 0
	v_cvt_f32_f16_e32 v3, v10
	v_cvt_f32_f16_sdwa v4, v10 dst_sel:DWORD dst_unused:UNUSED_PAD src0_sel:WORD_1
	v_cvt_f32_f16_e32 v18, v13
	v_cvt_f32_f16_sdwa v19, v13 dst_sel:DWORD dst_unused:UNUSED_PAD src0_sel:WORD_1
	v_xor_b32_e32 v1, 16, v2
	v_cvt_f32_f16_sdwa v17, v14 dst_sel:DWORD dst_unused:UNUSED_PAD src0_sel:WORD_1
	v_add_f32_e32 v4, v3, v4
	v_xor_b32_e32 v3, 8, v2
	v_cmp_gt_i32_e64 s0, 32, v1
	v_cndmask_b32_e64 v1, v2, v1, s0
	v_cmp_gt_i32_e64 s0, 32, v3
	v_lshlrev_b32_e32 v1, 2, v1
	v_cndmask_b32_e64 v3, v2, v3, s0
	ds_bpermute_b32 v10, v1, v4
	v_lshlrev_b32_e32 v3, 2, v3
	s_waitcnt lgkmcnt(0)
	v_add_f32_e32 v10, v4, v10
	v_xor_b32_e32 v4, 4, v2
	ds_bpermute_b32 v12, v3, v10
	v_cmp_gt_i32_e64 s0, 32, v4
	v_cndmask_b32_e64 v4, v2, v4, s0
	v_lshlrev_b32_e32 v4, 2, v4
	s_waitcnt lgkmcnt(0)
	v_add_f32_e32 v12, v10, v12
	v_xor_b32_e32 v10, 2, v2
	ds_bpermute_b32 v15, v4, v12
	v_cmp_gt_i32_e64 s0, 32, v10
	v_cndmask_b32_e64 v10, v2, v10, s0
	;; [unrolled: 7-line block ×3, first 2 shown]
	v_lshlrev_b32_e32 v12, 2, v2
	s_waitcnt lgkmcnt(0)
	v_add_f32_e32 v2, v15, v16
	v_lshrrev_b32_e32 v16, 3, v0
	ds_bpermute_b32 v15, v12, v2
	v_and_b32_e32 v16, 0x7c, v16
	v_add_nc_u32_e32 v13, 0, v16
	s_waitcnt lgkmcnt(0)
	v_add_f32_e32 v2, v2, v15
	v_cvt_f32_f16_e32 v15, v14
	v_add_f32_e32 v14, v18, v19
	ds_write_b32 v13, v2
	s_waitcnt lgkmcnt(0)
	s_barrier
	buffer_gl0_inv
	s_and_saveexec_b32 s0, vcc_lo
	s_cbranch_execz .LBB170_14
; %bb.13:
	ds_read_b32 v2, v5
	s_waitcnt lgkmcnt(0)
	ds_bpermute_b32 v16, v1, v2
	s_waitcnt lgkmcnt(0)
	v_add_f32_e32 v2, v2, v16
	ds_bpermute_b32 v16, v3, v2
	s_waitcnt lgkmcnt(0)
	v_add_f32_e32 v2, v2, v16
	ds_bpermute_b32 v16, v4, v2
	s_waitcnt lgkmcnt(0)
	v_add_f32_e32 v2, v2, v16
	ds_bpermute_b32 v16, v10, v2
	s_waitcnt lgkmcnt(0)
	v_add_f32_e32 v2, v2, v16
	ds_bpermute_b32 v16, v12, v2
	s_waitcnt lgkmcnt(0)
	v_add_f32_e32 v2, v2, v16
.LBB170_14:
	s_or_b32 exec_lo, exec_lo, s0
	ds_bpermute_b32 v16, v1, v14
	v_add_f32_e32 v15, v15, v17
	s_waitcnt lgkmcnt(0)
	s_barrier
	buffer_gl0_inv
	v_add_f32_e32 v14, v14, v16
	ds_bpermute_b32 v16, v3, v14
	s_waitcnt lgkmcnt(0)
	v_add_f32_e32 v14, v14, v16
	ds_bpermute_b32 v16, v4, v14
	s_waitcnt lgkmcnt(0)
	v_add_f32_e32 v14, v14, v16
	ds_bpermute_b32 v16, v10, v14
	s_waitcnt lgkmcnt(0)
	v_add_f32_e32 v18, v14, v16
	v_cvt_f32_f16_e32 v14, v11
	v_cvt_f32_f16_sdwa v16, v11 dst_sel:DWORD dst_unused:UNUSED_PAD src0_sel:WORD_1
	ds_bpermute_b32 v19, v12, v18
	s_waitcnt lgkmcnt(0)
	v_add_f32_e32 v11, v18, v19
	ds_write_b32 v13, v11
	s_waitcnt lgkmcnt(0)
	s_barrier
	buffer_gl0_inv
	s_and_saveexec_b32 s0, vcc_lo
	s_cbranch_execz .LBB170_16
; %bb.15:
	ds_read_b32 v11, v5
	s_waitcnt lgkmcnt(0)
	ds_bpermute_b32 v17, v1, v11
	s_waitcnt lgkmcnt(0)
	v_add_f32_e32 v11, v11, v17
	ds_bpermute_b32 v17, v3, v11
	s_waitcnt lgkmcnt(0)
	v_add_f32_e32 v11, v11, v17
	ds_bpermute_b32 v17, v4, v11
	s_waitcnt lgkmcnt(0)
	v_add_f32_e32 v11, v11, v17
	ds_bpermute_b32 v17, v10, v11
	s_waitcnt lgkmcnt(0)
	v_add_f32_e32 v11, v11, v17
	ds_bpermute_b32 v17, v12, v11
	s_waitcnt lgkmcnt(0)
	v_add_f32_e32 v11, v11, v17
.LBB170_16:
	s_or_b32 exec_lo, exec_lo, s0
	ds_bpermute_b32 v17, v1, v15
	v_add_f32_e32 v14, v14, v16
	s_waitcnt lgkmcnt(0)
	s_barrier
	buffer_gl0_inv
	v_add_f32_e32 v15, v15, v17
	ds_bpermute_b32 v17, v3, v15
	s_waitcnt lgkmcnt(0)
	v_add_f32_e32 v15, v15, v17
	ds_bpermute_b32 v17, v4, v15
	s_waitcnt lgkmcnt(0)
	v_add_f32_e32 v15, v15, v17
	ds_bpermute_b32 v17, v10, v15
	s_waitcnt lgkmcnt(0)
	v_add_f32_e32 v18, v15, v17
	v_cvt_f32_f16_e32 v15, v9
	v_cvt_f32_f16_sdwa v17, v9 dst_sel:DWORD dst_unused:UNUSED_PAD src0_sel:WORD_1
	ds_bpermute_b32 v19, v12, v18
	s_waitcnt lgkmcnt(0)
	;; [unrolled: 46-line block ×4, first 2 shown]
	v_add_f32_e32 v7, v18, v19
	ds_write_b32 v13, v7
	s_waitcnt lgkmcnt(0)
	s_barrier
	buffer_gl0_inv
	s_and_saveexec_b32 s0, vcc_lo
	s_cbranch_execz .LBB170_22
; %bb.21:
	ds_read_b32 v7, v5
	s_waitcnt lgkmcnt(0)
	ds_bpermute_b32 v16, v1, v7
	s_waitcnt lgkmcnt(0)
	v_add_f32_e32 v7, v7, v16
	ds_bpermute_b32 v16, v3, v7
	s_waitcnt lgkmcnt(0)
	v_add_f32_e32 v7, v7, v16
	;; [unrolled: 3-line block ×5, first 2 shown]
.LBB170_22:
	s_or_b32 exec_lo, exec_lo, s0
	ds_bpermute_b32 v16, v1, v14
	v_cvt_f32_f16_sdwa v18, v6 dst_sel:DWORD dst_unused:UNUSED_PAD src0_sel:WORD_1
	s_waitcnt lgkmcnt(0)
	s_barrier
	buffer_gl0_inv
	v_add_f32_e32 v14, v14, v16
	ds_bpermute_b32 v16, v3, v14
	s_waitcnt lgkmcnt(0)
	v_add_f32_e32 v14, v14, v16
	ds_bpermute_b32 v16, v4, v14
	s_waitcnt lgkmcnt(0)
	;; [unrolled: 3-line block ×3, first 2 shown]
	v_add_f32_e32 v14, v14, v16
	v_cvt_f32_f16_e32 v16, v6
	ds_bpermute_b32 v19, v12, v14
	s_waitcnt lgkmcnt(0)
	v_add_f32_e32 v6, v14, v19
	v_add_f32_e32 v14, v15, v17
	ds_write_b32 v13, v6
	s_waitcnt lgkmcnt(0)
	s_barrier
	buffer_gl0_inv
	s_and_saveexec_b32 s0, vcc_lo
	s_cbranch_execz .LBB170_24
; %bb.23:
	ds_read_b32 v6, v5
	s_waitcnt lgkmcnt(0)
	ds_bpermute_b32 v15, v1, v6
	s_waitcnt lgkmcnt(0)
	v_add_f32_e32 v6, v6, v15
	ds_bpermute_b32 v15, v3, v6
	s_waitcnt lgkmcnt(0)
	v_add_f32_e32 v6, v6, v15
	ds_bpermute_b32 v15, v4, v6
	s_waitcnt lgkmcnt(0)
	v_add_f32_e32 v6, v6, v15
	ds_bpermute_b32 v15, v10, v6
	s_waitcnt lgkmcnt(0)
	v_add_f32_e32 v6, v6, v15
	ds_bpermute_b32 v15, v12, v6
	s_waitcnt lgkmcnt(0)
	v_add_f32_e32 v6, v6, v15
.LBB170_24:
	s_or_b32 exec_lo, exec_lo, s0
	ds_bpermute_b32 v15, v1, v14
	s_waitcnt lgkmcnt(0)
	s_barrier
	buffer_gl0_inv
	v_add_f32_e32 v14, v14, v15
	ds_bpermute_b32 v15, v3, v14
	s_waitcnt lgkmcnt(0)
	v_add_f32_e32 v14, v14, v15
	ds_bpermute_b32 v15, v4, v14
	s_waitcnt lgkmcnt(0)
	;; [unrolled: 3-line block ×4, first 2 shown]
	v_add_f32_e32 v14, v14, v15
	v_add_f32_e32 v15, v16, v18
	ds_write_b32 v13, v14
	s_waitcnt lgkmcnt(0)
	s_barrier
	buffer_gl0_inv
	s_and_saveexec_b32 s0, vcc_lo
	s_cbranch_execz .LBB170_26
; %bb.25:
	ds_read_b32 v14, v5
	s_waitcnt lgkmcnt(0)
	ds_bpermute_b32 v16, v1, v14
	s_waitcnt lgkmcnt(0)
	v_add_f32_e32 v14, v14, v16
	ds_bpermute_b32 v16, v3, v14
	s_waitcnt lgkmcnt(0)
	v_add_f32_e32 v14, v14, v16
	;; [unrolled: 3-line block ×5, first 2 shown]
.LBB170_26:
	s_or_b32 exec_lo, exec_lo, s0
	ds_bpermute_b32 v16, v1, v15
	s_waitcnt lgkmcnt(0)
	s_barrier
	buffer_gl0_inv
	v_add_f32_e32 v15, v15, v16
	ds_bpermute_b32 v16, v3, v15
	s_waitcnt lgkmcnt(0)
	v_add_f32_e32 v15, v15, v16
	ds_bpermute_b32 v16, v4, v15
	s_waitcnt lgkmcnt(0)
	;; [unrolled: 3-line block ×4, first 2 shown]
	v_add_f32_e32 v15, v15, v16
	ds_write_b32 v13, v15
	s_waitcnt lgkmcnt(0)
	s_barrier
	buffer_gl0_inv
	s_and_saveexec_b32 s0, vcc_lo
	s_cbranch_execz .LBB170_28
; %bb.27:
	ds_read_b32 v5, v5
	s_waitcnt lgkmcnt(0)
	ds_bpermute_b32 v1, v1, v5
	s_waitcnt lgkmcnt(0)
	v_add_f32_e32 v1, v5, v1
	ds_bpermute_b32 v3, v3, v1
	s_waitcnt lgkmcnt(0)
	v_add_f32_e32 v1, v1, v3
	;; [unrolled: 3-line block ×5, first 2 shown]
.LBB170_28:
	s_or_b32 exec_lo, exec_lo, s0
	s_barrier
	buffer_gl0_inv
	s_mov_b32 s0, exec_lo
	v_cmpx_gt_u32_e32 8, v0
	s_cbranch_execz .LBB170_30
; %bb.29:
	v_cmp_eq_u32_e32 vcc_lo, 1, v0
	s_load_dwordx2 s[0:1], s[4:5], 0x38
	s_mul_hi_i32 s3, s22, s10
	s_mul_i32 s2, s22, s10
	s_mul_i32 s4, s26, s7
	v_cndmask_b32_e32 v1, v2, v11, vcc_lo
	v_cmp_eq_u32_e32 vcc_lo, 2, v0
	s_lshl_b64 s[2:3], s[2:3], 2
	s_ashr_i32 s5, s4, 31
	v_cndmask_b32_e32 v3, v1, v9, vcc_lo
	v_cmp_eq_u32_e32 vcc_lo, 3, v0
	v_mad_u64_u32 v[1:2], null, s18, v0, s[6:7]
	v_cndmask_b32_e32 v2, v3, v8, vcc_lo
	v_cmp_eq_u32_e32 vcc_lo, 4, v0
	s_waitcnt lgkmcnt(0)
	s_add_u32 s2, s0, s2
	s_addc_u32 s3, s1, s3
	v_cndmask_b32_e32 v3, v2, v7, vcc_lo
	v_cmp_eq_u32_e32 vcc_lo, 5, v0
	v_ashrrev_i32_e32 v2, 31, v1
	s_lshl_b64 s[0:1], s[4:5], 2
	s_add_u32 s0, s2, s0
	v_cndmask_b32_e32 v3, v3, v6, vcc_lo
	v_cmp_eq_u32_e32 vcc_lo, 6, v0
	v_lshlrev_b64 v[1:2], 2, v[1:2]
	s_addc_u32 s1, s3, s1
	v_cndmask_b32_e32 v3, v3, v14, vcc_lo
	v_cmp_eq_u32_e32 vcc_lo, 7, v0
	v_cndmask_b32_e32 v3, v3, v15, vcc_lo
	v_add_co_u32 v0, vcc_lo, s0, v1
	v_add_co_ci_u32_e64 v1, null, s1, v2, vcc_lo
	global_store_dword v[0:1], v3, off
.LBB170_30:
	s_endpgm
	.section	.rodata,"a",@progbits
	.p2align	6, 0x0
	.amdhsa_kernel _ZL13mul_mat_vec_fI6__halfS0_Li8ELi96ELb0ELb0EEvPKT_PKfPKi31ggml_cuda_mm_fusion_args_devicePfi15HIP_vector_typeIjLj3EEiiiSB_iiiSB_iiii
		.amdhsa_group_segment_fixed_size 0
		.amdhsa_private_segment_fixed_size 0
		.amdhsa_kernarg_size 144
		.amdhsa_user_sgpr_count 6
		.amdhsa_user_sgpr_private_segment_buffer 1
		.amdhsa_user_sgpr_dispatch_ptr 0
		.amdhsa_user_sgpr_queue_ptr 0
		.amdhsa_user_sgpr_kernarg_segment_ptr 1
		.amdhsa_user_sgpr_dispatch_id 0
		.amdhsa_user_sgpr_flat_scratch_init 0
		.amdhsa_user_sgpr_private_segment_size 0
		.amdhsa_wavefront_size32 1
		.amdhsa_uses_dynamic_stack 0
		.amdhsa_system_sgpr_private_segment_wavefront_offset 0
		.amdhsa_system_sgpr_workgroup_id_x 1
		.amdhsa_system_sgpr_workgroup_id_y 1
		.amdhsa_system_sgpr_workgroup_id_z 1
		.amdhsa_system_sgpr_workgroup_info 0
		.amdhsa_system_vgpr_workitem_id 0
		.amdhsa_next_free_vgpr 32
		.amdhsa_next_free_sgpr 38
		.amdhsa_reserve_vcc 1
		.amdhsa_reserve_flat_scratch 0
		.amdhsa_float_round_mode_32 0
		.amdhsa_float_round_mode_16_64 0
		.amdhsa_float_denorm_mode_32 3
		.amdhsa_float_denorm_mode_16_64 3
		.amdhsa_dx10_clamp 1
		.amdhsa_ieee_mode 1
		.amdhsa_fp16_overflow 0
		.amdhsa_workgroup_processor_mode 1
		.amdhsa_memory_ordered 1
		.amdhsa_forward_progress 1
		.amdhsa_shared_vgpr_count 0
		.amdhsa_exception_fp_ieee_invalid_op 0
		.amdhsa_exception_fp_denorm_src 0
		.amdhsa_exception_fp_ieee_div_zero 0
		.amdhsa_exception_fp_ieee_overflow 0
		.amdhsa_exception_fp_ieee_underflow 0
		.amdhsa_exception_fp_ieee_inexact 0
		.amdhsa_exception_int_div_zero 0
	.end_amdhsa_kernel
	.section	.text._ZL13mul_mat_vec_fI6__halfS0_Li8ELi96ELb0ELb0EEvPKT_PKfPKi31ggml_cuda_mm_fusion_args_devicePfi15HIP_vector_typeIjLj3EEiiiSB_iiiSB_iiii,"axG",@progbits,_ZL13mul_mat_vec_fI6__halfS0_Li8ELi96ELb0ELb0EEvPKT_PKfPKi31ggml_cuda_mm_fusion_args_devicePfi15HIP_vector_typeIjLj3EEiiiSB_iiiSB_iiii,comdat
.Lfunc_end170:
	.size	_ZL13mul_mat_vec_fI6__halfS0_Li8ELi96ELb0ELb0EEvPKT_PKfPKi31ggml_cuda_mm_fusion_args_devicePfi15HIP_vector_typeIjLj3EEiiiSB_iiiSB_iiii, .Lfunc_end170-_ZL13mul_mat_vec_fI6__halfS0_Li8ELi96ELb0ELb0EEvPKT_PKfPKi31ggml_cuda_mm_fusion_args_devicePfi15HIP_vector_typeIjLj3EEiiiSB_iiiSB_iiii
                                        ; -- End function
	.set _ZL13mul_mat_vec_fI6__halfS0_Li8ELi96ELb0ELb0EEvPKT_PKfPKi31ggml_cuda_mm_fusion_args_devicePfi15HIP_vector_typeIjLj3EEiiiSB_iiiSB_iiii.num_vgpr, 32
	.set _ZL13mul_mat_vec_fI6__halfS0_Li8ELi96ELb0ELb0EEvPKT_PKfPKi31ggml_cuda_mm_fusion_args_devicePfi15HIP_vector_typeIjLj3EEiiiSB_iiiSB_iiii.num_agpr, 0
	.set _ZL13mul_mat_vec_fI6__halfS0_Li8ELi96ELb0ELb0EEvPKT_PKfPKi31ggml_cuda_mm_fusion_args_devicePfi15HIP_vector_typeIjLj3EEiiiSB_iiiSB_iiii.numbered_sgpr, 38
	.set _ZL13mul_mat_vec_fI6__halfS0_Li8ELi96ELb0ELb0EEvPKT_PKfPKi31ggml_cuda_mm_fusion_args_devicePfi15HIP_vector_typeIjLj3EEiiiSB_iiiSB_iiii.num_named_barrier, 0
	.set _ZL13mul_mat_vec_fI6__halfS0_Li8ELi96ELb0ELb0EEvPKT_PKfPKi31ggml_cuda_mm_fusion_args_devicePfi15HIP_vector_typeIjLj3EEiiiSB_iiiSB_iiii.private_seg_size, 0
	.set _ZL13mul_mat_vec_fI6__halfS0_Li8ELi96ELb0ELb0EEvPKT_PKfPKi31ggml_cuda_mm_fusion_args_devicePfi15HIP_vector_typeIjLj3EEiiiSB_iiiSB_iiii.uses_vcc, 1
	.set _ZL13mul_mat_vec_fI6__halfS0_Li8ELi96ELb0ELb0EEvPKT_PKfPKi31ggml_cuda_mm_fusion_args_devicePfi15HIP_vector_typeIjLj3EEiiiSB_iiiSB_iiii.uses_flat_scratch, 0
	.set _ZL13mul_mat_vec_fI6__halfS0_Li8ELi96ELb0ELb0EEvPKT_PKfPKi31ggml_cuda_mm_fusion_args_devicePfi15HIP_vector_typeIjLj3EEiiiSB_iiiSB_iiii.has_dyn_sized_stack, 0
	.set _ZL13mul_mat_vec_fI6__halfS0_Li8ELi96ELb0ELb0EEvPKT_PKfPKi31ggml_cuda_mm_fusion_args_devicePfi15HIP_vector_typeIjLj3EEiiiSB_iiiSB_iiii.has_recursion, 0
	.set _ZL13mul_mat_vec_fI6__halfS0_Li8ELi96ELb0ELb0EEvPKT_PKfPKi31ggml_cuda_mm_fusion_args_devicePfi15HIP_vector_typeIjLj3EEiiiSB_iiiSB_iiii.has_indirect_call, 0
	.section	.AMDGPU.csdata,"",@progbits
; Kernel info:
; codeLenInByte = 3324
; TotalNumSgprs: 40
; NumVgprs: 32
; ScratchSize: 0
; MemoryBound: 0
; FloatMode: 240
; IeeeMode: 1
; LDSByteSize: 0 bytes/workgroup (compile time only)
; SGPRBlocks: 0
; VGPRBlocks: 3
; NumSGPRsForWavesPerEU: 40
; NumVGPRsForWavesPerEU: 32
; Occupancy: 16
; WaveLimiterHint : 0
; COMPUTE_PGM_RSRC2:SCRATCH_EN: 0
; COMPUTE_PGM_RSRC2:USER_SGPR: 6
; COMPUTE_PGM_RSRC2:TRAP_HANDLER: 0
; COMPUTE_PGM_RSRC2:TGID_X_EN: 1
; COMPUTE_PGM_RSRC2:TGID_Y_EN: 1
; COMPUTE_PGM_RSRC2:TGID_Z_EN: 1
; COMPUTE_PGM_RSRC2:TIDIG_COMP_CNT: 0
	.section	.text._ZL13mul_mat_vec_fI6__halfS0_Li8ELi128ELb0ELb0EEvPKT_PKfPKi31ggml_cuda_mm_fusion_args_devicePfi15HIP_vector_typeIjLj3EEiiiSB_iiiSB_iiii,"axG",@progbits,_ZL13mul_mat_vec_fI6__halfS0_Li8ELi128ELb0ELb0EEvPKT_PKfPKi31ggml_cuda_mm_fusion_args_devicePfi15HIP_vector_typeIjLj3EEiiiSB_iiiSB_iiii,comdat
	.globl	_ZL13mul_mat_vec_fI6__halfS0_Li8ELi128ELb0ELb0EEvPKT_PKfPKi31ggml_cuda_mm_fusion_args_devicePfi15HIP_vector_typeIjLj3EEiiiSB_iiiSB_iiii ; -- Begin function _ZL13mul_mat_vec_fI6__halfS0_Li8ELi128ELb0ELb0EEvPKT_PKfPKi31ggml_cuda_mm_fusion_args_devicePfi15HIP_vector_typeIjLj3EEiiiSB_iiiSB_iiii
	.p2align	8
	.type	_ZL13mul_mat_vec_fI6__halfS0_Li8ELi128ELb0ELb0EEvPKT_PKfPKi31ggml_cuda_mm_fusion_args_devicePfi15HIP_vector_typeIjLj3EEiiiSB_iiiSB_iiii,@function
_ZL13mul_mat_vec_fI6__halfS0_Li8ELi128ELb0ELb0EEvPKT_PKfPKi31ggml_cuda_mm_fusion_args_devicePfi15HIP_vector_typeIjLj3EEiiiSB_iiiSB_iiii: ; @_ZL13mul_mat_vec_fI6__halfS0_Li8ELi128ELb0ELb0EEvPKT_PKfPKi31ggml_cuda_mm_fusion_args_devicePfi15HIP_vector_typeIjLj3EEiiiSB_iiiSB_iiii
; %bb.0:
	s_clause 0x2
	s_load_dwordx2 s[0:1], s[4:5], 0x10
	s_load_dwordx8 s[12:19], s[4:5], 0x40
	s_load_dwordx4 s[20:23], s[4:5], 0x80
	s_waitcnt lgkmcnt(0)
	s_cmp_eq_u64 s[0:1], 0
	s_cselect_b32 s10, -1, 0
	s_cmp_lg_u64 s[0:1], 0
	s_cselect_b32 s11, -1, 0
	s_and_b32 vcc_lo, exec_lo, s10
	s_cbranch_vccnz .LBB171_2
; %bb.1:
	s_mul_i32 s2, s23, s8
	s_mov_b32 s3, 0
	s_add_i32 s2, s2, s7
	s_lshl_b64 s[24:25], s[2:3], 2
	s_add_u32 s0, s0, s24
	s_addc_u32 s1, s1, s25
	s_load_dword s9, s[0:1], 0x0
	s_cbranch_execz .LBB171_3
	s_branch .LBB171_4
.LBB171_2:
                                        ; implicit-def: $sgpr9
.LBB171_3:
	s_load_dwordx2 s[0:1], s[4:5], 0x5c
	s_waitcnt lgkmcnt(0)
	s_mul_hi_u32 s0, s0, s7
	s_add_i32 s0, s7, s0
	s_lshr_b32 s9, s0, s1
.LBB171_4:
	s_load_dwordx4 s[24:27], s[4:5], 0x68
	s_andn2_b32 vcc_lo, exec_lo, s11
	s_mov_b32 s19, s7
	s_cbranch_vccnz .LBB171_6
; %bb.5:
	s_mul_hi_u32 s0, s13, s7
	s_add_i32 s0, s7, s0
	s_lshr_b32 s0, s0, s14
	s_mul_i32 s0, s0, s15
	s_sub_i32 s19, s7, s0
.LBB171_6:
	s_load_dword s14, s[4:5], 0x78
	v_cmp_gt_u32_e32 vcc_lo, 32, v0
	v_lshl_add_u32 v5, v0, 2, 0
	s_and_saveexec_b32 s0, vcc_lo
; %bb.7:
	v_mov_b32_e32 v1, 0
	ds_write_b32 v5, v1
; %bb.8:
	s_or_b32 exec_lo, exec_lo, s0
	v_mov_b32_e32 v10, 0
	v_mov_b32_e32 v13, 0
	;; [unrolled: 1-line block ×8, first 2 shown]
	s_and_b32 s0, exec_lo, s10
	s_cselect_b32 s10, s8, 0
	s_mov_b32 s11, exec_lo
	s_waitcnt lgkmcnt(0)
	s_barrier
	buffer_gl0_inv
	v_cmpx_gt_i32_e64 s12, v0
	s_cbranch_execz .LBB171_12
; %bb.9:
	s_load_dwordx4 s[0:3], s[4:5], 0x0
	s_mul_hi_u32 s15, s27, s10
	s_mul_hi_i32 s29, s21, s10
	s_mul_i32 s28, s21, s10
	s_mul_i32 s8, s9, s24
	;; [unrolled: 1-line block ×4, first 2 shown]
	s_add_i32 s15, s10, s15
	s_lshl_b64 s[28:29], s[28:29], 2
	s_ashr_i32 s9, s8, 31
	s_ashr_i32 s25, s24, 31
	;; [unrolled: 1-line block ×3, first 2 shown]
	s_lshr_b32 s14, s15, s14
	s_mov_b32 s34, s17
	s_mul_hi_i32 s37, s14, s20
	s_mul_i32 s36, s14, s20
	v_lshlrev_b32_e32 v2, 3, v0
	v_lshlrev_b32_e32 v1, 2, v0
	v_mov_b32_e32 v6, 0
	v_mov_b32_e32 v7, 0
	s_waitcnt lgkmcnt(0)
	s_add_u32 s15, s2, s28
	s_addc_u32 s16, s3, s29
	s_lshl_b64 s[30:31], s[30:31], 2
	v_mov_b32_e32 v8, 0
	s_add_u32 s14, s15, s30
	s_addc_u32 s15, s16, s31
	s_lshl_b64 s[8:9], s[8:9], 1
	s_ashr_i32 s35, s17, 31
	s_add_i32 s16, s17, s17
	s_lshl_b32 s19, s17, 2
	s_lshl_b64 s[36:37], s[36:37], 1
	s_lshl_b64 s[24:25], s[24:25], 1
	s_add_u32 s0, s0, s8
	s_addc_u32 s1, s1, s9
	s_add_u32 s0, s0, s24
	s_addc_u32 s1, s1, s25
	;; [unrolled: 2-line block ×3, first 2 shown]
	s_lshl_b64 s[8:9], s[34:35], 3
	s_add_u32 s2, s2, s30
	s_addc_u32 s3, s3, s31
	s_add_u32 s2, s2, s28
	s_addc_u32 s3, s3, s29
	v_add_co_u32 v3, s2, s2, v2
	v_add_co_ci_u32_e64 v4, null, s3, 0, s2
	v_add_co_u32 v1, s0, s0, v1
	v_add_co_ci_u32_e64 v2, null, s1, 0, s0
	;; [unrolled: 2-line block ×3, first 2 shown]
	v_mov_b32_e32 v9, 0
	v_mov_b32_e32 v11, 0
	;; [unrolled: 1-line block ×6, first 2 shown]
	s_mul_i32 s13, s17, 3
	s_mul_i32 s20, s17, 5
	;; [unrolled: 1-line block ×4, first 2 shown]
	s_mov_b32 s2, 0
.LBB171_10:                             ; =>This Inner Loop Header: Depth=1
	v_add_nc_u32_e32 v19, s16, v12
	v_add_nc_u32_e32 v21, s13, v12
	;; [unrolled: 1-line block ×5, first 2 shown]
	v_ashrrev_i32_e32 v20, 31, v19
	v_ashrrev_i32_e32 v22, 31, v21
	;; [unrolled: 1-line block ×3, first 2 shown]
	v_add_nc_u32_e32 v29, s3, v12
	v_ashrrev_i32_e32 v26, 31, v25
	v_lshlrev_b64 v[19:20], 3, v[19:20]
	v_add_co_u32 v17, s0, v3, s8
	v_lshlrev_b64 v[21:22], 3, v[21:22]
	v_ashrrev_i32_e32 v28, 31, v27
	v_add_co_ci_u32_e64 v18, null, s9, v4, s0
	v_lshlrev_b64 v[23:24], 3, v[23:24]
	v_ashrrev_i32_e32 v30, 31, v29
	v_lshlrev_b64 v[25:26], 3, v[25:26]
	v_add_co_u32 v19, s0, s14, v19
	v_lshlrev_b64 v[27:28], 3, v[27:28]
	v_add_co_ci_u32_e64 v20, null, s15, v20, s0
	v_add_co_u32 v21, s0, s14, v21
	s_clause 0x1
	global_load_dwordx2 v[15:16], v[3:4], off offset:-4
	global_load_dwordx2 v[17:18], v[17:18], off offset:-4
	v_lshlrev_b64 v[29:30], 3, v[29:30]
	v_add_co_ci_u32_e64 v22, null, s15, v22, s0
	v_add_co_u32 v23, s0, s14, v23
	v_add_co_ci_u32_e64 v24, null, s15, v24, s0
	v_add_co_u32 v25, s0, s14, v25
	v_add_co_ci_u32_e64 v26, null, s15, v26, s0
	v_add_co_u32 v27, s0, s14, v27
	v_add_co_ci_u32_e64 v28, null, s15, v28, s0
	v_add_co_u32 v29, s0, s14, v29
	v_add_co_ci_u32_e64 v30, null, s15, v30, s0
	s_clause 0x5
	global_load_dwordx2 v[19:20], v[19:20], off
	global_load_dwordx2 v[21:22], v[21:22], off
	;; [unrolled: 1-line block ×6, first 2 shown]
	global_load_dword v31, v[1:2], off
	v_add_nc_u32_e32 v12, 0x80, v12
	v_add_co_u32 v1, s0, 0x200, v1
	v_add_co_ci_u32_e64 v2, null, 0, v2, s0
	v_add_co_u32 v3, s0, 0x400, v3
	v_add_co_ci_u32_e64 v4, null, 0, v4, s0
	v_cmp_le_i32_e64 s0, s12, v12
	s_or_b32 s2, s0, s2
	s_waitcnt vmcnt(8)
	v_cvt_f16_f32_e32 v15, v15
	v_cvt_f16_f32_e32 v16, v16
	s_waitcnt vmcnt(7)
	v_cvt_f16_f32_e32 v17, v17
	v_cvt_f16_f32_e32 v18, v18
	v_pack_b32_f16 v15, v15, v16
	v_pack_b32_f16 v16, v17, v18
	s_waitcnt vmcnt(5)
	v_cvt_f16_f32_e32 v17, v21
	v_cvt_f16_f32_e32 v18, v22
	s_waitcnt vmcnt(3)
	v_cvt_f16_f32_e32 v21, v25
	v_cvt_f16_f32_e32 v22, v26
	s_waitcnt vmcnt(1)
	v_cvt_f16_f32_e32 v25, v29
	s_waitcnt vmcnt(0)
	v_pk_fma_f16 v10, v31, v15, v10
	v_pk_fma_f16 v13, v31, v16, v13
	v_cvt_f16_f32_e32 v15, v19
	v_cvt_f16_f32_e32 v16, v20
	;; [unrolled: 1-line block ×7, first 2 shown]
	v_pack_b32_f16 v15, v15, v16
	v_pack_b32_f16 v16, v17, v18
	;; [unrolled: 1-line block ×6, first 2 shown]
	v_pk_fma_f16 v14, v31, v15, v14
	v_pk_fma_f16 v11, v31, v16, v11
	;; [unrolled: 1-line block ×6, first 2 shown]
	s_andn2_b32 exec_lo, exec_lo, s2
	s_cbranch_execnz .LBB171_10
; %bb.11:
	s_or_b32 exec_lo, exec_lo, s2
.LBB171_12:
	s_or_b32 exec_lo, exec_lo, s11
	v_mbcnt_lo_u32_b32 v2, -1, 0
	v_cvt_f32_f16_e32 v3, v10
	v_cvt_f32_f16_sdwa v4, v10 dst_sel:DWORD dst_unused:UNUSED_PAD src0_sel:WORD_1
	v_cvt_f32_f16_e32 v18, v13
	v_cvt_f32_f16_sdwa v19, v13 dst_sel:DWORD dst_unused:UNUSED_PAD src0_sel:WORD_1
	v_xor_b32_e32 v1, 16, v2
	v_cvt_f32_f16_sdwa v17, v14 dst_sel:DWORD dst_unused:UNUSED_PAD src0_sel:WORD_1
	v_add_f32_e32 v4, v3, v4
	v_xor_b32_e32 v3, 8, v2
	v_cmp_gt_i32_e64 s0, 32, v1
	v_cndmask_b32_e64 v1, v2, v1, s0
	v_cmp_gt_i32_e64 s0, 32, v3
	v_lshlrev_b32_e32 v1, 2, v1
	v_cndmask_b32_e64 v3, v2, v3, s0
	ds_bpermute_b32 v10, v1, v4
	v_lshlrev_b32_e32 v3, 2, v3
	s_waitcnt lgkmcnt(0)
	v_add_f32_e32 v10, v4, v10
	v_xor_b32_e32 v4, 4, v2
	ds_bpermute_b32 v12, v3, v10
	v_cmp_gt_i32_e64 s0, 32, v4
	v_cndmask_b32_e64 v4, v2, v4, s0
	v_lshlrev_b32_e32 v4, 2, v4
	s_waitcnt lgkmcnt(0)
	v_add_f32_e32 v12, v10, v12
	v_xor_b32_e32 v10, 2, v2
	ds_bpermute_b32 v15, v4, v12
	v_cmp_gt_i32_e64 s0, 32, v10
	v_cndmask_b32_e64 v10, v2, v10, s0
	;; [unrolled: 7-line block ×3, first 2 shown]
	v_lshlrev_b32_e32 v12, 2, v2
	s_waitcnt lgkmcnt(0)
	v_add_f32_e32 v2, v15, v16
	v_lshrrev_b32_e32 v16, 3, v0
	ds_bpermute_b32 v15, v12, v2
	v_and_b32_e32 v16, 0x7c, v16
	v_add_nc_u32_e32 v13, 0, v16
	s_waitcnt lgkmcnt(0)
	v_add_f32_e32 v2, v2, v15
	v_cvt_f32_f16_e32 v15, v14
	v_add_f32_e32 v14, v18, v19
	ds_write_b32 v13, v2
	s_waitcnt lgkmcnt(0)
	s_barrier
	buffer_gl0_inv
	s_and_saveexec_b32 s0, vcc_lo
	s_cbranch_execz .LBB171_14
; %bb.13:
	ds_read_b32 v2, v5
	s_waitcnt lgkmcnt(0)
	ds_bpermute_b32 v16, v1, v2
	s_waitcnt lgkmcnt(0)
	v_add_f32_e32 v2, v2, v16
	ds_bpermute_b32 v16, v3, v2
	s_waitcnt lgkmcnt(0)
	v_add_f32_e32 v2, v2, v16
	ds_bpermute_b32 v16, v4, v2
	s_waitcnt lgkmcnt(0)
	v_add_f32_e32 v2, v2, v16
	ds_bpermute_b32 v16, v10, v2
	s_waitcnt lgkmcnt(0)
	v_add_f32_e32 v2, v2, v16
	ds_bpermute_b32 v16, v12, v2
	s_waitcnt lgkmcnt(0)
	v_add_f32_e32 v2, v2, v16
.LBB171_14:
	s_or_b32 exec_lo, exec_lo, s0
	ds_bpermute_b32 v16, v1, v14
	v_add_f32_e32 v15, v15, v17
	s_waitcnt lgkmcnt(0)
	s_barrier
	buffer_gl0_inv
	v_add_f32_e32 v14, v14, v16
	ds_bpermute_b32 v16, v3, v14
	s_waitcnt lgkmcnt(0)
	v_add_f32_e32 v14, v14, v16
	ds_bpermute_b32 v16, v4, v14
	s_waitcnt lgkmcnt(0)
	v_add_f32_e32 v14, v14, v16
	ds_bpermute_b32 v16, v10, v14
	s_waitcnt lgkmcnt(0)
	v_add_f32_e32 v18, v14, v16
	v_cvt_f32_f16_e32 v14, v11
	v_cvt_f32_f16_sdwa v16, v11 dst_sel:DWORD dst_unused:UNUSED_PAD src0_sel:WORD_1
	ds_bpermute_b32 v19, v12, v18
	s_waitcnt lgkmcnt(0)
	v_add_f32_e32 v11, v18, v19
	ds_write_b32 v13, v11
	s_waitcnt lgkmcnt(0)
	s_barrier
	buffer_gl0_inv
	s_and_saveexec_b32 s0, vcc_lo
	s_cbranch_execz .LBB171_16
; %bb.15:
	ds_read_b32 v11, v5
	s_waitcnt lgkmcnt(0)
	ds_bpermute_b32 v17, v1, v11
	s_waitcnt lgkmcnt(0)
	v_add_f32_e32 v11, v11, v17
	ds_bpermute_b32 v17, v3, v11
	s_waitcnt lgkmcnt(0)
	v_add_f32_e32 v11, v11, v17
	ds_bpermute_b32 v17, v4, v11
	s_waitcnt lgkmcnt(0)
	v_add_f32_e32 v11, v11, v17
	ds_bpermute_b32 v17, v10, v11
	s_waitcnt lgkmcnt(0)
	v_add_f32_e32 v11, v11, v17
	ds_bpermute_b32 v17, v12, v11
	s_waitcnt lgkmcnt(0)
	v_add_f32_e32 v11, v11, v17
.LBB171_16:
	s_or_b32 exec_lo, exec_lo, s0
	ds_bpermute_b32 v17, v1, v15
	v_add_f32_e32 v14, v14, v16
	s_waitcnt lgkmcnt(0)
	s_barrier
	buffer_gl0_inv
	v_add_f32_e32 v15, v15, v17
	ds_bpermute_b32 v17, v3, v15
	s_waitcnt lgkmcnt(0)
	v_add_f32_e32 v15, v15, v17
	ds_bpermute_b32 v17, v4, v15
	s_waitcnt lgkmcnt(0)
	v_add_f32_e32 v15, v15, v17
	ds_bpermute_b32 v17, v10, v15
	s_waitcnt lgkmcnt(0)
	v_add_f32_e32 v18, v15, v17
	v_cvt_f32_f16_e32 v15, v9
	v_cvt_f32_f16_sdwa v17, v9 dst_sel:DWORD dst_unused:UNUSED_PAD src0_sel:WORD_1
	ds_bpermute_b32 v19, v12, v18
	s_waitcnt lgkmcnt(0)
	;; [unrolled: 46-line block ×4, first 2 shown]
	v_add_f32_e32 v7, v18, v19
	ds_write_b32 v13, v7
	s_waitcnt lgkmcnt(0)
	s_barrier
	buffer_gl0_inv
	s_and_saveexec_b32 s0, vcc_lo
	s_cbranch_execz .LBB171_22
; %bb.21:
	ds_read_b32 v7, v5
	s_waitcnt lgkmcnt(0)
	ds_bpermute_b32 v16, v1, v7
	s_waitcnt lgkmcnt(0)
	v_add_f32_e32 v7, v7, v16
	ds_bpermute_b32 v16, v3, v7
	s_waitcnt lgkmcnt(0)
	v_add_f32_e32 v7, v7, v16
	;; [unrolled: 3-line block ×5, first 2 shown]
.LBB171_22:
	s_or_b32 exec_lo, exec_lo, s0
	ds_bpermute_b32 v16, v1, v14
	v_cvt_f32_f16_sdwa v18, v6 dst_sel:DWORD dst_unused:UNUSED_PAD src0_sel:WORD_1
	s_waitcnt lgkmcnt(0)
	s_barrier
	buffer_gl0_inv
	v_add_f32_e32 v14, v14, v16
	ds_bpermute_b32 v16, v3, v14
	s_waitcnt lgkmcnt(0)
	v_add_f32_e32 v14, v14, v16
	ds_bpermute_b32 v16, v4, v14
	s_waitcnt lgkmcnt(0)
	;; [unrolled: 3-line block ×3, first 2 shown]
	v_add_f32_e32 v14, v14, v16
	v_cvt_f32_f16_e32 v16, v6
	ds_bpermute_b32 v19, v12, v14
	s_waitcnt lgkmcnt(0)
	v_add_f32_e32 v6, v14, v19
	v_add_f32_e32 v14, v15, v17
	ds_write_b32 v13, v6
	s_waitcnt lgkmcnt(0)
	s_barrier
	buffer_gl0_inv
	s_and_saveexec_b32 s0, vcc_lo
	s_cbranch_execz .LBB171_24
; %bb.23:
	ds_read_b32 v6, v5
	s_waitcnt lgkmcnt(0)
	ds_bpermute_b32 v15, v1, v6
	s_waitcnt lgkmcnt(0)
	v_add_f32_e32 v6, v6, v15
	ds_bpermute_b32 v15, v3, v6
	s_waitcnt lgkmcnt(0)
	v_add_f32_e32 v6, v6, v15
	;; [unrolled: 3-line block ×5, first 2 shown]
.LBB171_24:
	s_or_b32 exec_lo, exec_lo, s0
	ds_bpermute_b32 v15, v1, v14
	s_waitcnt lgkmcnt(0)
	s_barrier
	buffer_gl0_inv
	v_add_f32_e32 v14, v14, v15
	ds_bpermute_b32 v15, v3, v14
	s_waitcnt lgkmcnt(0)
	v_add_f32_e32 v14, v14, v15
	ds_bpermute_b32 v15, v4, v14
	s_waitcnt lgkmcnt(0)
	v_add_f32_e32 v14, v14, v15
	ds_bpermute_b32 v15, v10, v14
	s_waitcnt lgkmcnt(0)
	v_add_f32_e32 v14, v14, v15
	ds_bpermute_b32 v15, v12, v14
	s_waitcnt lgkmcnt(0)
	v_add_f32_e32 v14, v14, v15
	v_add_f32_e32 v15, v16, v18
	ds_write_b32 v13, v14
	s_waitcnt lgkmcnt(0)
	s_barrier
	buffer_gl0_inv
	s_and_saveexec_b32 s0, vcc_lo
	s_cbranch_execz .LBB171_26
; %bb.25:
	ds_read_b32 v14, v5
	s_waitcnt lgkmcnt(0)
	ds_bpermute_b32 v16, v1, v14
	s_waitcnt lgkmcnt(0)
	v_add_f32_e32 v14, v14, v16
	ds_bpermute_b32 v16, v3, v14
	s_waitcnt lgkmcnt(0)
	v_add_f32_e32 v14, v14, v16
	ds_bpermute_b32 v16, v4, v14
	s_waitcnt lgkmcnt(0)
	v_add_f32_e32 v14, v14, v16
	ds_bpermute_b32 v16, v10, v14
	s_waitcnt lgkmcnt(0)
	v_add_f32_e32 v14, v14, v16
	ds_bpermute_b32 v16, v12, v14
	s_waitcnt lgkmcnt(0)
	v_add_f32_e32 v14, v14, v16
.LBB171_26:
	s_or_b32 exec_lo, exec_lo, s0
	ds_bpermute_b32 v16, v1, v15
	s_waitcnt lgkmcnt(0)
	s_barrier
	buffer_gl0_inv
	v_add_f32_e32 v15, v15, v16
	ds_bpermute_b32 v16, v3, v15
	s_waitcnt lgkmcnt(0)
	v_add_f32_e32 v15, v15, v16
	ds_bpermute_b32 v16, v4, v15
	s_waitcnt lgkmcnt(0)
	;; [unrolled: 3-line block ×4, first 2 shown]
	v_add_f32_e32 v15, v15, v16
	ds_write_b32 v13, v15
	s_waitcnt lgkmcnt(0)
	s_barrier
	buffer_gl0_inv
	s_and_saveexec_b32 s0, vcc_lo
	s_cbranch_execz .LBB171_28
; %bb.27:
	ds_read_b32 v5, v5
	s_waitcnt lgkmcnt(0)
	ds_bpermute_b32 v1, v1, v5
	s_waitcnt lgkmcnt(0)
	v_add_f32_e32 v1, v5, v1
	ds_bpermute_b32 v3, v3, v1
	s_waitcnt lgkmcnt(0)
	v_add_f32_e32 v1, v1, v3
	;; [unrolled: 3-line block ×5, first 2 shown]
.LBB171_28:
	s_or_b32 exec_lo, exec_lo, s0
	s_barrier
	buffer_gl0_inv
	s_mov_b32 s0, exec_lo
	v_cmpx_gt_u32_e32 8, v0
	s_cbranch_execz .LBB171_30
; %bb.29:
	v_cmp_eq_u32_e32 vcc_lo, 1, v0
	s_load_dwordx2 s[0:1], s[4:5], 0x38
	s_mul_hi_i32 s3, s22, s10
	s_mul_i32 s2, s22, s10
	s_mul_i32 s4, s26, s7
	v_cndmask_b32_e32 v1, v2, v11, vcc_lo
	v_cmp_eq_u32_e32 vcc_lo, 2, v0
	s_lshl_b64 s[2:3], s[2:3], 2
	s_ashr_i32 s5, s4, 31
	v_cndmask_b32_e32 v3, v1, v9, vcc_lo
	v_cmp_eq_u32_e32 vcc_lo, 3, v0
	v_mad_u64_u32 v[1:2], null, s18, v0, s[6:7]
	v_cndmask_b32_e32 v2, v3, v8, vcc_lo
	v_cmp_eq_u32_e32 vcc_lo, 4, v0
	s_waitcnt lgkmcnt(0)
	s_add_u32 s2, s0, s2
	s_addc_u32 s3, s1, s3
	v_cndmask_b32_e32 v3, v2, v7, vcc_lo
	v_cmp_eq_u32_e32 vcc_lo, 5, v0
	v_ashrrev_i32_e32 v2, 31, v1
	s_lshl_b64 s[0:1], s[4:5], 2
	s_add_u32 s0, s2, s0
	v_cndmask_b32_e32 v3, v3, v6, vcc_lo
	v_cmp_eq_u32_e32 vcc_lo, 6, v0
	v_lshlrev_b64 v[1:2], 2, v[1:2]
	s_addc_u32 s1, s3, s1
	v_cndmask_b32_e32 v3, v3, v14, vcc_lo
	v_cmp_eq_u32_e32 vcc_lo, 7, v0
	v_cndmask_b32_e32 v3, v3, v15, vcc_lo
	v_add_co_u32 v0, vcc_lo, s0, v1
	v_add_co_ci_u32_e64 v1, null, s1, v2, vcc_lo
	global_store_dword v[0:1], v3, off
.LBB171_30:
	s_endpgm
	.section	.rodata,"a",@progbits
	.p2align	6, 0x0
	.amdhsa_kernel _ZL13mul_mat_vec_fI6__halfS0_Li8ELi128ELb0ELb0EEvPKT_PKfPKi31ggml_cuda_mm_fusion_args_devicePfi15HIP_vector_typeIjLj3EEiiiSB_iiiSB_iiii
		.amdhsa_group_segment_fixed_size 0
		.amdhsa_private_segment_fixed_size 0
		.amdhsa_kernarg_size 144
		.amdhsa_user_sgpr_count 6
		.amdhsa_user_sgpr_private_segment_buffer 1
		.amdhsa_user_sgpr_dispatch_ptr 0
		.amdhsa_user_sgpr_queue_ptr 0
		.amdhsa_user_sgpr_kernarg_segment_ptr 1
		.amdhsa_user_sgpr_dispatch_id 0
		.amdhsa_user_sgpr_flat_scratch_init 0
		.amdhsa_user_sgpr_private_segment_size 0
		.amdhsa_wavefront_size32 1
		.amdhsa_uses_dynamic_stack 0
		.amdhsa_system_sgpr_private_segment_wavefront_offset 0
		.amdhsa_system_sgpr_workgroup_id_x 1
		.amdhsa_system_sgpr_workgroup_id_y 1
		.amdhsa_system_sgpr_workgroup_id_z 1
		.amdhsa_system_sgpr_workgroup_info 0
		.amdhsa_system_vgpr_workitem_id 0
		.amdhsa_next_free_vgpr 32
		.amdhsa_next_free_sgpr 38
		.amdhsa_reserve_vcc 1
		.amdhsa_reserve_flat_scratch 0
		.amdhsa_float_round_mode_32 0
		.amdhsa_float_round_mode_16_64 0
		.amdhsa_float_denorm_mode_32 3
		.amdhsa_float_denorm_mode_16_64 3
		.amdhsa_dx10_clamp 1
		.amdhsa_ieee_mode 1
		.amdhsa_fp16_overflow 0
		.amdhsa_workgroup_processor_mode 1
		.amdhsa_memory_ordered 1
		.amdhsa_forward_progress 1
		.amdhsa_shared_vgpr_count 0
		.amdhsa_exception_fp_ieee_invalid_op 0
		.amdhsa_exception_fp_denorm_src 0
		.amdhsa_exception_fp_ieee_div_zero 0
		.amdhsa_exception_fp_ieee_overflow 0
		.amdhsa_exception_fp_ieee_underflow 0
		.amdhsa_exception_fp_ieee_inexact 0
		.amdhsa_exception_int_div_zero 0
	.end_amdhsa_kernel
	.section	.text._ZL13mul_mat_vec_fI6__halfS0_Li8ELi128ELb0ELb0EEvPKT_PKfPKi31ggml_cuda_mm_fusion_args_devicePfi15HIP_vector_typeIjLj3EEiiiSB_iiiSB_iiii,"axG",@progbits,_ZL13mul_mat_vec_fI6__halfS0_Li8ELi128ELb0ELb0EEvPKT_PKfPKi31ggml_cuda_mm_fusion_args_devicePfi15HIP_vector_typeIjLj3EEiiiSB_iiiSB_iiii,comdat
.Lfunc_end171:
	.size	_ZL13mul_mat_vec_fI6__halfS0_Li8ELi128ELb0ELb0EEvPKT_PKfPKi31ggml_cuda_mm_fusion_args_devicePfi15HIP_vector_typeIjLj3EEiiiSB_iiiSB_iiii, .Lfunc_end171-_ZL13mul_mat_vec_fI6__halfS0_Li8ELi128ELb0ELb0EEvPKT_PKfPKi31ggml_cuda_mm_fusion_args_devicePfi15HIP_vector_typeIjLj3EEiiiSB_iiiSB_iiii
                                        ; -- End function
	.set _ZL13mul_mat_vec_fI6__halfS0_Li8ELi128ELb0ELb0EEvPKT_PKfPKi31ggml_cuda_mm_fusion_args_devicePfi15HIP_vector_typeIjLj3EEiiiSB_iiiSB_iiii.num_vgpr, 32
	.set _ZL13mul_mat_vec_fI6__halfS0_Li8ELi128ELb0ELb0EEvPKT_PKfPKi31ggml_cuda_mm_fusion_args_devicePfi15HIP_vector_typeIjLj3EEiiiSB_iiiSB_iiii.num_agpr, 0
	.set _ZL13mul_mat_vec_fI6__halfS0_Li8ELi128ELb0ELb0EEvPKT_PKfPKi31ggml_cuda_mm_fusion_args_devicePfi15HIP_vector_typeIjLj3EEiiiSB_iiiSB_iiii.numbered_sgpr, 38
	.set _ZL13mul_mat_vec_fI6__halfS0_Li8ELi128ELb0ELb0EEvPKT_PKfPKi31ggml_cuda_mm_fusion_args_devicePfi15HIP_vector_typeIjLj3EEiiiSB_iiiSB_iiii.num_named_barrier, 0
	.set _ZL13mul_mat_vec_fI6__halfS0_Li8ELi128ELb0ELb0EEvPKT_PKfPKi31ggml_cuda_mm_fusion_args_devicePfi15HIP_vector_typeIjLj3EEiiiSB_iiiSB_iiii.private_seg_size, 0
	.set _ZL13mul_mat_vec_fI6__halfS0_Li8ELi128ELb0ELb0EEvPKT_PKfPKi31ggml_cuda_mm_fusion_args_devicePfi15HIP_vector_typeIjLj3EEiiiSB_iiiSB_iiii.uses_vcc, 1
	.set _ZL13mul_mat_vec_fI6__halfS0_Li8ELi128ELb0ELb0EEvPKT_PKfPKi31ggml_cuda_mm_fusion_args_devicePfi15HIP_vector_typeIjLj3EEiiiSB_iiiSB_iiii.uses_flat_scratch, 0
	.set _ZL13mul_mat_vec_fI6__halfS0_Li8ELi128ELb0ELb0EEvPKT_PKfPKi31ggml_cuda_mm_fusion_args_devicePfi15HIP_vector_typeIjLj3EEiiiSB_iiiSB_iiii.has_dyn_sized_stack, 0
	.set _ZL13mul_mat_vec_fI6__halfS0_Li8ELi128ELb0ELb0EEvPKT_PKfPKi31ggml_cuda_mm_fusion_args_devicePfi15HIP_vector_typeIjLj3EEiiiSB_iiiSB_iiii.has_recursion, 0
	.set _ZL13mul_mat_vec_fI6__halfS0_Li8ELi128ELb0ELb0EEvPKT_PKfPKi31ggml_cuda_mm_fusion_args_devicePfi15HIP_vector_typeIjLj3EEiiiSB_iiiSB_iiii.has_indirect_call, 0
	.section	.AMDGPU.csdata,"",@progbits
; Kernel info:
; codeLenInByte = 3324
; TotalNumSgprs: 40
; NumVgprs: 32
; ScratchSize: 0
; MemoryBound: 0
; FloatMode: 240
; IeeeMode: 1
; LDSByteSize: 0 bytes/workgroup (compile time only)
; SGPRBlocks: 0
; VGPRBlocks: 3
; NumSGPRsForWavesPerEU: 40
; NumVGPRsForWavesPerEU: 32
; Occupancy: 16
; WaveLimiterHint : 0
; COMPUTE_PGM_RSRC2:SCRATCH_EN: 0
; COMPUTE_PGM_RSRC2:USER_SGPR: 6
; COMPUTE_PGM_RSRC2:TRAP_HANDLER: 0
; COMPUTE_PGM_RSRC2:TGID_X_EN: 1
; COMPUTE_PGM_RSRC2:TGID_Y_EN: 1
; COMPUTE_PGM_RSRC2:TGID_Z_EN: 1
; COMPUTE_PGM_RSRC2:TIDIG_COMP_CNT: 0
	.section	.text._ZL13mul_mat_vec_fI6__halfS0_Li8ELi160ELb0ELb0EEvPKT_PKfPKi31ggml_cuda_mm_fusion_args_devicePfi15HIP_vector_typeIjLj3EEiiiSB_iiiSB_iiii,"axG",@progbits,_ZL13mul_mat_vec_fI6__halfS0_Li8ELi160ELb0ELb0EEvPKT_PKfPKi31ggml_cuda_mm_fusion_args_devicePfi15HIP_vector_typeIjLj3EEiiiSB_iiiSB_iiii,comdat
	.globl	_ZL13mul_mat_vec_fI6__halfS0_Li8ELi160ELb0ELb0EEvPKT_PKfPKi31ggml_cuda_mm_fusion_args_devicePfi15HIP_vector_typeIjLj3EEiiiSB_iiiSB_iiii ; -- Begin function _ZL13mul_mat_vec_fI6__halfS0_Li8ELi160ELb0ELb0EEvPKT_PKfPKi31ggml_cuda_mm_fusion_args_devicePfi15HIP_vector_typeIjLj3EEiiiSB_iiiSB_iiii
	.p2align	8
	.type	_ZL13mul_mat_vec_fI6__halfS0_Li8ELi160ELb0ELb0EEvPKT_PKfPKi31ggml_cuda_mm_fusion_args_devicePfi15HIP_vector_typeIjLj3EEiiiSB_iiiSB_iiii,@function
_ZL13mul_mat_vec_fI6__halfS0_Li8ELi160ELb0ELb0EEvPKT_PKfPKi31ggml_cuda_mm_fusion_args_devicePfi15HIP_vector_typeIjLj3EEiiiSB_iiiSB_iiii: ; @_ZL13mul_mat_vec_fI6__halfS0_Li8ELi160ELb0ELb0EEvPKT_PKfPKi31ggml_cuda_mm_fusion_args_devicePfi15HIP_vector_typeIjLj3EEiiiSB_iiiSB_iiii
; %bb.0:
	s_clause 0x2
	s_load_dwordx2 s[0:1], s[4:5], 0x10
	s_load_dwordx8 s[12:19], s[4:5], 0x40
	s_load_dwordx4 s[20:23], s[4:5], 0x80
	s_waitcnt lgkmcnt(0)
	s_cmp_eq_u64 s[0:1], 0
	s_cselect_b32 s10, -1, 0
	s_cmp_lg_u64 s[0:1], 0
	s_cselect_b32 s11, -1, 0
	s_and_b32 vcc_lo, exec_lo, s10
	s_cbranch_vccnz .LBB172_2
; %bb.1:
	s_mul_i32 s2, s23, s8
	s_mov_b32 s3, 0
	s_add_i32 s2, s2, s7
	s_lshl_b64 s[24:25], s[2:3], 2
	s_add_u32 s0, s0, s24
	s_addc_u32 s1, s1, s25
	s_load_dword s9, s[0:1], 0x0
	s_cbranch_execz .LBB172_3
	s_branch .LBB172_4
.LBB172_2:
                                        ; implicit-def: $sgpr9
.LBB172_3:
	s_load_dwordx2 s[0:1], s[4:5], 0x5c
	s_waitcnt lgkmcnt(0)
	s_mul_hi_u32 s0, s0, s7
	s_add_i32 s0, s7, s0
	s_lshr_b32 s9, s0, s1
.LBB172_4:
	s_load_dwordx4 s[24:27], s[4:5], 0x68
	s_andn2_b32 vcc_lo, exec_lo, s11
	s_mov_b32 s19, s7
	s_cbranch_vccnz .LBB172_6
; %bb.5:
	s_mul_hi_u32 s0, s13, s7
	s_add_i32 s0, s7, s0
	s_lshr_b32 s0, s0, s14
	s_mul_i32 s0, s0, s15
	s_sub_i32 s19, s7, s0
.LBB172_6:
	s_load_dword s14, s[4:5], 0x78
	v_cmp_gt_u32_e32 vcc_lo, 32, v0
	v_lshl_add_u32 v5, v0, 2, 0
	s_and_saveexec_b32 s0, vcc_lo
; %bb.7:
	v_mov_b32_e32 v1, 0
	ds_write_b32 v5, v1
; %bb.8:
	s_or_b32 exec_lo, exec_lo, s0
	v_mov_b32_e32 v10, 0
	v_mov_b32_e32 v13, 0
	;; [unrolled: 1-line block ×8, first 2 shown]
	s_and_b32 s0, exec_lo, s10
	s_cselect_b32 s10, s8, 0
	s_mov_b32 s11, exec_lo
	s_waitcnt lgkmcnt(0)
	s_barrier
	buffer_gl0_inv
	v_cmpx_gt_i32_e64 s12, v0
	s_cbranch_execz .LBB172_12
; %bb.9:
	s_load_dwordx4 s[0:3], s[4:5], 0x0
	s_mul_hi_u32 s15, s27, s10
	s_mul_hi_i32 s29, s21, s10
	s_mul_i32 s28, s21, s10
	s_mul_i32 s8, s9, s24
	;; [unrolled: 1-line block ×4, first 2 shown]
	s_add_i32 s15, s10, s15
	s_lshl_b64 s[28:29], s[28:29], 2
	s_ashr_i32 s9, s8, 31
	s_ashr_i32 s25, s24, 31
	;; [unrolled: 1-line block ×3, first 2 shown]
	s_lshr_b32 s14, s15, s14
	s_mov_b32 s34, s17
	s_mul_hi_i32 s37, s14, s20
	s_mul_i32 s36, s14, s20
	v_lshlrev_b32_e32 v2, 3, v0
	v_lshlrev_b32_e32 v1, 2, v0
	v_mov_b32_e32 v6, 0
	v_mov_b32_e32 v7, 0
	s_waitcnt lgkmcnt(0)
	s_add_u32 s15, s2, s28
	s_addc_u32 s16, s3, s29
	s_lshl_b64 s[30:31], s[30:31], 2
	v_mov_b32_e32 v8, 0
	s_add_u32 s14, s15, s30
	s_addc_u32 s15, s16, s31
	s_lshl_b64 s[8:9], s[8:9], 1
	s_ashr_i32 s35, s17, 31
	s_add_i32 s16, s17, s17
	s_lshl_b32 s19, s17, 2
	s_lshl_b64 s[36:37], s[36:37], 1
	s_lshl_b64 s[24:25], s[24:25], 1
	s_add_u32 s0, s0, s8
	s_addc_u32 s1, s1, s9
	s_add_u32 s0, s0, s24
	s_addc_u32 s1, s1, s25
	;; [unrolled: 2-line block ×3, first 2 shown]
	s_lshl_b64 s[8:9], s[34:35], 3
	s_add_u32 s2, s2, s30
	s_addc_u32 s3, s3, s31
	s_add_u32 s2, s2, s28
	s_addc_u32 s3, s3, s29
	v_add_co_u32 v3, s2, s2, v2
	v_add_co_ci_u32_e64 v4, null, s3, 0, s2
	v_add_co_u32 v1, s0, s0, v1
	v_add_co_ci_u32_e64 v2, null, s1, 0, s0
	;; [unrolled: 2-line block ×3, first 2 shown]
	v_mov_b32_e32 v9, 0
	v_mov_b32_e32 v11, 0
	;; [unrolled: 1-line block ×6, first 2 shown]
	s_mul_i32 s13, s17, 3
	s_mul_i32 s20, s17, 5
	;; [unrolled: 1-line block ×4, first 2 shown]
	s_mov_b32 s2, 0
.LBB172_10:                             ; =>This Inner Loop Header: Depth=1
	v_add_nc_u32_e32 v19, s16, v12
	v_add_nc_u32_e32 v21, s13, v12
	;; [unrolled: 1-line block ×5, first 2 shown]
	v_ashrrev_i32_e32 v20, 31, v19
	v_ashrrev_i32_e32 v22, 31, v21
	;; [unrolled: 1-line block ×3, first 2 shown]
	v_add_nc_u32_e32 v29, s3, v12
	v_ashrrev_i32_e32 v26, 31, v25
	v_lshlrev_b64 v[19:20], 3, v[19:20]
	v_add_co_u32 v17, s0, v3, s8
	v_lshlrev_b64 v[21:22], 3, v[21:22]
	v_ashrrev_i32_e32 v28, 31, v27
	v_add_co_ci_u32_e64 v18, null, s9, v4, s0
	v_lshlrev_b64 v[23:24], 3, v[23:24]
	v_ashrrev_i32_e32 v30, 31, v29
	v_lshlrev_b64 v[25:26], 3, v[25:26]
	v_add_co_u32 v19, s0, s14, v19
	v_lshlrev_b64 v[27:28], 3, v[27:28]
	v_add_co_ci_u32_e64 v20, null, s15, v20, s0
	v_add_co_u32 v21, s0, s14, v21
	s_clause 0x1
	global_load_dwordx2 v[15:16], v[3:4], off offset:-4
	global_load_dwordx2 v[17:18], v[17:18], off offset:-4
	v_lshlrev_b64 v[29:30], 3, v[29:30]
	v_add_co_ci_u32_e64 v22, null, s15, v22, s0
	v_add_co_u32 v23, s0, s14, v23
	v_add_co_ci_u32_e64 v24, null, s15, v24, s0
	v_add_co_u32 v25, s0, s14, v25
	;; [unrolled: 2-line block ×4, first 2 shown]
	v_add_co_ci_u32_e64 v30, null, s15, v30, s0
	s_clause 0x5
	global_load_dwordx2 v[19:20], v[19:20], off
	global_load_dwordx2 v[21:22], v[21:22], off
	;; [unrolled: 1-line block ×6, first 2 shown]
	global_load_dword v31, v[1:2], off
	v_add_nc_u32_e32 v12, 0xa0, v12
	v_add_co_u32 v1, s0, 0x280, v1
	v_add_co_ci_u32_e64 v2, null, 0, v2, s0
	v_add_co_u32 v3, s0, 0x500, v3
	v_add_co_ci_u32_e64 v4, null, 0, v4, s0
	v_cmp_le_i32_e64 s0, s12, v12
	s_or_b32 s2, s0, s2
	s_waitcnt vmcnt(8)
	v_cvt_f16_f32_e32 v15, v15
	v_cvt_f16_f32_e32 v16, v16
	s_waitcnt vmcnt(7)
	v_cvt_f16_f32_e32 v17, v17
	v_cvt_f16_f32_e32 v18, v18
	v_pack_b32_f16 v15, v15, v16
	v_pack_b32_f16 v16, v17, v18
	s_waitcnt vmcnt(5)
	v_cvt_f16_f32_e32 v17, v21
	v_cvt_f16_f32_e32 v18, v22
	s_waitcnt vmcnt(3)
	v_cvt_f16_f32_e32 v21, v25
	v_cvt_f16_f32_e32 v22, v26
	s_waitcnt vmcnt(1)
	v_cvt_f16_f32_e32 v25, v29
	s_waitcnt vmcnt(0)
	v_pk_fma_f16 v10, v31, v15, v10
	v_pk_fma_f16 v13, v31, v16, v13
	v_cvt_f16_f32_e32 v15, v19
	v_cvt_f16_f32_e32 v16, v20
	v_cvt_f16_f32_e32 v19, v23
	v_cvt_f16_f32_e32 v20, v24
	v_cvt_f16_f32_e32 v23, v27
	v_cvt_f16_f32_e32 v24, v28
	v_cvt_f16_f32_e32 v26, v30
	v_pack_b32_f16 v15, v15, v16
	v_pack_b32_f16 v16, v17, v18
	;; [unrolled: 1-line block ×6, first 2 shown]
	v_pk_fma_f16 v14, v31, v15, v14
	v_pk_fma_f16 v11, v31, v16, v11
	;; [unrolled: 1-line block ×6, first 2 shown]
	s_andn2_b32 exec_lo, exec_lo, s2
	s_cbranch_execnz .LBB172_10
; %bb.11:
	s_or_b32 exec_lo, exec_lo, s2
.LBB172_12:
	s_or_b32 exec_lo, exec_lo, s11
	v_mbcnt_lo_u32_b32 v2, -1, 0
	v_cvt_f32_f16_e32 v3, v10
	v_cvt_f32_f16_sdwa v4, v10 dst_sel:DWORD dst_unused:UNUSED_PAD src0_sel:WORD_1
	v_cvt_f32_f16_e32 v18, v13
	v_cvt_f32_f16_sdwa v19, v13 dst_sel:DWORD dst_unused:UNUSED_PAD src0_sel:WORD_1
	v_xor_b32_e32 v1, 16, v2
	v_cvt_f32_f16_sdwa v17, v14 dst_sel:DWORD dst_unused:UNUSED_PAD src0_sel:WORD_1
	v_add_f32_e32 v4, v3, v4
	v_xor_b32_e32 v3, 8, v2
	v_cmp_gt_i32_e64 s0, 32, v1
	v_cndmask_b32_e64 v1, v2, v1, s0
	v_cmp_gt_i32_e64 s0, 32, v3
	v_lshlrev_b32_e32 v1, 2, v1
	v_cndmask_b32_e64 v3, v2, v3, s0
	ds_bpermute_b32 v10, v1, v4
	v_lshlrev_b32_e32 v3, 2, v3
	s_waitcnt lgkmcnt(0)
	v_add_f32_e32 v10, v4, v10
	v_xor_b32_e32 v4, 4, v2
	ds_bpermute_b32 v12, v3, v10
	v_cmp_gt_i32_e64 s0, 32, v4
	v_cndmask_b32_e64 v4, v2, v4, s0
	v_lshlrev_b32_e32 v4, 2, v4
	s_waitcnt lgkmcnt(0)
	v_add_f32_e32 v12, v10, v12
	v_xor_b32_e32 v10, 2, v2
	ds_bpermute_b32 v15, v4, v12
	v_cmp_gt_i32_e64 s0, 32, v10
	v_cndmask_b32_e64 v10, v2, v10, s0
	;; [unrolled: 7-line block ×3, first 2 shown]
	v_lshlrev_b32_e32 v12, 2, v2
	s_waitcnt lgkmcnt(0)
	v_add_f32_e32 v2, v15, v16
	v_lshrrev_b32_e32 v16, 3, v0
	ds_bpermute_b32 v15, v12, v2
	v_and_b32_e32 v16, 0x7c, v16
	v_add_nc_u32_e32 v13, 0, v16
	s_waitcnt lgkmcnt(0)
	v_add_f32_e32 v2, v2, v15
	v_cvt_f32_f16_e32 v15, v14
	v_add_f32_e32 v14, v18, v19
	ds_write_b32 v13, v2
	s_waitcnt lgkmcnt(0)
	s_barrier
	buffer_gl0_inv
	s_and_saveexec_b32 s0, vcc_lo
	s_cbranch_execz .LBB172_14
; %bb.13:
	ds_read_b32 v2, v5
	s_waitcnt lgkmcnt(0)
	ds_bpermute_b32 v16, v1, v2
	s_waitcnt lgkmcnt(0)
	v_add_f32_e32 v2, v2, v16
	ds_bpermute_b32 v16, v3, v2
	s_waitcnt lgkmcnt(0)
	v_add_f32_e32 v2, v2, v16
	ds_bpermute_b32 v16, v4, v2
	s_waitcnt lgkmcnt(0)
	v_add_f32_e32 v2, v2, v16
	ds_bpermute_b32 v16, v10, v2
	s_waitcnt lgkmcnt(0)
	v_add_f32_e32 v2, v2, v16
	ds_bpermute_b32 v16, v12, v2
	s_waitcnt lgkmcnt(0)
	v_add_f32_e32 v2, v2, v16
.LBB172_14:
	s_or_b32 exec_lo, exec_lo, s0
	ds_bpermute_b32 v16, v1, v14
	v_add_f32_e32 v15, v15, v17
	s_waitcnt lgkmcnt(0)
	s_barrier
	buffer_gl0_inv
	v_add_f32_e32 v14, v14, v16
	ds_bpermute_b32 v16, v3, v14
	s_waitcnt lgkmcnt(0)
	v_add_f32_e32 v14, v14, v16
	ds_bpermute_b32 v16, v4, v14
	s_waitcnt lgkmcnt(0)
	v_add_f32_e32 v14, v14, v16
	ds_bpermute_b32 v16, v10, v14
	s_waitcnt lgkmcnt(0)
	v_add_f32_e32 v18, v14, v16
	v_cvt_f32_f16_e32 v14, v11
	v_cvt_f32_f16_sdwa v16, v11 dst_sel:DWORD dst_unused:UNUSED_PAD src0_sel:WORD_1
	ds_bpermute_b32 v19, v12, v18
	s_waitcnt lgkmcnt(0)
	v_add_f32_e32 v11, v18, v19
	ds_write_b32 v13, v11
	s_waitcnt lgkmcnt(0)
	s_barrier
	buffer_gl0_inv
	s_and_saveexec_b32 s0, vcc_lo
	s_cbranch_execz .LBB172_16
; %bb.15:
	ds_read_b32 v11, v5
	s_waitcnt lgkmcnt(0)
	ds_bpermute_b32 v17, v1, v11
	s_waitcnt lgkmcnt(0)
	v_add_f32_e32 v11, v11, v17
	ds_bpermute_b32 v17, v3, v11
	s_waitcnt lgkmcnt(0)
	v_add_f32_e32 v11, v11, v17
	ds_bpermute_b32 v17, v4, v11
	s_waitcnt lgkmcnt(0)
	v_add_f32_e32 v11, v11, v17
	ds_bpermute_b32 v17, v10, v11
	s_waitcnt lgkmcnt(0)
	v_add_f32_e32 v11, v11, v17
	ds_bpermute_b32 v17, v12, v11
	s_waitcnt lgkmcnt(0)
	v_add_f32_e32 v11, v11, v17
.LBB172_16:
	s_or_b32 exec_lo, exec_lo, s0
	ds_bpermute_b32 v17, v1, v15
	v_add_f32_e32 v14, v14, v16
	s_waitcnt lgkmcnt(0)
	s_barrier
	buffer_gl0_inv
	v_add_f32_e32 v15, v15, v17
	ds_bpermute_b32 v17, v3, v15
	s_waitcnt lgkmcnt(0)
	v_add_f32_e32 v15, v15, v17
	ds_bpermute_b32 v17, v4, v15
	s_waitcnt lgkmcnt(0)
	v_add_f32_e32 v15, v15, v17
	ds_bpermute_b32 v17, v10, v15
	s_waitcnt lgkmcnt(0)
	v_add_f32_e32 v18, v15, v17
	v_cvt_f32_f16_e32 v15, v9
	v_cvt_f32_f16_sdwa v17, v9 dst_sel:DWORD dst_unused:UNUSED_PAD src0_sel:WORD_1
	ds_bpermute_b32 v19, v12, v18
	s_waitcnt lgkmcnt(0)
	;; [unrolled: 46-line block ×4, first 2 shown]
	v_add_f32_e32 v7, v18, v19
	ds_write_b32 v13, v7
	s_waitcnt lgkmcnt(0)
	s_barrier
	buffer_gl0_inv
	s_and_saveexec_b32 s0, vcc_lo
	s_cbranch_execz .LBB172_22
; %bb.21:
	ds_read_b32 v7, v5
	s_waitcnt lgkmcnt(0)
	ds_bpermute_b32 v16, v1, v7
	s_waitcnt lgkmcnt(0)
	v_add_f32_e32 v7, v7, v16
	ds_bpermute_b32 v16, v3, v7
	s_waitcnt lgkmcnt(0)
	v_add_f32_e32 v7, v7, v16
	;; [unrolled: 3-line block ×5, first 2 shown]
.LBB172_22:
	s_or_b32 exec_lo, exec_lo, s0
	ds_bpermute_b32 v16, v1, v14
	v_cvt_f32_f16_sdwa v18, v6 dst_sel:DWORD dst_unused:UNUSED_PAD src0_sel:WORD_1
	s_waitcnt lgkmcnt(0)
	s_barrier
	buffer_gl0_inv
	v_add_f32_e32 v14, v14, v16
	ds_bpermute_b32 v16, v3, v14
	s_waitcnt lgkmcnt(0)
	v_add_f32_e32 v14, v14, v16
	ds_bpermute_b32 v16, v4, v14
	s_waitcnt lgkmcnt(0)
	;; [unrolled: 3-line block ×3, first 2 shown]
	v_add_f32_e32 v14, v14, v16
	v_cvt_f32_f16_e32 v16, v6
	ds_bpermute_b32 v19, v12, v14
	s_waitcnt lgkmcnt(0)
	v_add_f32_e32 v6, v14, v19
	v_add_f32_e32 v14, v15, v17
	ds_write_b32 v13, v6
	s_waitcnt lgkmcnt(0)
	s_barrier
	buffer_gl0_inv
	s_and_saveexec_b32 s0, vcc_lo
	s_cbranch_execz .LBB172_24
; %bb.23:
	ds_read_b32 v6, v5
	s_waitcnt lgkmcnt(0)
	ds_bpermute_b32 v15, v1, v6
	s_waitcnt lgkmcnt(0)
	v_add_f32_e32 v6, v6, v15
	ds_bpermute_b32 v15, v3, v6
	s_waitcnt lgkmcnt(0)
	v_add_f32_e32 v6, v6, v15
	;; [unrolled: 3-line block ×5, first 2 shown]
.LBB172_24:
	s_or_b32 exec_lo, exec_lo, s0
	ds_bpermute_b32 v15, v1, v14
	s_waitcnt lgkmcnt(0)
	s_barrier
	buffer_gl0_inv
	v_add_f32_e32 v14, v14, v15
	ds_bpermute_b32 v15, v3, v14
	s_waitcnt lgkmcnt(0)
	v_add_f32_e32 v14, v14, v15
	ds_bpermute_b32 v15, v4, v14
	s_waitcnt lgkmcnt(0)
	;; [unrolled: 3-line block ×4, first 2 shown]
	v_add_f32_e32 v14, v14, v15
	v_add_f32_e32 v15, v16, v18
	ds_write_b32 v13, v14
	s_waitcnt lgkmcnt(0)
	s_barrier
	buffer_gl0_inv
	s_and_saveexec_b32 s0, vcc_lo
	s_cbranch_execz .LBB172_26
; %bb.25:
	ds_read_b32 v14, v5
	s_waitcnt lgkmcnt(0)
	ds_bpermute_b32 v16, v1, v14
	s_waitcnt lgkmcnt(0)
	v_add_f32_e32 v14, v14, v16
	ds_bpermute_b32 v16, v3, v14
	s_waitcnt lgkmcnt(0)
	v_add_f32_e32 v14, v14, v16
	;; [unrolled: 3-line block ×5, first 2 shown]
.LBB172_26:
	s_or_b32 exec_lo, exec_lo, s0
	ds_bpermute_b32 v16, v1, v15
	s_waitcnt lgkmcnt(0)
	s_barrier
	buffer_gl0_inv
	v_add_f32_e32 v15, v15, v16
	ds_bpermute_b32 v16, v3, v15
	s_waitcnt lgkmcnt(0)
	v_add_f32_e32 v15, v15, v16
	ds_bpermute_b32 v16, v4, v15
	s_waitcnt lgkmcnt(0)
	;; [unrolled: 3-line block ×4, first 2 shown]
	v_add_f32_e32 v15, v15, v16
	ds_write_b32 v13, v15
	s_waitcnt lgkmcnt(0)
	s_barrier
	buffer_gl0_inv
	s_and_saveexec_b32 s0, vcc_lo
	s_cbranch_execz .LBB172_28
; %bb.27:
	ds_read_b32 v5, v5
	s_waitcnt lgkmcnt(0)
	ds_bpermute_b32 v1, v1, v5
	s_waitcnt lgkmcnt(0)
	v_add_f32_e32 v1, v5, v1
	ds_bpermute_b32 v3, v3, v1
	s_waitcnt lgkmcnt(0)
	v_add_f32_e32 v1, v1, v3
	;; [unrolled: 3-line block ×5, first 2 shown]
.LBB172_28:
	s_or_b32 exec_lo, exec_lo, s0
	s_barrier
	buffer_gl0_inv
	s_mov_b32 s0, exec_lo
	v_cmpx_gt_u32_e32 8, v0
	s_cbranch_execz .LBB172_30
; %bb.29:
	v_cmp_eq_u32_e32 vcc_lo, 1, v0
	s_load_dwordx2 s[0:1], s[4:5], 0x38
	s_mul_hi_i32 s3, s22, s10
	s_mul_i32 s2, s22, s10
	s_mul_i32 s4, s26, s7
	v_cndmask_b32_e32 v1, v2, v11, vcc_lo
	v_cmp_eq_u32_e32 vcc_lo, 2, v0
	s_lshl_b64 s[2:3], s[2:3], 2
	s_ashr_i32 s5, s4, 31
	v_cndmask_b32_e32 v3, v1, v9, vcc_lo
	v_cmp_eq_u32_e32 vcc_lo, 3, v0
	v_mad_u64_u32 v[1:2], null, s18, v0, s[6:7]
	v_cndmask_b32_e32 v2, v3, v8, vcc_lo
	v_cmp_eq_u32_e32 vcc_lo, 4, v0
	s_waitcnt lgkmcnt(0)
	s_add_u32 s2, s0, s2
	s_addc_u32 s3, s1, s3
	v_cndmask_b32_e32 v3, v2, v7, vcc_lo
	v_cmp_eq_u32_e32 vcc_lo, 5, v0
	v_ashrrev_i32_e32 v2, 31, v1
	s_lshl_b64 s[0:1], s[4:5], 2
	s_add_u32 s0, s2, s0
	v_cndmask_b32_e32 v3, v3, v6, vcc_lo
	v_cmp_eq_u32_e32 vcc_lo, 6, v0
	v_lshlrev_b64 v[1:2], 2, v[1:2]
	s_addc_u32 s1, s3, s1
	v_cndmask_b32_e32 v3, v3, v14, vcc_lo
	v_cmp_eq_u32_e32 vcc_lo, 7, v0
	v_cndmask_b32_e32 v3, v3, v15, vcc_lo
	v_add_co_u32 v0, vcc_lo, s0, v1
	v_add_co_ci_u32_e64 v1, null, s1, v2, vcc_lo
	global_store_dword v[0:1], v3, off
.LBB172_30:
	s_endpgm
	.section	.rodata,"a",@progbits
	.p2align	6, 0x0
	.amdhsa_kernel _ZL13mul_mat_vec_fI6__halfS0_Li8ELi160ELb0ELb0EEvPKT_PKfPKi31ggml_cuda_mm_fusion_args_devicePfi15HIP_vector_typeIjLj3EEiiiSB_iiiSB_iiii
		.amdhsa_group_segment_fixed_size 0
		.amdhsa_private_segment_fixed_size 0
		.amdhsa_kernarg_size 144
		.amdhsa_user_sgpr_count 6
		.amdhsa_user_sgpr_private_segment_buffer 1
		.amdhsa_user_sgpr_dispatch_ptr 0
		.amdhsa_user_sgpr_queue_ptr 0
		.amdhsa_user_sgpr_kernarg_segment_ptr 1
		.amdhsa_user_sgpr_dispatch_id 0
		.amdhsa_user_sgpr_flat_scratch_init 0
		.amdhsa_user_sgpr_private_segment_size 0
		.amdhsa_wavefront_size32 1
		.amdhsa_uses_dynamic_stack 0
		.amdhsa_system_sgpr_private_segment_wavefront_offset 0
		.amdhsa_system_sgpr_workgroup_id_x 1
		.amdhsa_system_sgpr_workgroup_id_y 1
		.amdhsa_system_sgpr_workgroup_id_z 1
		.amdhsa_system_sgpr_workgroup_info 0
		.amdhsa_system_vgpr_workitem_id 0
		.amdhsa_next_free_vgpr 32
		.amdhsa_next_free_sgpr 38
		.amdhsa_reserve_vcc 1
		.amdhsa_reserve_flat_scratch 0
		.amdhsa_float_round_mode_32 0
		.amdhsa_float_round_mode_16_64 0
		.amdhsa_float_denorm_mode_32 3
		.amdhsa_float_denorm_mode_16_64 3
		.amdhsa_dx10_clamp 1
		.amdhsa_ieee_mode 1
		.amdhsa_fp16_overflow 0
		.amdhsa_workgroup_processor_mode 1
		.amdhsa_memory_ordered 1
		.amdhsa_forward_progress 1
		.amdhsa_shared_vgpr_count 0
		.amdhsa_exception_fp_ieee_invalid_op 0
		.amdhsa_exception_fp_denorm_src 0
		.amdhsa_exception_fp_ieee_div_zero 0
		.amdhsa_exception_fp_ieee_overflow 0
		.amdhsa_exception_fp_ieee_underflow 0
		.amdhsa_exception_fp_ieee_inexact 0
		.amdhsa_exception_int_div_zero 0
	.end_amdhsa_kernel
	.section	.text._ZL13mul_mat_vec_fI6__halfS0_Li8ELi160ELb0ELb0EEvPKT_PKfPKi31ggml_cuda_mm_fusion_args_devicePfi15HIP_vector_typeIjLj3EEiiiSB_iiiSB_iiii,"axG",@progbits,_ZL13mul_mat_vec_fI6__halfS0_Li8ELi160ELb0ELb0EEvPKT_PKfPKi31ggml_cuda_mm_fusion_args_devicePfi15HIP_vector_typeIjLj3EEiiiSB_iiiSB_iiii,comdat
.Lfunc_end172:
	.size	_ZL13mul_mat_vec_fI6__halfS0_Li8ELi160ELb0ELb0EEvPKT_PKfPKi31ggml_cuda_mm_fusion_args_devicePfi15HIP_vector_typeIjLj3EEiiiSB_iiiSB_iiii, .Lfunc_end172-_ZL13mul_mat_vec_fI6__halfS0_Li8ELi160ELb0ELb0EEvPKT_PKfPKi31ggml_cuda_mm_fusion_args_devicePfi15HIP_vector_typeIjLj3EEiiiSB_iiiSB_iiii
                                        ; -- End function
	.set _ZL13mul_mat_vec_fI6__halfS0_Li8ELi160ELb0ELb0EEvPKT_PKfPKi31ggml_cuda_mm_fusion_args_devicePfi15HIP_vector_typeIjLj3EEiiiSB_iiiSB_iiii.num_vgpr, 32
	.set _ZL13mul_mat_vec_fI6__halfS0_Li8ELi160ELb0ELb0EEvPKT_PKfPKi31ggml_cuda_mm_fusion_args_devicePfi15HIP_vector_typeIjLj3EEiiiSB_iiiSB_iiii.num_agpr, 0
	.set _ZL13mul_mat_vec_fI6__halfS0_Li8ELi160ELb0ELb0EEvPKT_PKfPKi31ggml_cuda_mm_fusion_args_devicePfi15HIP_vector_typeIjLj3EEiiiSB_iiiSB_iiii.numbered_sgpr, 38
	.set _ZL13mul_mat_vec_fI6__halfS0_Li8ELi160ELb0ELb0EEvPKT_PKfPKi31ggml_cuda_mm_fusion_args_devicePfi15HIP_vector_typeIjLj3EEiiiSB_iiiSB_iiii.num_named_barrier, 0
	.set _ZL13mul_mat_vec_fI6__halfS0_Li8ELi160ELb0ELb0EEvPKT_PKfPKi31ggml_cuda_mm_fusion_args_devicePfi15HIP_vector_typeIjLj3EEiiiSB_iiiSB_iiii.private_seg_size, 0
	.set _ZL13mul_mat_vec_fI6__halfS0_Li8ELi160ELb0ELb0EEvPKT_PKfPKi31ggml_cuda_mm_fusion_args_devicePfi15HIP_vector_typeIjLj3EEiiiSB_iiiSB_iiii.uses_vcc, 1
	.set _ZL13mul_mat_vec_fI6__halfS0_Li8ELi160ELb0ELb0EEvPKT_PKfPKi31ggml_cuda_mm_fusion_args_devicePfi15HIP_vector_typeIjLj3EEiiiSB_iiiSB_iiii.uses_flat_scratch, 0
	.set _ZL13mul_mat_vec_fI6__halfS0_Li8ELi160ELb0ELb0EEvPKT_PKfPKi31ggml_cuda_mm_fusion_args_devicePfi15HIP_vector_typeIjLj3EEiiiSB_iiiSB_iiii.has_dyn_sized_stack, 0
	.set _ZL13mul_mat_vec_fI6__halfS0_Li8ELi160ELb0ELb0EEvPKT_PKfPKi31ggml_cuda_mm_fusion_args_devicePfi15HIP_vector_typeIjLj3EEiiiSB_iiiSB_iiii.has_recursion, 0
	.set _ZL13mul_mat_vec_fI6__halfS0_Li8ELi160ELb0ELb0EEvPKT_PKfPKi31ggml_cuda_mm_fusion_args_devicePfi15HIP_vector_typeIjLj3EEiiiSB_iiiSB_iiii.has_indirect_call, 0
	.section	.AMDGPU.csdata,"",@progbits
; Kernel info:
; codeLenInByte = 3324
; TotalNumSgprs: 40
; NumVgprs: 32
; ScratchSize: 0
; MemoryBound: 0
; FloatMode: 240
; IeeeMode: 1
; LDSByteSize: 0 bytes/workgroup (compile time only)
; SGPRBlocks: 0
; VGPRBlocks: 3
; NumSGPRsForWavesPerEU: 40
; NumVGPRsForWavesPerEU: 32
; Occupancy: 16
; WaveLimiterHint : 0
; COMPUTE_PGM_RSRC2:SCRATCH_EN: 0
; COMPUTE_PGM_RSRC2:USER_SGPR: 6
; COMPUTE_PGM_RSRC2:TRAP_HANDLER: 0
; COMPUTE_PGM_RSRC2:TGID_X_EN: 1
; COMPUTE_PGM_RSRC2:TGID_Y_EN: 1
; COMPUTE_PGM_RSRC2:TGID_Z_EN: 1
; COMPUTE_PGM_RSRC2:TIDIG_COMP_CNT: 0
	.section	.text._ZL13mul_mat_vec_fI6__halfS0_Li8ELi192ELb0ELb0EEvPKT_PKfPKi31ggml_cuda_mm_fusion_args_devicePfi15HIP_vector_typeIjLj3EEiiiSB_iiiSB_iiii,"axG",@progbits,_ZL13mul_mat_vec_fI6__halfS0_Li8ELi192ELb0ELb0EEvPKT_PKfPKi31ggml_cuda_mm_fusion_args_devicePfi15HIP_vector_typeIjLj3EEiiiSB_iiiSB_iiii,comdat
	.globl	_ZL13mul_mat_vec_fI6__halfS0_Li8ELi192ELb0ELb0EEvPKT_PKfPKi31ggml_cuda_mm_fusion_args_devicePfi15HIP_vector_typeIjLj3EEiiiSB_iiiSB_iiii ; -- Begin function _ZL13mul_mat_vec_fI6__halfS0_Li8ELi192ELb0ELb0EEvPKT_PKfPKi31ggml_cuda_mm_fusion_args_devicePfi15HIP_vector_typeIjLj3EEiiiSB_iiiSB_iiii
	.p2align	8
	.type	_ZL13mul_mat_vec_fI6__halfS0_Li8ELi192ELb0ELb0EEvPKT_PKfPKi31ggml_cuda_mm_fusion_args_devicePfi15HIP_vector_typeIjLj3EEiiiSB_iiiSB_iiii,@function
_ZL13mul_mat_vec_fI6__halfS0_Li8ELi192ELb0ELb0EEvPKT_PKfPKi31ggml_cuda_mm_fusion_args_devicePfi15HIP_vector_typeIjLj3EEiiiSB_iiiSB_iiii: ; @_ZL13mul_mat_vec_fI6__halfS0_Li8ELi192ELb0ELb0EEvPKT_PKfPKi31ggml_cuda_mm_fusion_args_devicePfi15HIP_vector_typeIjLj3EEiiiSB_iiiSB_iiii
; %bb.0:
	s_clause 0x2
	s_load_dwordx2 s[0:1], s[4:5], 0x10
	s_load_dwordx8 s[12:19], s[4:5], 0x40
	s_load_dwordx4 s[20:23], s[4:5], 0x80
	s_waitcnt lgkmcnt(0)
	s_cmp_eq_u64 s[0:1], 0
	s_cselect_b32 s10, -1, 0
	s_cmp_lg_u64 s[0:1], 0
	s_cselect_b32 s11, -1, 0
	s_and_b32 vcc_lo, exec_lo, s10
	s_cbranch_vccnz .LBB173_2
; %bb.1:
	s_mul_i32 s2, s23, s8
	s_mov_b32 s3, 0
	s_add_i32 s2, s2, s7
	s_lshl_b64 s[24:25], s[2:3], 2
	s_add_u32 s0, s0, s24
	s_addc_u32 s1, s1, s25
	s_load_dword s9, s[0:1], 0x0
	s_cbranch_execz .LBB173_3
	s_branch .LBB173_4
.LBB173_2:
                                        ; implicit-def: $sgpr9
.LBB173_3:
	s_load_dwordx2 s[0:1], s[4:5], 0x5c
	s_waitcnt lgkmcnt(0)
	s_mul_hi_u32 s0, s0, s7
	s_add_i32 s0, s7, s0
	s_lshr_b32 s9, s0, s1
.LBB173_4:
	s_load_dwordx4 s[24:27], s[4:5], 0x68
	s_andn2_b32 vcc_lo, exec_lo, s11
	s_mov_b32 s19, s7
	s_cbranch_vccnz .LBB173_6
; %bb.5:
	s_mul_hi_u32 s0, s13, s7
	s_add_i32 s0, s7, s0
	s_lshr_b32 s0, s0, s14
	s_mul_i32 s0, s0, s15
	s_sub_i32 s19, s7, s0
.LBB173_6:
	s_load_dword s14, s[4:5], 0x78
	v_cmp_gt_u32_e32 vcc_lo, 32, v0
	v_lshl_add_u32 v5, v0, 2, 0
	s_and_saveexec_b32 s0, vcc_lo
; %bb.7:
	v_mov_b32_e32 v1, 0
	ds_write_b32 v5, v1
; %bb.8:
	s_or_b32 exec_lo, exec_lo, s0
	v_mov_b32_e32 v10, 0
	v_mov_b32_e32 v13, 0
	;; [unrolled: 1-line block ×8, first 2 shown]
	s_and_b32 s0, exec_lo, s10
	s_cselect_b32 s10, s8, 0
	s_mov_b32 s11, exec_lo
	s_waitcnt lgkmcnt(0)
	s_barrier
	buffer_gl0_inv
	v_cmpx_gt_i32_e64 s12, v0
	s_cbranch_execz .LBB173_12
; %bb.9:
	s_load_dwordx4 s[0:3], s[4:5], 0x0
	s_mul_hi_u32 s15, s27, s10
	s_mul_hi_i32 s29, s21, s10
	s_mul_i32 s28, s21, s10
	s_mul_i32 s8, s9, s24
	s_mul_i32 s24, s16, s6
	s_mul_i32 s30, s19, s25
	s_add_i32 s15, s10, s15
	s_lshl_b64 s[28:29], s[28:29], 2
	s_ashr_i32 s9, s8, 31
	s_ashr_i32 s25, s24, 31
	;; [unrolled: 1-line block ×3, first 2 shown]
	s_lshr_b32 s14, s15, s14
	s_mov_b32 s34, s17
	s_mul_hi_i32 s37, s14, s20
	s_mul_i32 s36, s14, s20
	v_lshlrev_b32_e32 v2, 3, v0
	v_lshlrev_b32_e32 v1, 2, v0
	v_mov_b32_e32 v6, 0
	v_mov_b32_e32 v7, 0
	s_waitcnt lgkmcnt(0)
	s_add_u32 s15, s2, s28
	s_addc_u32 s16, s3, s29
	s_lshl_b64 s[30:31], s[30:31], 2
	v_mov_b32_e32 v8, 0
	s_add_u32 s14, s15, s30
	s_addc_u32 s15, s16, s31
	s_lshl_b64 s[8:9], s[8:9], 1
	s_ashr_i32 s35, s17, 31
	s_add_i32 s16, s17, s17
	s_lshl_b32 s19, s17, 2
	s_lshl_b64 s[36:37], s[36:37], 1
	s_lshl_b64 s[24:25], s[24:25], 1
	s_add_u32 s0, s0, s8
	s_addc_u32 s1, s1, s9
	s_add_u32 s0, s0, s24
	s_addc_u32 s1, s1, s25
	;; [unrolled: 2-line block ×3, first 2 shown]
	s_lshl_b64 s[8:9], s[34:35], 3
	s_add_u32 s2, s2, s30
	s_addc_u32 s3, s3, s31
	s_add_u32 s2, s2, s28
	s_addc_u32 s3, s3, s29
	v_add_co_u32 v3, s2, s2, v2
	v_add_co_ci_u32_e64 v4, null, s3, 0, s2
	v_add_co_u32 v1, s0, s0, v1
	v_add_co_ci_u32_e64 v2, null, s1, 0, s0
	;; [unrolled: 2-line block ×3, first 2 shown]
	v_mov_b32_e32 v9, 0
	v_mov_b32_e32 v11, 0
	;; [unrolled: 1-line block ×6, first 2 shown]
	s_mul_i32 s13, s17, 3
	s_mul_i32 s20, s17, 5
	;; [unrolled: 1-line block ×4, first 2 shown]
	s_mov_b32 s2, 0
.LBB173_10:                             ; =>This Inner Loop Header: Depth=1
	v_add_nc_u32_e32 v19, s16, v12
	v_add_nc_u32_e32 v21, s13, v12
	;; [unrolled: 1-line block ×5, first 2 shown]
	v_ashrrev_i32_e32 v20, 31, v19
	v_ashrrev_i32_e32 v22, 31, v21
	;; [unrolled: 1-line block ×3, first 2 shown]
	v_add_nc_u32_e32 v29, s3, v12
	v_ashrrev_i32_e32 v26, 31, v25
	v_lshlrev_b64 v[19:20], 3, v[19:20]
	v_add_co_u32 v17, s0, v3, s8
	v_lshlrev_b64 v[21:22], 3, v[21:22]
	v_ashrrev_i32_e32 v28, 31, v27
	v_add_co_ci_u32_e64 v18, null, s9, v4, s0
	v_lshlrev_b64 v[23:24], 3, v[23:24]
	v_ashrrev_i32_e32 v30, 31, v29
	v_lshlrev_b64 v[25:26], 3, v[25:26]
	v_add_co_u32 v19, s0, s14, v19
	v_lshlrev_b64 v[27:28], 3, v[27:28]
	v_add_co_ci_u32_e64 v20, null, s15, v20, s0
	v_add_co_u32 v21, s0, s14, v21
	s_clause 0x1
	global_load_dwordx2 v[15:16], v[3:4], off offset:-4
	global_load_dwordx2 v[17:18], v[17:18], off offset:-4
	v_lshlrev_b64 v[29:30], 3, v[29:30]
	v_add_co_ci_u32_e64 v22, null, s15, v22, s0
	v_add_co_u32 v23, s0, s14, v23
	v_add_co_ci_u32_e64 v24, null, s15, v24, s0
	v_add_co_u32 v25, s0, s14, v25
	;; [unrolled: 2-line block ×4, first 2 shown]
	v_add_co_ci_u32_e64 v30, null, s15, v30, s0
	s_clause 0x5
	global_load_dwordx2 v[19:20], v[19:20], off
	global_load_dwordx2 v[21:22], v[21:22], off
	;; [unrolled: 1-line block ×6, first 2 shown]
	global_load_dword v31, v[1:2], off
	v_add_nc_u32_e32 v12, 0xc0, v12
	v_add_co_u32 v1, s0, 0x300, v1
	v_add_co_ci_u32_e64 v2, null, 0, v2, s0
	v_add_co_u32 v3, s0, 0x600, v3
	v_add_co_ci_u32_e64 v4, null, 0, v4, s0
	v_cmp_le_i32_e64 s0, s12, v12
	s_or_b32 s2, s0, s2
	s_waitcnt vmcnt(8)
	v_cvt_f16_f32_e32 v15, v15
	v_cvt_f16_f32_e32 v16, v16
	s_waitcnt vmcnt(7)
	v_cvt_f16_f32_e32 v17, v17
	v_cvt_f16_f32_e32 v18, v18
	v_pack_b32_f16 v15, v15, v16
	v_pack_b32_f16 v16, v17, v18
	s_waitcnt vmcnt(5)
	v_cvt_f16_f32_e32 v17, v21
	v_cvt_f16_f32_e32 v18, v22
	s_waitcnt vmcnt(3)
	v_cvt_f16_f32_e32 v21, v25
	v_cvt_f16_f32_e32 v22, v26
	s_waitcnt vmcnt(1)
	v_cvt_f16_f32_e32 v25, v29
	s_waitcnt vmcnt(0)
	v_pk_fma_f16 v10, v31, v15, v10
	v_pk_fma_f16 v13, v31, v16, v13
	v_cvt_f16_f32_e32 v15, v19
	v_cvt_f16_f32_e32 v16, v20
	;; [unrolled: 1-line block ×7, first 2 shown]
	v_pack_b32_f16 v15, v15, v16
	v_pack_b32_f16 v16, v17, v18
	;; [unrolled: 1-line block ×6, first 2 shown]
	v_pk_fma_f16 v14, v31, v15, v14
	v_pk_fma_f16 v11, v31, v16, v11
	;; [unrolled: 1-line block ×6, first 2 shown]
	s_andn2_b32 exec_lo, exec_lo, s2
	s_cbranch_execnz .LBB173_10
; %bb.11:
	s_or_b32 exec_lo, exec_lo, s2
.LBB173_12:
	s_or_b32 exec_lo, exec_lo, s11
	v_mbcnt_lo_u32_b32 v2, -1, 0
	v_cvt_f32_f16_e32 v3, v10
	v_cvt_f32_f16_sdwa v4, v10 dst_sel:DWORD dst_unused:UNUSED_PAD src0_sel:WORD_1
	v_cvt_f32_f16_e32 v18, v13
	v_cvt_f32_f16_sdwa v19, v13 dst_sel:DWORD dst_unused:UNUSED_PAD src0_sel:WORD_1
	v_xor_b32_e32 v1, 16, v2
	v_cvt_f32_f16_sdwa v17, v14 dst_sel:DWORD dst_unused:UNUSED_PAD src0_sel:WORD_1
	v_add_f32_e32 v4, v3, v4
	v_xor_b32_e32 v3, 8, v2
	v_cmp_gt_i32_e64 s0, 32, v1
	v_cndmask_b32_e64 v1, v2, v1, s0
	v_cmp_gt_i32_e64 s0, 32, v3
	v_lshlrev_b32_e32 v1, 2, v1
	v_cndmask_b32_e64 v3, v2, v3, s0
	ds_bpermute_b32 v10, v1, v4
	v_lshlrev_b32_e32 v3, 2, v3
	s_waitcnt lgkmcnt(0)
	v_add_f32_e32 v10, v4, v10
	v_xor_b32_e32 v4, 4, v2
	ds_bpermute_b32 v12, v3, v10
	v_cmp_gt_i32_e64 s0, 32, v4
	v_cndmask_b32_e64 v4, v2, v4, s0
	v_lshlrev_b32_e32 v4, 2, v4
	s_waitcnt lgkmcnt(0)
	v_add_f32_e32 v12, v10, v12
	v_xor_b32_e32 v10, 2, v2
	ds_bpermute_b32 v15, v4, v12
	v_cmp_gt_i32_e64 s0, 32, v10
	v_cndmask_b32_e64 v10, v2, v10, s0
	;; [unrolled: 7-line block ×3, first 2 shown]
	v_lshlrev_b32_e32 v12, 2, v2
	s_waitcnt lgkmcnt(0)
	v_add_f32_e32 v2, v15, v16
	v_lshrrev_b32_e32 v16, 3, v0
	ds_bpermute_b32 v15, v12, v2
	v_and_b32_e32 v16, 0x7c, v16
	v_add_nc_u32_e32 v13, 0, v16
	s_waitcnt lgkmcnt(0)
	v_add_f32_e32 v2, v2, v15
	v_cvt_f32_f16_e32 v15, v14
	v_add_f32_e32 v14, v18, v19
	ds_write_b32 v13, v2
	s_waitcnt lgkmcnt(0)
	s_barrier
	buffer_gl0_inv
	s_and_saveexec_b32 s0, vcc_lo
	s_cbranch_execz .LBB173_14
; %bb.13:
	ds_read_b32 v2, v5
	s_waitcnt lgkmcnt(0)
	ds_bpermute_b32 v16, v1, v2
	s_waitcnt lgkmcnt(0)
	v_add_f32_e32 v2, v2, v16
	ds_bpermute_b32 v16, v3, v2
	s_waitcnt lgkmcnt(0)
	v_add_f32_e32 v2, v2, v16
	ds_bpermute_b32 v16, v4, v2
	s_waitcnt lgkmcnt(0)
	v_add_f32_e32 v2, v2, v16
	ds_bpermute_b32 v16, v10, v2
	s_waitcnt lgkmcnt(0)
	v_add_f32_e32 v2, v2, v16
	ds_bpermute_b32 v16, v12, v2
	s_waitcnt lgkmcnt(0)
	v_add_f32_e32 v2, v2, v16
.LBB173_14:
	s_or_b32 exec_lo, exec_lo, s0
	ds_bpermute_b32 v16, v1, v14
	v_add_f32_e32 v15, v15, v17
	s_waitcnt lgkmcnt(0)
	s_barrier
	buffer_gl0_inv
	v_add_f32_e32 v14, v14, v16
	ds_bpermute_b32 v16, v3, v14
	s_waitcnt lgkmcnt(0)
	v_add_f32_e32 v14, v14, v16
	ds_bpermute_b32 v16, v4, v14
	s_waitcnt lgkmcnt(0)
	v_add_f32_e32 v14, v14, v16
	ds_bpermute_b32 v16, v10, v14
	s_waitcnt lgkmcnt(0)
	v_add_f32_e32 v18, v14, v16
	v_cvt_f32_f16_e32 v14, v11
	v_cvt_f32_f16_sdwa v16, v11 dst_sel:DWORD dst_unused:UNUSED_PAD src0_sel:WORD_1
	ds_bpermute_b32 v19, v12, v18
	s_waitcnt lgkmcnt(0)
	v_add_f32_e32 v11, v18, v19
	ds_write_b32 v13, v11
	s_waitcnt lgkmcnt(0)
	s_barrier
	buffer_gl0_inv
	s_and_saveexec_b32 s0, vcc_lo
	s_cbranch_execz .LBB173_16
; %bb.15:
	ds_read_b32 v11, v5
	s_waitcnt lgkmcnt(0)
	ds_bpermute_b32 v17, v1, v11
	s_waitcnt lgkmcnt(0)
	v_add_f32_e32 v11, v11, v17
	ds_bpermute_b32 v17, v3, v11
	s_waitcnt lgkmcnt(0)
	v_add_f32_e32 v11, v11, v17
	ds_bpermute_b32 v17, v4, v11
	s_waitcnt lgkmcnt(0)
	v_add_f32_e32 v11, v11, v17
	ds_bpermute_b32 v17, v10, v11
	s_waitcnt lgkmcnt(0)
	v_add_f32_e32 v11, v11, v17
	ds_bpermute_b32 v17, v12, v11
	s_waitcnt lgkmcnt(0)
	v_add_f32_e32 v11, v11, v17
.LBB173_16:
	s_or_b32 exec_lo, exec_lo, s0
	ds_bpermute_b32 v17, v1, v15
	v_add_f32_e32 v14, v14, v16
	s_waitcnt lgkmcnt(0)
	s_barrier
	buffer_gl0_inv
	v_add_f32_e32 v15, v15, v17
	ds_bpermute_b32 v17, v3, v15
	s_waitcnt lgkmcnt(0)
	v_add_f32_e32 v15, v15, v17
	ds_bpermute_b32 v17, v4, v15
	s_waitcnt lgkmcnt(0)
	v_add_f32_e32 v15, v15, v17
	ds_bpermute_b32 v17, v10, v15
	s_waitcnt lgkmcnt(0)
	v_add_f32_e32 v18, v15, v17
	v_cvt_f32_f16_e32 v15, v9
	v_cvt_f32_f16_sdwa v17, v9 dst_sel:DWORD dst_unused:UNUSED_PAD src0_sel:WORD_1
	ds_bpermute_b32 v19, v12, v18
	s_waitcnt lgkmcnt(0)
	;; [unrolled: 46-line block ×4, first 2 shown]
	v_add_f32_e32 v7, v18, v19
	ds_write_b32 v13, v7
	s_waitcnt lgkmcnt(0)
	s_barrier
	buffer_gl0_inv
	s_and_saveexec_b32 s0, vcc_lo
	s_cbranch_execz .LBB173_22
; %bb.21:
	ds_read_b32 v7, v5
	s_waitcnt lgkmcnt(0)
	ds_bpermute_b32 v16, v1, v7
	s_waitcnt lgkmcnt(0)
	v_add_f32_e32 v7, v7, v16
	ds_bpermute_b32 v16, v3, v7
	s_waitcnt lgkmcnt(0)
	v_add_f32_e32 v7, v7, v16
	;; [unrolled: 3-line block ×5, first 2 shown]
.LBB173_22:
	s_or_b32 exec_lo, exec_lo, s0
	ds_bpermute_b32 v16, v1, v14
	v_cvt_f32_f16_sdwa v18, v6 dst_sel:DWORD dst_unused:UNUSED_PAD src0_sel:WORD_1
	s_waitcnt lgkmcnt(0)
	s_barrier
	buffer_gl0_inv
	v_add_f32_e32 v14, v14, v16
	ds_bpermute_b32 v16, v3, v14
	s_waitcnt lgkmcnt(0)
	v_add_f32_e32 v14, v14, v16
	ds_bpermute_b32 v16, v4, v14
	s_waitcnt lgkmcnt(0)
	;; [unrolled: 3-line block ×3, first 2 shown]
	v_add_f32_e32 v14, v14, v16
	v_cvt_f32_f16_e32 v16, v6
	ds_bpermute_b32 v19, v12, v14
	s_waitcnt lgkmcnt(0)
	v_add_f32_e32 v6, v14, v19
	v_add_f32_e32 v14, v15, v17
	ds_write_b32 v13, v6
	s_waitcnt lgkmcnt(0)
	s_barrier
	buffer_gl0_inv
	s_and_saveexec_b32 s0, vcc_lo
	s_cbranch_execz .LBB173_24
; %bb.23:
	ds_read_b32 v6, v5
	s_waitcnt lgkmcnt(0)
	ds_bpermute_b32 v15, v1, v6
	s_waitcnt lgkmcnt(0)
	v_add_f32_e32 v6, v6, v15
	ds_bpermute_b32 v15, v3, v6
	s_waitcnt lgkmcnt(0)
	v_add_f32_e32 v6, v6, v15
	;; [unrolled: 3-line block ×5, first 2 shown]
.LBB173_24:
	s_or_b32 exec_lo, exec_lo, s0
	ds_bpermute_b32 v15, v1, v14
	s_waitcnt lgkmcnt(0)
	s_barrier
	buffer_gl0_inv
	v_add_f32_e32 v14, v14, v15
	ds_bpermute_b32 v15, v3, v14
	s_waitcnt lgkmcnt(0)
	v_add_f32_e32 v14, v14, v15
	ds_bpermute_b32 v15, v4, v14
	s_waitcnt lgkmcnt(0)
	;; [unrolled: 3-line block ×4, first 2 shown]
	v_add_f32_e32 v14, v14, v15
	v_add_f32_e32 v15, v16, v18
	ds_write_b32 v13, v14
	s_waitcnt lgkmcnt(0)
	s_barrier
	buffer_gl0_inv
	s_and_saveexec_b32 s0, vcc_lo
	s_cbranch_execz .LBB173_26
; %bb.25:
	ds_read_b32 v14, v5
	s_waitcnt lgkmcnt(0)
	ds_bpermute_b32 v16, v1, v14
	s_waitcnt lgkmcnt(0)
	v_add_f32_e32 v14, v14, v16
	ds_bpermute_b32 v16, v3, v14
	s_waitcnt lgkmcnt(0)
	v_add_f32_e32 v14, v14, v16
	;; [unrolled: 3-line block ×5, first 2 shown]
.LBB173_26:
	s_or_b32 exec_lo, exec_lo, s0
	ds_bpermute_b32 v16, v1, v15
	s_waitcnt lgkmcnt(0)
	s_barrier
	buffer_gl0_inv
	v_add_f32_e32 v15, v15, v16
	ds_bpermute_b32 v16, v3, v15
	s_waitcnt lgkmcnt(0)
	v_add_f32_e32 v15, v15, v16
	ds_bpermute_b32 v16, v4, v15
	s_waitcnt lgkmcnt(0)
	;; [unrolled: 3-line block ×4, first 2 shown]
	v_add_f32_e32 v15, v15, v16
	ds_write_b32 v13, v15
	s_waitcnt lgkmcnt(0)
	s_barrier
	buffer_gl0_inv
	s_and_saveexec_b32 s0, vcc_lo
	s_cbranch_execz .LBB173_28
; %bb.27:
	ds_read_b32 v5, v5
	s_waitcnt lgkmcnt(0)
	ds_bpermute_b32 v1, v1, v5
	s_waitcnt lgkmcnt(0)
	v_add_f32_e32 v1, v5, v1
	ds_bpermute_b32 v3, v3, v1
	s_waitcnt lgkmcnt(0)
	v_add_f32_e32 v1, v1, v3
	;; [unrolled: 3-line block ×5, first 2 shown]
.LBB173_28:
	s_or_b32 exec_lo, exec_lo, s0
	s_barrier
	buffer_gl0_inv
	s_mov_b32 s0, exec_lo
	v_cmpx_gt_u32_e32 8, v0
	s_cbranch_execz .LBB173_30
; %bb.29:
	v_cmp_eq_u32_e32 vcc_lo, 1, v0
	s_load_dwordx2 s[0:1], s[4:5], 0x38
	s_mul_hi_i32 s3, s22, s10
	s_mul_i32 s2, s22, s10
	s_mul_i32 s4, s26, s7
	v_cndmask_b32_e32 v1, v2, v11, vcc_lo
	v_cmp_eq_u32_e32 vcc_lo, 2, v0
	s_lshl_b64 s[2:3], s[2:3], 2
	s_ashr_i32 s5, s4, 31
	v_cndmask_b32_e32 v3, v1, v9, vcc_lo
	v_cmp_eq_u32_e32 vcc_lo, 3, v0
	v_mad_u64_u32 v[1:2], null, s18, v0, s[6:7]
	v_cndmask_b32_e32 v2, v3, v8, vcc_lo
	v_cmp_eq_u32_e32 vcc_lo, 4, v0
	s_waitcnt lgkmcnt(0)
	s_add_u32 s2, s0, s2
	s_addc_u32 s3, s1, s3
	v_cndmask_b32_e32 v3, v2, v7, vcc_lo
	v_cmp_eq_u32_e32 vcc_lo, 5, v0
	v_ashrrev_i32_e32 v2, 31, v1
	s_lshl_b64 s[0:1], s[4:5], 2
	s_add_u32 s0, s2, s0
	v_cndmask_b32_e32 v3, v3, v6, vcc_lo
	v_cmp_eq_u32_e32 vcc_lo, 6, v0
	v_lshlrev_b64 v[1:2], 2, v[1:2]
	s_addc_u32 s1, s3, s1
	v_cndmask_b32_e32 v3, v3, v14, vcc_lo
	v_cmp_eq_u32_e32 vcc_lo, 7, v0
	v_cndmask_b32_e32 v3, v3, v15, vcc_lo
	v_add_co_u32 v0, vcc_lo, s0, v1
	v_add_co_ci_u32_e64 v1, null, s1, v2, vcc_lo
	global_store_dword v[0:1], v3, off
.LBB173_30:
	s_endpgm
	.section	.rodata,"a",@progbits
	.p2align	6, 0x0
	.amdhsa_kernel _ZL13mul_mat_vec_fI6__halfS0_Li8ELi192ELb0ELb0EEvPKT_PKfPKi31ggml_cuda_mm_fusion_args_devicePfi15HIP_vector_typeIjLj3EEiiiSB_iiiSB_iiii
		.amdhsa_group_segment_fixed_size 0
		.amdhsa_private_segment_fixed_size 0
		.amdhsa_kernarg_size 144
		.amdhsa_user_sgpr_count 6
		.amdhsa_user_sgpr_private_segment_buffer 1
		.amdhsa_user_sgpr_dispatch_ptr 0
		.amdhsa_user_sgpr_queue_ptr 0
		.amdhsa_user_sgpr_kernarg_segment_ptr 1
		.amdhsa_user_sgpr_dispatch_id 0
		.amdhsa_user_sgpr_flat_scratch_init 0
		.amdhsa_user_sgpr_private_segment_size 0
		.amdhsa_wavefront_size32 1
		.amdhsa_uses_dynamic_stack 0
		.amdhsa_system_sgpr_private_segment_wavefront_offset 0
		.amdhsa_system_sgpr_workgroup_id_x 1
		.amdhsa_system_sgpr_workgroup_id_y 1
		.amdhsa_system_sgpr_workgroup_id_z 1
		.amdhsa_system_sgpr_workgroup_info 0
		.amdhsa_system_vgpr_workitem_id 0
		.amdhsa_next_free_vgpr 32
		.amdhsa_next_free_sgpr 38
		.amdhsa_reserve_vcc 1
		.amdhsa_reserve_flat_scratch 0
		.amdhsa_float_round_mode_32 0
		.amdhsa_float_round_mode_16_64 0
		.amdhsa_float_denorm_mode_32 3
		.amdhsa_float_denorm_mode_16_64 3
		.amdhsa_dx10_clamp 1
		.amdhsa_ieee_mode 1
		.amdhsa_fp16_overflow 0
		.amdhsa_workgroup_processor_mode 1
		.amdhsa_memory_ordered 1
		.amdhsa_forward_progress 1
		.amdhsa_shared_vgpr_count 0
		.amdhsa_exception_fp_ieee_invalid_op 0
		.amdhsa_exception_fp_denorm_src 0
		.amdhsa_exception_fp_ieee_div_zero 0
		.amdhsa_exception_fp_ieee_overflow 0
		.amdhsa_exception_fp_ieee_underflow 0
		.amdhsa_exception_fp_ieee_inexact 0
		.amdhsa_exception_int_div_zero 0
	.end_amdhsa_kernel
	.section	.text._ZL13mul_mat_vec_fI6__halfS0_Li8ELi192ELb0ELb0EEvPKT_PKfPKi31ggml_cuda_mm_fusion_args_devicePfi15HIP_vector_typeIjLj3EEiiiSB_iiiSB_iiii,"axG",@progbits,_ZL13mul_mat_vec_fI6__halfS0_Li8ELi192ELb0ELb0EEvPKT_PKfPKi31ggml_cuda_mm_fusion_args_devicePfi15HIP_vector_typeIjLj3EEiiiSB_iiiSB_iiii,comdat
.Lfunc_end173:
	.size	_ZL13mul_mat_vec_fI6__halfS0_Li8ELi192ELb0ELb0EEvPKT_PKfPKi31ggml_cuda_mm_fusion_args_devicePfi15HIP_vector_typeIjLj3EEiiiSB_iiiSB_iiii, .Lfunc_end173-_ZL13mul_mat_vec_fI6__halfS0_Li8ELi192ELb0ELb0EEvPKT_PKfPKi31ggml_cuda_mm_fusion_args_devicePfi15HIP_vector_typeIjLj3EEiiiSB_iiiSB_iiii
                                        ; -- End function
	.set _ZL13mul_mat_vec_fI6__halfS0_Li8ELi192ELb0ELb0EEvPKT_PKfPKi31ggml_cuda_mm_fusion_args_devicePfi15HIP_vector_typeIjLj3EEiiiSB_iiiSB_iiii.num_vgpr, 32
	.set _ZL13mul_mat_vec_fI6__halfS0_Li8ELi192ELb0ELb0EEvPKT_PKfPKi31ggml_cuda_mm_fusion_args_devicePfi15HIP_vector_typeIjLj3EEiiiSB_iiiSB_iiii.num_agpr, 0
	.set _ZL13mul_mat_vec_fI6__halfS0_Li8ELi192ELb0ELb0EEvPKT_PKfPKi31ggml_cuda_mm_fusion_args_devicePfi15HIP_vector_typeIjLj3EEiiiSB_iiiSB_iiii.numbered_sgpr, 38
	.set _ZL13mul_mat_vec_fI6__halfS0_Li8ELi192ELb0ELb0EEvPKT_PKfPKi31ggml_cuda_mm_fusion_args_devicePfi15HIP_vector_typeIjLj3EEiiiSB_iiiSB_iiii.num_named_barrier, 0
	.set _ZL13mul_mat_vec_fI6__halfS0_Li8ELi192ELb0ELb0EEvPKT_PKfPKi31ggml_cuda_mm_fusion_args_devicePfi15HIP_vector_typeIjLj3EEiiiSB_iiiSB_iiii.private_seg_size, 0
	.set _ZL13mul_mat_vec_fI6__halfS0_Li8ELi192ELb0ELb0EEvPKT_PKfPKi31ggml_cuda_mm_fusion_args_devicePfi15HIP_vector_typeIjLj3EEiiiSB_iiiSB_iiii.uses_vcc, 1
	.set _ZL13mul_mat_vec_fI6__halfS0_Li8ELi192ELb0ELb0EEvPKT_PKfPKi31ggml_cuda_mm_fusion_args_devicePfi15HIP_vector_typeIjLj3EEiiiSB_iiiSB_iiii.uses_flat_scratch, 0
	.set _ZL13mul_mat_vec_fI6__halfS0_Li8ELi192ELb0ELb0EEvPKT_PKfPKi31ggml_cuda_mm_fusion_args_devicePfi15HIP_vector_typeIjLj3EEiiiSB_iiiSB_iiii.has_dyn_sized_stack, 0
	.set _ZL13mul_mat_vec_fI6__halfS0_Li8ELi192ELb0ELb0EEvPKT_PKfPKi31ggml_cuda_mm_fusion_args_devicePfi15HIP_vector_typeIjLj3EEiiiSB_iiiSB_iiii.has_recursion, 0
	.set _ZL13mul_mat_vec_fI6__halfS0_Li8ELi192ELb0ELb0EEvPKT_PKfPKi31ggml_cuda_mm_fusion_args_devicePfi15HIP_vector_typeIjLj3EEiiiSB_iiiSB_iiii.has_indirect_call, 0
	.section	.AMDGPU.csdata,"",@progbits
; Kernel info:
; codeLenInByte = 3324
; TotalNumSgprs: 40
; NumVgprs: 32
; ScratchSize: 0
; MemoryBound: 0
; FloatMode: 240
; IeeeMode: 1
; LDSByteSize: 0 bytes/workgroup (compile time only)
; SGPRBlocks: 0
; VGPRBlocks: 3
; NumSGPRsForWavesPerEU: 40
; NumVGPRsForWavesPerEU: 32
; Occupancy: 16
; WaveLimiterHint : 0
; COMPUTE_PGM_RSRC2:SCRATCH_EN: 0
; COMPUTE_PGM_RSRC2:USER_SGPR: 6
; COMPUTE_PGM_RSRC2:TRAP_HANDLER: 0
; COMPUTE_PGM_RSRC2:TGID_X_EN: 1
; COMPUTE_PGM_RSRC2:TGID_Y_EN: 1
; COMPUTE_PGM_RSRC2:TGID_Z_EN: 1
; COMPUTE_PGM_RSRC2:TIDIG_COMP_CNT: 0
	.section	.text._ZL13mul_mat_vec_fI6__halfS0_Li8ELi224ELb0ELb0EEvPKT_PKfPKi31ggml_cuda_mm_fusion_args_devicePfi15HIP_vector_typeIjLj3EEiiiSB_iiiSB_iiii,"axG",@progbits,_ZL13mul_mat_vec_fI6__halfS0_Li8ELi224ELb0ELb0EEvPKT_PKfPKi31ggml_cuda_mm_fusion_args_devicePfi15HIP_vector_typeIjLj3EEiiiSB_iiiSB_iiii,comdat
	.globl	_ZL13mul_mat_vec_fI6__halfS0_Li8ELi224ELb0ELb0EEvPKT_PKfPKi31ggml_cuda_mm_fusion_args_devicePfi15HIP_vector_typeIjLj3EEiiiSB_iiiSB_iiii ; -- Begin function _ZL13mul_mat_vec_fI6__halfS0_Li8ELi224ELb0ELb0EEvPKT_PKfPKi31ggml_cuda_mm_fusion_args_devicePfi15HIP_vector_typeIjLj3EEiiiSB_iiiSB_iiii
	.p2align	8
	.type	_ZL13mul_mat_vec_fI6__halfS0_Li8ELi224ELb0ELb0EEvPKT_PKfPKi31ggml_cuda_mm_fusion_args_devicePfi15HIP_vector_typeIjLj3EEiiiSB_iiiSB_iiii,@function
_ZL13mul_mat_vec_fI6__halfS0_Li8ELi224ELb0ELb0EEvPKT_PKfPKi31ggml_cuda_mm_fusion_args_devicePfi15HIP_vector_typeIjLj3EEiiiSB_iiiSB_iiii: ; @_ZL13mul_mat_vec_fI6__halfS0_Li8ELi224ELb0ELb0EEvPKT_PKfPKi31ggml_cuda_mm_fusion_args_devicePfi15HIP_vector_typeIjLj3EEiiiSB_iiiSB_iiii
; %bb.0:
	s_clause 0x2
	s_load_dwordx2 s[0:1], s[4:5], 0x10
	s_load_dwordx8 s[12:19], s[4:5], 0x40
	s_load_dwordx4 s[20:23], s[4:5], 0x80
	s_waitcnt lgkmcnt(0)
	s_cmp_eq_u64 s[0:1], 0
	s_cselect_b32 s10, -1, 0
	s_cmp_lg_u64 s[0:1], 0
	s_cselect_b32 s11, -1, 0
	s_and_b32 vcc_lo, exec_lo, s10
	s_cbranch_vccnz .LBB174_2
; %bb.1:
	s_mul_i32 s2, s23, s8
	s_mov_b32 s3, 0
	s_add_i32 s2, s2, s7
	s_lshl_b64 s[24:25], s[2:3], 2
	s_add_u32 s0, s0, s24
	s_addc_u32 s1, s1, s25
	s_load_dword s9, s[0:1], 0x0
	s_cbranch_execz .LBB174_3
	s_branch .LBB174_4
.LBB174_2:
                                        ; implicit-def: $sgpr9
.LBB174_3:
	s_load_dwordx2 s[0:1], s[4:5], 0x5c
	s_waitcnt lgkmcnt(0)
	s_mul_hi_u32 s0, s0, s7
	s_add_i32 s0, s7, s0
	s_lshr_b32 s9, s0, s1
.LBB174_4:
	s_load_dwordx4 s[24:27], s[4:5], 0x68
	s_andn2_b32 vcc_lo, exec_lo, s11
	s_mov_b32 s19, s7
	s_cbranch_vccnz .LBB174_6
; %bb.5:
	s_mul_hi_u32 s0, s13, s7
	s_add_i32 s0, s7, s0
	s_lshr_b32 s0, s0, s14
	s_mul_i32 s0, s0, s15
	s_sub_i32 s19, s7, s0
.LBB174_6:
	s_load_dword s14, s[4:5], 0x78
	v_cmp_gt_u32_e32 vcc_lo, 32, v0
	v_lshl_add_u32 v5, v0, 2, 0
	s_and_saveexec_b32 s0, vcc_lo
; %bb.7:
	v_mov_b32_e32 v1, 0
	ds_write_b32 v5, v1
; %bb.8:
	s_or_b32 exec_lo, exec_lo, s0
	v_mov_b32_e32 v10, 0
	v_mov_b32_e32 v13, 0
	;; [unrolled: 1-line block ×8, first 2 shown]
	s_and_b32 s0, exec_lo, s10
	s_cselect_b32 s10, s8, 0
	s_mov_b32 s11, exec_lo
	s_waitcnt lgkmcnt(0)
	s_barrier
	buffer_gl0_inv
	v_cmpx_gt_i32_e64 s12, v0
	s_cbranch_execz .LBB174_12
; %bb.9:
	s_load_dwordx4 s[0:3], s[4:5], 0x0
	s_mul_hi_u32 s15, s27, s10
	s_mul_hi_i32 s29, s21, s10
	s_mul_i32 s28, s21, s10
	s_mul_i32 s8, s9, s24
	;; [unrolled: 1-line block ×4, first 2 shown]
	s_add_i32 s15, s10, s15
	s_lshl_b64 s[28:29], s[28:29], 2
	s_ashr_i32 s9, s8, 31
	s_ashr_i32 s25, s24, 31
	;; [unrolled: 1-line block ×3, first 2 shown]
	s_lshr_b32 s14, s15, s14
	s_mov_b32 s34, s17
	s_mul_hi_i32 s37, s14, s20
	s_mul_i32 s36, s14, s20
	v_lshlrev_b32_e32 v2, 3, v0
	v_lshlrev_b32_e32 v1, 2, v0
	v_mov_b32_e32 v6, 0
	v_mov_b32_e32 v7, 0
	s_waitcnt lgkmcnt(0)
	s_add_u32 s15, s2, s28
	s_addc_u32 s16, s3, s29
	s_lshl_b64 s[30:31], s[30:31], 2
	v_mov_b32_e32 v8, 0
	s_add_u32 s14, s15, s30
	s_addc_u32 s15, s16, s31
	s_lshl_b64 s[8:9], s[8:9], 1
	s_ashr_i32 s35, s17, 31
	s_add_i32 s16, s17, s17
	s_lshl_b32 s19, s17, 2
	s_lshl_b64 s[36:37], s[36:37], 1
	s_lshl_b64 s[24:25], s[24:25], 1
	s_add_u32 s0, s0, s8
	s_addc_u32 s1, s1, s9
	s_add_u32 s0, s0, s24
	s_addc_u32 s1, s1, s25
	;; [unrolled: 2-line block ×3, first 2 shown]
	s_lshl_b64 s[8:9], s[34:35], 3
	s_add_u32 s2, s2, s30
	s_addc_u32 s3, s3, s31
	s_add_u32 s2, s2, s28
	s_addc_u32 s3, s3, s29
	v_add_co_u32 v3, s2, s2, v2
	v_add_co_ci_u32_e64 v4, null, s3, 0, s2
	v_add_co_u32 v1, s0, s0, v1
	v_add_co_ci_u32_e64 v2, null, s1, 0, s0
	;; [unrolled: 2-line block ×3, first 2 shown]
	v_mov_b32_e32 v9, 0
	v_mov_b32_e32 v11, 0
	;; [unrolled: 1-line block ×6, first 2 shown]
	s_mul_i32 s13, s17, 3
	s_mul_i32 s20, s17, 5
	;; [unrolled: 1-line block ×4, first 2 shown]
	s_mov_b32 s2, 0
.LBB174_10:                             ; =>This Inner Loop Header: Depth=1
	v_add_nc_u32_e32 v19, s16, v12
	v_add_nc_u32_e32 v21, s13, v12
	;; [unrolled: 1-line block ×5, first 2 shown]
	v_ashrrev_i32_e32 v20, 31, v19
	v_ashrrev_i32_e32 v22, 31, v21
	;; [unrolled: 1-line block ×3, first 2 shown]
	v_add_nc_u32_e32 v29, s3, v12
	v_ashrrev_i32_e32 v26, 31, v25
	v_lshlrev_b64 v[19:20], 3, v[19:20]
	v_add_co_u32 v17, s0, v3, s8
	v_lshlrev_b64 v[21:22], 3, v[21:22]
	v_ashrrev_i32_e32 v28, 31, v27
	v_add_co_ci_u32_e64 v18, null, s9, v4, s0
	v_lshlrev_b64 v[23:24], 3, v[23:24]
	v_ashrrev_i32_e32 v30, 31, v29
	v_lshlrev_b64 v[25:26], 3, v[25:26]
	v_add_co_u32 v19, s0, s14, v19
	v_lshlrev_b64 v[27:28], 3, v[27:28]
	v_add_co_ci_u32_e64 v20, null, s15, v20, s0
	v_add_co_u32 v21, s0, s14, v21
	s_clause 0x1
	global_load_dwordx2 v[15:16], v[3:4], off offset:-4
	global_load_dwordx2 v[17:18], v[17:18], off offset:-4
	v_lshlrev_b64 v[29:30], 3, v[29:30]
	v_add_co_ci_u32_e64 v22, null, s15, v22, s0
	v_add_co_u32 v23, s0, s14, v23
	v_add_co_ci_u32_e64 v24, null, s15, v24, s0
	v_add_co_u32 v25, s0, s14, v25
	;; [unrolled: 2-line block ×4, first 2 shown]
	v_add_co_ci_u32_e64 v30, null, s15, v30, s0
	s_clause 0x5
	global_load_dwordx2 v[19:20], v[19:20], off
	global_load_dwordx2 v[21:22], v[21:22], off
	;; [unrolled: 1-line block ×6, first 2 shown]
	global_load_dword v31, v[1:2], off
	v_add_nc_u32_e32 v12, 0xe0, v12
	v_add_co_u32 v1, s0, 0x380, v1
	v_add_co_ci_u32_e64 v2, null, 0, v2, s0
	v_add_co_u32 v3, s0, 0x700, v3
	v_add_co_ci_u32_e64 v4, null, 0, v4, s0
	v_cmp_le_i32_e64 s0, s12, v12
	s_or_b32 s2, s0, s2
	s_waitcnt vmcnt(8)
	v_cvt_f16_f32_e32 v15, v15
	v_cvt_f16_f32_e32 v16, v16
	s_waitcnt vmcnt(7)
	v_cvt_f16_f32_e32 v17, v17
	v_cvt_f16_f32_e32 v18, v18
	v_pack_b32_f16 v15, v15, v16
	v_pack_b32_f16 v16, v17, v18
	s_waitcnt vmcnt(5)
	v_cvt_f16_f32_e32 v17, v21
	v_cvt_f16_f32_e32 v18, v22
	s_waitcnt vmcnt(3)
	v_cvt_f16_f32_e32 v21, v25
	v_cvt_f16_f32_e32 v22, v26
	s_waitcnt vmcnt(1)
	v_cvt_f16_f32_e32 v25, v29
	s_waitcnt vmcnt(0)
	v_pk_fma_f16 v10, v31, v15, v10
	v_pk_fma_f16 v13, v31, v16, v13
	v_cvt_f16_f32_e32 v15, v19
	v_cvt_f16_f32_e32 v16, v20
	;; [unrolled: 1-line block ×7, first 2 shown]
	v_pack_b32_f16 v15, v15, v16
	v_pack_b32_f16 v16, v17, v18
	;; [unrolled: 1-line block ×6, first 2 shown]
	v_pk_fma_f16 v14, v31, v15, v14
	v_pk_fma_f16 v11, v31, v16, v11
	;; [unrolled: 1-line block ×6, first 2 shown]
	s_andn2_b32 exec_lo, exec_lo, s2
	s_cbranch_execnz .LBB174_10
; %bb.11:
	s_or_b32 exec_lo, exec_lo, s2
.LBB174_12:
	s_or_b32 exec_lo, exec_lo, s11
	v_mbcnt_lo_u32_b32 v2, -1, 0
	v_cvt_f32_f16_e32 v3, v10
	v_cvt_f32_f16_sdwa v4, v10 dst_sel:DWORD dst_unused:UNUSED_PAD src0_sel:WORD_1
	v_cvt_f32_f16_e32 v18, v13
	v_cvt_f32_f16_sdwa v19, v13 dst_sel:DWORD dst_unused:UNUSED_PAD src0_sel:WORD_1
	v_xor_b32_e32 v1, 16, v2
	v_cvt_f32_f16_sdwa v17, v14 dst_sel:DWORD dst_unused:UNUSED_PAD src0_sel:WORD_1
	v_add_f32_e32 v4, v3, v4
	v_xor_b32_e32 v3, 8, v2
	v_cmp_gt_i32_e64 s0, 32, v1
	v_cndmask_b32_e64 v1, v2, v1, s0
	v_cmp_gt_i32_e64 s0, 32, v3
	v_lshlrev_b32_e32 v1, 2, v1
	v_cndmask_b32_e64 v3, v2, v3, s0
	ds_bpermute_b32 v10, v1, v4
	v_lshlrev_b32_e32 v3, 2, v3
	s_waitcnt lgkmcnt(0)
	v_add_f32_e32 v10, v4, v10
	v_xor_b32_e32 v4, 4, v2
	ds_bpermute_b32 v12, v3, v10
	v_cmp_gt_i32_e64 s0, 32, v4
	v_cndmask_b32_e64 v4, v2, v4, s0
	v_lshlrev_b32_e32 v4, 2, v4
	s_waitcnt lgkmcnt(0)
	v_add_f32_e32 v12, v10, v12
	v_xor_b32_e32 v10, 2, v2
	ds_bpermute_b32 v15, v4, v12
	v_cmp_gt_i32_e64 s0, 32, v10
	v_cndmask_b32_e64 v10, v2, v10, s0
	;; [unrolled: 7-line block ×3, first 2 shown]
	v_lshlrev_b32_e32 v12, 2, v2
	s_waitcnt lgkmcnt(0)
	v_add_f32_e32 v2, v15, v16
	v_lshrrev_b32_e32 v16, 3, v0
	ds_bpermute_b32 v15, v12, v2
	v_and_b32_e32 v16, 0x7c, v16
	v_add_nc_u32_e32 v13, 0, v16
	s_waitcnt lgkmcnt(0)
	v_add_f32_e32 v2, v2, v15
	v_cvt_f32_f16_e32 v15, v14
	v_add_f32_e32 v14, v18, v19
	ds_write_b32 v13, v2
	s_waitcnt lgkmcnt(0)
	s_barrier
	buffer_gl0_inv
	s_and_saveexec_b32 s0, vcc_lo
	s_cbranch_execz .LBB174_14
; %bb.13:
	ds_read_b32 v2, v5
	s_waitcnt lgkmcnt(0)
	ds_bpermute_b32 v16, v1, v2
	s_waitcnt lgkmcnt(0)
	v_add_f32_e32 v2, v2, v16
	ds_bpermute_b32 v16, v3, v2
	s_waitcnt lgkmcnt(0)
	v_add_f32_e32 v2, v2, v16
	ds_bpermute_b32 v16, v4, v2
	s_waitcnt lgkmcnt(0)
	v_add_f32_e32 v2, v2, v16
	ds_bpermute_b32 v16, v10, v2
	s_waitcnt lgkmcnt(0)
	v_add_f32_e32 v2, v2, v16
	ds_bpermute_b32 v16, v12, v2
	s_waitcnt lgkmcnt(0)
	v_add_f32_e32 v2, v2, v16
.LBB174_14:
	s_or_b32 exec_lo, exec_lo, s0
	ds_bpermute_b32 v16, v1, v14
	v_add_f32_e32 v15, v15, v17
	s_waitcnt lgkmcnt(0)
	s_barrier
	buffer_gl0_inv
	v_add_f32_e32 v14, v14, v16
	ds_bpermute_b32 v16, v3, v14
	s_waitcnt lgkmcnt(0)
	v_add_f32_e32 v14, v14, v16
	ds_bpermute_b32 v16, v4, v14
	s_waitcnt lgkmcnt(0)
	v_add_f32_e32 v14, v14, v16
	ds_bpermute_b32 v16, v10, v14
	s_waitcnt lgkmcnt(0)
	v_add_f32_e32 v18, v14, v16
	v_cvt_f32_f16_e32 v14, v11
	v_cvt_f32_f16_sdwa v16, v11 dst_sel:DWORD dst_unused:UNUSED_PAD src0_sel:WORD_1
	ds_bpermute_b32 v19, v12, v18
	s_waitcnt lgkmcnt(0)
	v_add_f32_e32 v11, v18, v19
	ds_write_b32 v13, v11
	s_waitcnt lgkmcnt(0)
	s_barrier
	buffer_gl0_inv
	s_and_saveexec_b32 s0, vcc_lo
	s_cbranch_execz .LBB174_16
; %bb.15:
	ds_read_b32 v11, v5
	s_waitcnt lgkmcnt(0)
	ds_bpermute_b32 v17, v1, v11
	s_waitcnt lgkmcnt(0)
	v_add_f32_e32 v11, v11, v17
	ds_bpermute_b32 v17, v3, v11
	s_waitcnt lgkmcnt(0)
	v_add_f32_e32 v11, v11, v17
	ds_bpermute_b32 v17, v4, v11
	s_waitcnt lgkmcnt(0)
	v_add_f32_e32 v11, v11, v17
	ds_bpermute_b32 v17, v10, v11
	s_waitcnt lgkmcnt(0)
	v_add_f32_e32 v11, v11, v17
	ds_bpermute_b32 v17, v12, v11
	s_waitcnt lgkmcnt(0)
	v_add_f32_e32 v11, v11, v17
.LBB174_16:
	s_or_b32 exec_lo, exec_lo, s0
	ds_bpermute_b32 v17, v1, v15
	v_add_f32_e32 v14, v14, v16
	s_waitcnt lgkmcnt(0)
	s_barrier
	buffer_gl0_inv
	v_add_f32_e32 v15, v15, v17
	ds_bpermute_b32 v17, v3, v15
	s_waitcnt lgkmcnt(0)
	v_add_f32_e32 v15, v15, v17
	ds_bpermute_b32 v17, v4, v15
	s_waitcnt lgkmcnt(0)
	v_add_f32_e32 v15, v15, v17
	ds_bpermute_b32 v17, v10, v15
	s_waitcnt lgkmcnt(0)
	v_add_f32_e32 v18, v15, v17
	v_cvt_f32_f16_e32 v15, v9
	v_cvt_f32_f16_sdwa v17, v9 dst_sel:DWORD dst_unused:UNUSED_PAD src0_sel:WORD_1
	ds_bpermute_b32 v19, v12, v18
	s_waitcnt lgkmcnt(0)
	v_add_f32_e32 v9, v18, v19
	ds_write_b32 v13, v9
	s_waitcnt lgkmcnt(0)
	s_barrier
	buffer_gl0_inv
	s_and_saveexec_b32 s0, vcc_lo
	s_cbranch_execz .LBB174_18
; %bb.17:
	ds_read_b32 v9, v5
	s_waitcnt lgkmcnt(0)
	ds_bpermute_b32 v16, v1, v9
	s_waitcnt lgkmcnt(0)
	v_add_f32_e32 v9, v9, v16
	ds_bpermute_b32 v16, v3, v9
	s_waitcnt lgkmcnt(0)
	v_add_f32_e32 v9, v9, v16
	ds_bpermute_b32 v16, v4, v9
	s_waitcnt lgkmcnt(0)
	v_add_f32_e32 v9, v9, v16
	ds_bpermute_b32 v16, v10, v9
	s_waitcnt lgkmcnt(0)
	v_add_f32_e32 v9, v9, v16
	ds_bpermute_b32 v16, v12, v9
	s_waitcnt lgkmcnt(0)
	v_add_f32_e32 v9, v9, v16
.LBB174_18:
	s_or_b32 exec_lo, exec_lo, s0
	ds_bpermute_b32 v16, v1, v14
	v_add_f32_e32 v15, v15, v17
	s_waitcnt lgkmcnt(0)
	s_barrier
	buffer_gl0_inv
	v_add_f32_e32 v14, v14, v16
	ds_bpermute_b32 v16, v3, v14
	s_waitcnt lgkmcnt(0)
	v_add_f32_e32 v14, v14, v16
	ds_bpermute_b32 v16, v4, v14
	s_waitcnt lgkmcnt(0)
	v_add_f32_e32 v14, v14, v16
	ds_bpermute_b32 v16, v10, v14
	s_waitcnt lgkmcnt(0)
	v_add_f32_e32 v18, v14, v16
	v_cvt_f32_f16_e32 v14, v8
	v_cvt_f32_f16_sdwa v16, v8 dst_sel:DWORD dst_unused:UNUSED_PAD src0_sel:WORD_1
	ds_bpermute_b32 v19, v12, v18
	s_waitcnt lgkmcnt(0)
	v_add_f32_e32 v8, v18, v19
	ds_write_b32 v13, v8
	s_waitcnt lgkmcnt(0)
	s_barrier
	buffer_gl0_inv
	s_and_saveexec_b32 s0, vcc_lo
	s_cbranch_execz .LBB174_20
; %bb.19:
	ds_read_b32 v8, v5
	s_waitcnt lgkmcnt(0)
	ds_bpermute_b32 v17, v1, v8
	s_waitcnt lgkmcnt(0)
	v_add_f32_e32 v8, v8, v17
	ds_bpermute_b32 v17, v3, v8
	s_waitcnt lgkmcnt(0)
	v_add_f32_e32 v8, v8, v17
	ds_bpermute_b32 v17, v4, v8
	s_waitcnt lgkmcnt(0)
	v_add_f32_e32 v8, v8, v17
	ds_bpermute_b32 v17, v10, v8
	s_waitcnt lgkmcnt(0)
	v_add_f32_e32 v8, v8, v17
	ds_bpermute_b32 v17, v12, v8
	s_waitcnt lgkmcnt(0)
	v_add_f32_e32 v8, v8, v17
.LBB174_20:
	s_or_b32 exec_lo, exec_lo, s0
	ds_bpermute_b32 v17, v1, v15
	v_add_f32_e32 v14, v14, v16
	s_waitcnt lgkmcnt(0)
	s_barrier
	buffer_gl0_inv
	v_add_f32_e32 v15, v15, v17
	ds_bpermute_b32 v17, v3, v15
	s_waitcnt lgkmcnt(0)
	v_add_f32_e32 v15, v15, v17
	ds_bpermute_b32 v17, v4, v15
	s_waitcnt lgkmcnt(0)
	v_add_f32_e32 v15, v15, v17
	ds_bpermute_b32 v17, v10, v15
	s_waitcnt lgkmcnt(0)
	v_add_f32_e32 v18, v15, v17
	v_cvt_f32_f16_e32 v15, v7
	v_cvt_f32_f16_sdwa v17, v7 dst_sel:DWORD dst_unused:UNUSED_PAD src0_sel:WORD_1
	ds_bpermute_b32 v19, v12, v18
	s_waitcnt lgkmcnt(0)
	v_add_f32_e32 v7, v18, v19
	ds_write_b32 v13, v7
	s_waitcnt lgkmcnt(0)
	s_barrier
	buffer_gl0_inv
	s_and_saveexec_b32 s0, vcc_lo
	s_cbranch_execz .LBB174_22
; %bb.21:
	ds_read_b32 v7, v5
	s_waitcnt lgkmcnt(0)
	ds_bpermute_b32 v16, v1, v7
	s_waitcnt lgkmcnt(0)
	v_add_f32_e32 v7, v7, v16
	ds_bpermute_b32 v16, v3, v7
	s_waitcnt lgkmcnt(0)
	v_add_f32_e32 v7, v7, v16
	;; [unrolled: 3-line block ×5, first 2 shown]
.LBB174_22:
	s_or_b32 exec_lo, exec_lo, s0
	ds_bpermute_b32 v16, v1, v14
	v_cvt_f32_f16_sdwa v18, v6 dst_sel:DWORD dst_unused:UNUSED_PAD src0_sel:WORD_1
	s_waitcnt lgkmcnt(0)
	s_barrier
	buffer_gl0_inv
	v_add_f32_e32 v14, v14, v16
	ds_bpermute_b32 v16, v3, v14
	s_waitcnt lgkmcnt(0)
	v_add_f32_e32 v14, v14, v16
	ds_bpermute_b32 v16, v4, v14
	s_waitcnt lgkmcnt(0)
	;; [unrolled: 3-line block ×3, first 2 shown]
	v_add_f32_e32 v14, v14, v16
	v_cvt_f32_f16_e32 v16, v6
	ds_bpermute_b32 v19, v12, v14
	s_waitcnt lgkmcnt(0)
	v_add_f32_e32 v6, v14, v19
	v_add_f32_e32 v14, v15, v17
	ds_write_b32 v13, v6
	s_waitcnt lgkmcnt(0)
	s_barrier
	buffer_gl0_inv
	s_and_saveexec_b32 s0, vcc_lo
	s_cbranch_execz .LBB174_24
; %bb.23:
	ds_read_b32 v6, v5
	s_waitcnt lgkmcnt(0)
	ds_bpermute_b32 v15, v1, v6
	s_waitcnt lgkmcnt(0)
	v_add_f32_e32 v6, v6, v15
	ds_bpermute_b32 v15, v3, v6
	s_waitcnt lgkmcnt(0)
	v_add_f32_e32 v6, v6, v15
	;; [unrolled: 3-line block ×5, first 2 shown]
.LBB174_24:
	s_or_b32 exec_lo, exec_lo, s0
	ds_bpermute_b32 v15, v1, v14
	s_waitcnt lgkmcnt(0)
	s_barrier
	buffer_gl0_inv
	v_add_f32_e32 v14, v14, v15
	ds_bpermute_b32 v15, v3, v14
	s_waitcnt lgkmcnt(0)
	v_add_f32_e32 v14, v14, v15
	ds_bpermute_b32 v15, v4, v14
	s_waitcnt lgkmcnt(0)
	;; [unrolled: 3-line block ×4, first 2 shown]
	v_add_f32_e32 v14, v14, v15
	v_add_f32_e32 v15, v16, v18
	ds_write_b32 v13, v14
	s_waitcnt lgkmcnt(0)
	s_barrier
	buffer_gl0_inv
	s_and_saveexec_b32 s0, vcc_lo
	s_cbranch_execz .LBB174_26
; %bb.25:
	ds_read_b32 v14, v5
	s_waitcnt lgkmcnt(0)
	ds_bpermute_b32 v16, v1, v14
	s_waitcnt lgkmcnt(0)
	v_add_f32_e32 v14, v14, v16
	ds_bpermute_b32 v16, v3, v14
	s_waitcnt lgkmcnt(0)
	v_add_f32_e32 v14, v14, v16
	;; [unrolled: 3-line block ×5, first 2 shown]
.LBB174_26:
	s_or_b32 exec_lo, exec_lo, s0
	ds_bpermute_b32 v16, v1, v15
	s_waitcnt lgkmcnt(0)
	s_barrier
	buffer_gl0_inv
	v_add_f32_e32 v15, v15, v16
	ds_bpermute_b32 v16, v3, v15
	s_waitcnt lgkmcnt(0)
	v_add_f32_e32 v15, v15, v16
	ds_bpermute_b32 v16, v4, v15
	s_waitcnt lgkmcnt(0)
	v_add_f32_e32 v15, v15, v16
	ds_bpermute_b32 v16, v10, v15
	s_waitcnt lgkmcnt(0)
	v_add_f32_e32 v15, v15, v16
	ds_bpermute_b32 v16, v12, v15
	s_waitcnt lgkmcnt(0)
	v_add_f32_e32 v15, v15, v16
	ds_write_b32 v13, v15
	s_waitcnt lgkmcnt(0)
	s_barrier
	buffer_gl0_inv
	s_and_saveexec_b32 s0, vcc_lo
	s_cbranch_execz .LBB174_28
; %bb.27:
	ds_read_b32 v5, v5
	s_waitcnt lgkmcnt(0)
	ds_bpermute_b32 v1, v1, v5
	s_waitcnt lgkmcnt(0)
	v_add_f32_e32 v1, v5, v1
	ds_bpermute_b32 v3, v3, v1
	s_waitcnt lgkmcnt(0)
	v_add_f32_e32 v1, v1, v3
	;; [unrolled: 3-line block ×5, first 2 shown]
.LBB174_28:
	s_or_b32 exec_lo, exec_lo, s0
	s_barrier
	buffer_gl0_inv
	s_mov_b32 s0, exec_lo
	v_cmpx_gt_u32_e32 8, v0
	s_cbranch_execz .LBB174_30
; %bb.29:
	v_cmp_eq_u32_e32 vcc_lo, 1, v0
	s_load_dwordx2 s[0:1], s[4:5], 0x38
	s_mul_hi_i32 s3, s22, s10
	s_mul_i32 s2, s22, s10
	s_mul_i32 s4, s26, s7
	v_cndmask_b32_e32 v1, v2, v11, vcc_lo
	v_cmp_eq_u32_e32 vcc_lo, 2, v0
	s_lshl_b64 s[2:3], s[2:3], 2
	s_ashr_i32 s5, s4, 31
	v_cndmask_b32_e32 v3, v1, v9, vcc_lo
	v_cmp_eq_u32_e32 vcc_lo, 3, v0
	v_mad_u64_u32 v[1:2], null, s18, v0, s[6:7]
	v_cndmask_b32_e32 v2, v3, v8, vcc_lo
	v_cmp_eq_u32_e32 vcc_lo, 4, v0
	s_waitcnt lgkmcnt(0)
	s_add_u32 s2, s0, s2
	s_addc_u32 s3, s1, s3
	v_cndmask_b32_e32 v3, v2, v7, vcc_lo
	v_cmp_eq_u32_e32 vcc_lo, 5, v0
	v_ashrrev_i32_e32 v2, 31, v1
	s_lshl_b64 s[0:1], s[4:5], 2
	s_add_u32 s0, s2, s0
	v_cndmask_b32_e32 v3, v3, v6, vcc_lo
	v_cmp_eq_u32_e32 vcc_lo, 6, v0
	v_lshlrev_b64 v[1:2], 2, v[1:2]
	s_addc_u32 s1, s3, s1
	v_cndmask_b32_e32 v3, v3, v14, vcc_lo
	v_cmp_eq_u32_e32 vcc_lo, 7, v0
	v_cndmask_b32_e32 v3, v3, v15, vcc_lo
	v_add_co_u32 v0, vcc_lo, s0, v1
	v_add_co_ci_u32_e64 v1, null, s1, v2, vcc_lo
	global_store_dword v[0:1], v3, off
.LBB174_30:
	s_endpgm
	.section	.rodata,"a",@progbits
	.p2align	6, 0x0
	.amdhsa_kernel _ZL13mul_mat_vec_fI6__halfS0_Li8ELi224ELb0ELb0EEvPKT_PKfPKi31ggml_cuda_mm_fusion_args_devicePfi15HIP_vector_typeIjLj3EEiiiSB_iiiSB_iiii
		.amdhsa_group_segment_fixed_size 0
		.amdhsa_private_segment_fixed_size 0
		.amdhsa_kernarg_size 144
		.amdhsa_user_sgpr_count 6
		.amdhsa_user_sgpr_private_segment_buffer 1
		.amdhsa_user_sgpr_dispatch_ptr 0
		.amdhsa_user_sgpr_queue_ptr 0
		.amdhsa_user_sgpr_kernarg_segment_ptr 1
		.amdhsa_user_sgpr_dispatch_id 0
		.amdhsa_user_sgpr_flat_scratch_init 0
		.amdhsa_user_sgpr_private_segment_size 0
		.amdhsa_wavefront_size32 1
		.amdhsa_uses_dynamic_stack 0
		.amdhsa_system_sgpr_private_segment_wavefront_offset 0
		.amdhsa_system_sgpr_workgroup_id_x 1
		.amdhsa_system_sgpr_workgroup_id_y 1
		.amdhsa_system_sgpr_workgroup_id_z 1
		.amdhsa_system_sgpr_workgroup_info 0
		.amdhsa_system_vgpr_workitem_id 0
		.amdhsa_next_free_vgpr 32
		.amdhsa_next_free_sgpr 38
		.amdhsa_reserve_vcc 1
		.amdhsa_reserve_flat_scratch 0
		.amdhsa_float_round_mode_32 0
		.amdhsa_float_round_mode_16_64 0
		.amdhsa_float_denorm_mode_32 3
		.amdhsa_float_denorm_mode_16_64 3
		.amdhsa_dx10_clamp 1
		.amdhsa_ieee_mode 1
		.amdhsa_fp16_overflow 0
		.amdhsa_workgroup_processor_mode 1
		.amdhsa_memory_ordered 1
		.amdhsa_forward_progress 1
		.amdhsa_shared_vgpr_count 0
		.amdhsa_exception_fp_ieee_invalid_op 0
		.amdhsa_exception_fp_denorm_src 0
		.amdhsa_exception_fp_ieee_div_zero 0
		.amdhsa_exception_fp_ieee_overflow 0
		.amdhsa_exception_fp_ieee_underflow 0
		.amdhsa_exception_fp_ieee_inexact 0
		.amdhsa_exception_int_div_zero 0
	.end_amdhsa_kernel
	.section	.text._ZL13mul_mat_vec_fI6__halfS0_Li8ELi224ELb0ELb0EEvPKT_PKfPKi31ggml_cuda_mm_fusion_args_devicePfi15HIP_vector_typeIjLj3EEiiiSB_iiiSB_iiii,"axG",@progbits,_ZL13mul_mat_vec_fI6__halfS0_Li8ELi224ELb0ELb0EEvPKT_PKfPKi31ggml_cuda_mm_fusion_args_devicePfi15HIP_vector_typeIjLj3EEiiiSB_iiiSB_iiii,comdat
.Lfunc_end174:
	.size	_ZL13mul_mat_vec_fI6__halfS0_Li8ELi224ELb0ELb0EEvPKT_PKfPKi31ggml_cuda_mm_fusion_args_devicePfi15HIP_vector_typeIjLj3EEiiiSB_iiiSB_iiii, .Lfunc_end174-_ZL13mul_mat_vec_fI6__halfS0_Li8ELi224ELb0ELb0EEvPKT_PKfPKi31ggml_cuda_mm_fusion_args_devicePfi15HIP_vector_typeIjLj3EEiiiSB_iiiSB_iiii
                                        ; -- End function
	.set _ZL13mul_mat_vec_fI6__halfS0_Li8ELi224ELb0ELb0EEvPKT_PKfPKi31ggml_cuda_mm_fusion_args_devicePfi15HIP_vector_typeIjLj3EEiiiSB_iiiSB_iiii.num_vgpr, 32
	.set _ZL13mul_mat_vec_fI6__halfS0_Li8ELi224ELb0ELb0EEvPKT_PKfPKi31ggml_cuda_mm_fusion_args_devicePfi15HIP_vector_typeIjLj3EEiiiSB_iiiSB_iiii.num_agpr, 0
	.set _ZL13mul_mat_vec_fI6__halfS0_Li8ELi224ELb0ELb0EEvPKT_PKfPKi31ggml_cuda_mm_fusion_args_devicePfi15HIP_vector_typeIjLj3EEiiiSB_iiiSB_iiii.numbered_sgpr, 38
	.set _ZL13mul_mat_vec_fI6__halfS0_Li8ELi224ELb0ELb0EEvPKT_PKfPKi31ggml_cuda_mm_fusion_args_devicePfi15HIP_vector_typeIjLj3EEiiiSB_iiiSB_iiii.num_named_barrier, 0
	.set _ZL13mul_mat_vec_fI6__halfS0_Li8ELi224ELb0ELb0EEvPKT_PKfPKi31ggml_cuda_mm_fusion_args_devicePfi15HIP_vector_typeIjLj3EEiiiSB_iiiSB_iiii.private_seg_size, 0
	.set _ZL13mul_mat_vec_fI6__halfS0_Li8ELi224ELb0ELb0EEvPKT_PKfPKi31ggml_cuda_mm_fusion_args_devicePfi15HIP_vector_typeIjLj3EEiiiSB_iiiSB_iiii.uses_vcc, 1
	.set _ZL13mul_mat_vec_fI6__halfS0_Li8ELi224ELb0ELb0EEvPKT_PKfPKi31ggml_cuda_mm_fusion_args_devicePfi15HIP_vector_typeIjLj3EEiiiSB_iiiSB_iiii.uses_flat_scratch, 0
	.set _ZL13mul_mat_vec_fI6__halfS0_Li8ELi224ELb0ELb0EEvPKT_PKfPKi31ggml_cuda_mm_fusion_args_devicePfi15HIP_vector_typeIjLj3EEiiiSB_iiiSB_iiii.has_dyn_sized_stack, 0
	.set _ZL13mul_mat_vec_fI6__halfS0_Li8ELi224ELb0ELb0EEvPKT_PKfPKi31ggml_cuda_mm_fusion_args_devicePfi15HIP_vector_typeIjLj3EEiiiSB_iiiSB_iiii.has_recursion, 0
	.set _ZL13mul_mat_vec_fI6__halfS0_Li8ELi224ELb0ELb0EEvPKT_PKfPKi31ggml_cuda_mm_fusion_args_devicePfi15HIP_vector_typeIjLj3EEiiiSB_iiiSB_iiii.has_indirect_call, 0
	.section	.AMDGPU.csdata,"",@progbits
; Kernel info:
; codeLenInByte = 3324
; TotalNumSgprs: 40
; NumVgprs: 32
; ScratchSize: 0
; MemoryBound: 0
; FloatMode: 240
; IeeeMode: 1
; LDSByteSize: 0 bytes/workgroup (compile time only)
; SGPRBlocks: 0
; VGPRBlocks: 3
; NumSGPRsForWavesPerEU: 40
; NumVGPRsForWavesPerEU: 32
; Occupancy: 16
; WaveLimiterHint : 0
; COMPUTE_PGM_RSRC2:SCRATCH_EN: 0
; COMPUTE_PGM_RSRC2:USER_SGPR: 6
; COMPUTE_PGM_RSRC2:TRAP_HANDLER: 0
; COMPUTE_PGM_RSRC2:TGID_X_EN: 1
; COMPUTE_PGM_RSRC2:TGID_Y_EN: 1
; COMPUTE_PGM_RSRC2:TGID_Z_EN: 1
; COMPUTE_PGM_RSRC2:TIDIG_COMP_CNT: 0
	.section	.text._ZL13mul_mat_vec_fI6__halfS0_Li8ELi256ELb0ELb0EEvPKT_PKfPKi31ggml_cuda_mm_fusion_args_devicePfi15HIP_vector_typeIjLj3EEiiiSB_iiiSB_iiii,"axG",@progbits,_ZL13mul_mat_vec_fI6__halfS0_Li8ELi256ELb0ELb0EEvPKT_PKfPKi31ggml_cuda_mm_fusion_args_devicePfi15HIP_vector_typeIjLj3EEiiiSB_iiiSB_iiii,comdat
	.globl	_ZL13mul_mat_vec_fI6__halfS0_Li8ELi256ELb0ELb0EEvPKT_PKfPKi31ggml_cuda_mm_fusion_args_devicePfi15HIP_vector_typeIjLj3EEiiiSB_iiiSB_iiii ; -- Begin function _ZL13mul_mat_vec_fI6__halfS0_Li8ELi256ELb0ELb0EEvPKT_PKfPKi31ggml_cuda_mm_fusion_args_devicePfi15HIP_vector_typeIjLj3EEiiiSB_iiiSB_iiii
	.p2align	8
	.type	_ZL13mul_mat_vec_fI6__halfS0_Li8ELi256ELb0ELb0EEvPKT_PKfPKi31ggml_cuda_mm_fusion_args_devicePfi15HIP_vector_typeIjLj3EEiiiSB_iiiSB_iiii,@function
_ZL13mul_mat_vec_fI6__halfS0_Li8ELi256ELb0ELb0EEvPKT_PKfPKi31ggml_cuda_mm_fusion_args_devicePfi15HIP_vector_typeIjLj3EEiiiSB_iiiSB_iiii: ; @_ZL13mul_mat_vec_fI6__halfS0_Li8ELi256ELb0ELb0EEvPKT_PKfPKi31ggml_cuda_mm_fusion_args_devicePfi15HIP_vector_typeIjLj3EEiiiSB_iiiSB_iiii
; %bb.0:
	s_clause 0x2
	s_load_dwordx2 s[0:1], s[4:5], 0x10
	s_load_dwordx8 s[12:19], s[4:5], 0x40
	s_load_dwordx4 s[20:23], s[4:5], 0x80
	s_waitcnt lgkmcnt(0)
	s_cmp_eq_u64 s[0:1], 0
	s_cselect_b32 s10, -1, 0
	s_cmp_lg_u64 s[0:1], 0
	s_cselect_b32 s11, -1, 0
	s_and_b32 vcc_lo, exec_lo, s10
	s_cbranch_vccnz .LBB175_2
; %bb.1:
	s_mul_i32 s2, s23, s8
	s_mov_b32 s3, 0
	s_add_i32 s2, s2, s7
	s_lshl_b64 s[24:25], s[2:3], 2
	s_add_u32 s0, s0, s24
	s_addc_u32 s1, s1, s25
	s_load_dword s9, s[0:1], 0x0
	s_cbranch_execz .LBB175_3
	s_branch .LBB175_4
.LBB175_2:
                                        ; implicit-def: $sgpr9
.LBB175_3:
	s_load_dwordx2 s[0:1], s[4:5], 0x5c
	s_waitcnt lgkmcnt(0)
	s_mul_hi_u32 s0, s0, s7
	s_add_i32 s0, s7, s0
	s_lshr_b32 s9, s0, s1
.LBB175_4:
	s_load_dwordx4 s[24:27], s[4:5], 0x68
	s_andn2_b32 vcc_lo, exec_lo, s11
	s_mov_b32 s19, s7
	s_cbranch_vccnz .LBB175_6
; %bb.5:
	s_mul_hi_u32 s0, s13, s7
	s_add_i32 s0, s7, s0
	s_lshr_b32 s0, s0, s14
	s_mul_i32 s0, s0, s15
	s_sub_i32 s19, s7, s0
.LBB175_6:
	s_load_dword s14, s[4:5], 0x78
	v_cmp_gt_u32_e32 vcc_lo, 32, v0
	v_lshl_add_u32 v5, v0, 2, 0
	s_and_saveexec_b32 s0, vcc_lo
; %bb.7:
	v_mov_b32_e32 v1, 0
	ds_write_b32 v5, v1
; %bb.8:
	s_or_b32 exec_lo, exec_lo, s0
	v_mov_b32_e32 v10, 0
	v_mov_b32_e32 v13, 0
	v_mov_b32_e32 v14, 0
	v_mov_b32_e32 v11, 0
	v_mov_b32_e32 v9, 0
	v_mov_b32_e32 v8, 0
	v_mov_b32_e32 v7, 0
	v_mov_b32_e32 v6, 0
	s_and_b32 s0, exec_lo, s10
	s_cselect_b32 s10, s8, 0
	s_mov_b32 s11, exec_lo
	s_waitcnt lgkmcnt(0)
	s_barrier
	buffer_gl0_inv
	v_cmpx_gt_i32_e64 s12, v0
	s_cbranch_execz .LBB175_12
; %bb.9:
	s_load_dwordx4 s[0:3], s[4:5], 0x0
	s_mul_hi_u32 s15, s27, s10
	s_mul_hi_i32 s29, s21, s10
	s_mul_i32 s28, s21, s10
	s_mul_i32 s8, s9, s24
	;; [unrolled: 1-line block ×4, first 2 shown]
	s_add_i32 s15, s10, s15
	s_lshl_b64 s[28:29], s[28:29], 2
	s_ashr_i32 s9, s8, 31
	s_ashr_i32 s25, s24, 31
	;; [unrolled: 1-line block ×3, first 2 shown]
	s_lshr_b32 s14, s15, s14
	s_mov_b32 s34, s17
	s_mul_hi_i32 s37, s14, s20
	s_mul_i32 s36, s14, s20
	v_lshlrev_b32_e32 v2, 3, v0
	v_lshlrev_b32_e32 v1, 2, v0
	v_mov_b32_e32 v6, 0
	v_mov_b32_e32 v7, 0
	s_waitcnt lgkmcnt(0)
	s_add_u32 s15, s2, s28
	s_addc_u32 s16, s3, s29
	s_lshl_b64 s[30:31], s[30:31], 2
	v_mov_b32_e32 v8, 0
	s_add_u32 s14, s15, s30
	s_addc_u32 s15, s16, s31
	s_lshl_b64 s[8:9], s[8:9], 1
	s_ashr_i32 s35, s17, 31
	s_add_i32 s16, s17, s17
	s_lshl_b32 s19, s17, 2
	s_lshl_b64 s[36:37], s[36:37], 1
	s_lshl_b64 s[24:25], s[24:25], 1
	s_add_u32 s0, s0, s8
	s_addc_u32 s1, s1, s9
	s_add_u32 s0, s0, s24
	s_addc_u32 s1, s1, s25
	;; [unrolled: 2-line block ×3, first 2 shown]
	s_lshl_b64 s[8:9], s[34:35], 3
	s_add_u32 s2, s2, s30
	s_addc_u32 s3, s3, s31
	s_add_u32 s2, s2, s28
	s_addc_u32 s3, s3, s29
	v_add_co_u32 v3, s2, s2, v2
	v_add_co_ci_u32_e64 v4, null, s3, 0, s2
	v_add_co_u32 v1, s0, s0, v1
	v_add_co_ci_u32_e64 v2, null, s1, 0, s0
	;; [unrolled: 2-line block ×3, first 2 shown]
	v_mov_b32_e32 v9, 0
	v_mov_b32_e32 v11, 0
	;; [unrolled: 1-line block ×6, first 2 shown]
	s_mul_i32 s13, s17, 3
	s_mul_i32 s20, s17, 5
	;; [unrolled: 1-line block ×4, first 2 shown]
	s_mov_b32 s2, 0
.LBB175_10:                             ; =>This Inner Loop Header: Depth=1
	v_add_nc_u32_e32 v19, s16, v12
	v_add_nc_u32_e32 v21, s13, v12
	;; [unrolled: 1-line block ×5, first 2 shown]
	v_ashrrev_i32_e32 v20, 31, v19
	v_ashrrev_i32_e32 v22, 31, v21
	;; [unrolled: 1-line block ×3, first 2 shown]
	v_add_nc_u32_e32 v29, s3, v12
	v_ashrrev_i32_e32 v26, 31, v25
	v_lshlrev_b64 v[19:20], 3, v[19:20]
	v_add_co_u32 v17, s0, v3, s8
	v_lshlrev_b64 v[21:22], 3, v[21:22]
	v_ashrrev_i32_e32 v28, 31, v27
	v_add_co_ci_u32_e64 v18, null, s9, v4, s0
	v_lshlrev_b64 v[23:24], 3, v[23:24]
	v_ashrrev_i32_e32 v30, 31, v29
	v_lshlrev_b64 v[25:26], 3, v[25:26]
	v_add_co_u32 v19, s0, s14, v19
	v_lshlrev_b64 v[27:28], 3, v[27:28]
	v_add_co_ci_u32_e64 v20, null, s15, v20, s0
	v_add_co_u32 v21, s0, s14, v21
	s_clause 0x1
	global_load_dwordx2 v[15:16], v[3:4], off offset:-4
	global_load_dwordx2 v[17:18], v[17:18], off offset:-4
	v_lshlrev_b64 v[29:30], 3, v[29:30]
	v_add_co_ci_u32_e64 v22, null, s15, v22, s0
	v_add_co_u32 v23, s0, s14, v23
	v_add_co_ci_u32_e64 v24, null, s15, v24, s0
	v_add_co_u32 v25, s0, s14, v25
	;; [unrolled: 2-line block ×4, first 2 shown]
	v_add_co_ci_u32_e64 v30, null, s15, v30, s0
	s_clause 0x5
	global_load_dwordx2 v[19:20], v[19:20], off
	global_load_dwordx2 v[21:22], v[21:22], off
	;; [unrolled: 1-line block ×6, first 2 shown]
	global_load_dword v31, v[1:2], off
	v_add_nc_u32_e32 v12, 0x100, v12
	v_add_co_u32 v1, s0, 0x400, v1
	v_add_co_ci_u32_e64 v2, null, 0, v2, s0
	v_add_co_u32 v3, s0, 0x800, v3
	v_add_co_ci_u32_e64 v4, null, 0, v4, s0
	v_cmp_le_i32_e64 s0, s12, v12
	s_or_b32 s2, s0, s2
	s_waitcnt vmcnt(8)
	v_cvt_f16_f32_e32 v15, v15
	v_cvt_f16_f32_e32 v16, v16
	s_waitcnt vmcnt(7)
	v_cvt_f16_f32_e32 v17, v17
	v_cvt_f16_f32_e32 v18, v18
	v_pack_b32_f16 v15, v15, v16
	v_pack_b32_f16 v16, v17, v18
	s_waitcnt vmcnt(5)
	v_cvt_f16_f32_e32 v17, v21
	v_cvt_f16_f32_e32 v18, v22
	s_waitcnt vmcnt(3)
	v_cvt_f16_f32_e32 v21, v25
	v_cvt_f16_f32_e32 v22, v26
	s_waitcnt vmcnt(1)
	v_cvt_f16_f32_e32 v25, v29
	s_waitcnt vmcnt(0)
	v_pk_fma_f16 v10, v31, v15, v10
	v_pk_fma_f16 v13, v31, v16, v13
	v_cvt_f16_f32_e32 v15, v19
	v_cvt_f16_f32_e32 v16, v20
	;; [unrolled: 1-line block ×7, first 2 shown]
	v_pack_b32_f16 v15, v15, v16
	v_pack_b32_f16 v16, v17, v18
	;; [unrolled: 1-line block ×6, first 2 shown]
	v_pk_fma_f16 v14, v31, v15, v14
	v_pk_fma_f16 v11, v31, v16, v11
	;; [unrolled: 1-line block ×6, first 2 shown]
	s_andn2_b32 exec_lo, exec_lo, s2
	s_cbranch_execnz .LBB175_10
; %bb.11:
	s_or_b32 exec_lo, exec_lo, s2
.LBB175_12:
	s_or_b32 exec_lo, exec_lo, s11
	v_mbcnt_lo_u32_b32 v2, -1, 0
	v_cvt_f32_f16_e32 v3, v10
	v_cvt_f32_f16_sdwa v4, v10 dst_sel:DWORD dst_unused:UNUSED_PAD src0_sel:WORD_1
	v_cvt_f32_f16_e32 v18, v13
	v_cvt_f32_f16_sdwa v19, v13 dst_sel:DWORD dst_unused:UNUSED_PAD src0_sel:WORD_1
	v_xor_b32_e32 v1, 16, v2
	v_cvt_f32_f16_sdwa v17, v14 dst_sel:DWORD dst_unused:UNUSED_PAD src0_sel:WORD_1
	v_add_f32_e32 v4, v3, v4
	v_xor_b32_e32 v3, 8, v2
	v_cmp_gt_i32_e64 s0, 32, v1
	v_cndmask_b32_e64 v1, v2, v1, s0
	v_cmp_gt_i32_e64 s0, 32, v3
	v_lshlrev_b32_e32 v1, 2, v1
	v_cndmask_b32_e64 v3, v2, v3, s0
	ds_bpermute_b32 v10, v1, v4
	v_lshlrev_b32_e32 v3, 2, v3
	s_waitcnt lgkmcnt(0)
	v_add_f32_e32 v10, v4, v10
	v_xor_b32_e32 v4, 4, v2
	ds_bpermute_b32 v12, v3, v10
	v_cmp_gt_i32_e64 s0, 32, v4
	v_cndmask_b32_e64 v4, v2, v4, s0
	v_lshlrev_b32_e32 v4, 2, v4
	s_waitcnt lgkmcnt(0)
	v_add_f32_e32 v12, v10, v12
	v_xor_b32_e32 v10, 2, v2
	ds_bpermute_b32 v15, v4, v12
	v_cmp_gt_i32_e64 s0, 32, v10
	v_cndmask_b32_e64 v10, v2, v10, s0
	v_lshlrev_b32_e32 v10, 2, v10
	s_waitcnt lgkmcnt(0)
	v_add_f32_e32 v15, v12, v15
	v_xor_b32_e32 v12, 1, v2
	ds_bpermute_b32 v16, v10, v15
	v_cmp_gt_i32_e64 s0, 32, v12
	v_cndmask_b32_e64 v2, v2, v12, s0
	v_lshlrev_b32_e32 v12, 2, v2
	s_waitcnt lgkmcnt(0)
	v_add_f32_e32 v2, v15, v16
	v_lshrrev_b32_e32 v16, 3, v0
	ds_bpermute_b32 v15, v12, v2
	v_and_b32_e32 v16, 0x7c, v16
	v_add_nc_u32_e32 v13, 0, v16
	s_waitcnt lgkmcnt(0)
	v_add_f32_e32 v2, v2, v15
	v_cvt_f32_f16_e32 v15, v14
	v_add_f32_e32 v14, v18, v19
	ds_write_b32 v13, v2
	s_waitcnt lgkmcnt(0)
	s_barrier
	buffer_gl0_inv
	s_and_saveexec_b32 s0, vcc_lo
	s_cbranch_execz .LBB175_14
; %bb.13:
	ds_read_b32 v2, v5
	s_waitcnt lgkmcnt(0)
	ds_bpermute_b32 v16, v1, v2
	s_waitcnt lgkmcnt(0)
	v_add_f32_e32 v2, v2, v16
	ds_bpermute_b32 v16, v3, v2
	s_waitcnt lgkmcnt(0)
	v_add_f32_e32 v2, v2, v16
	ds_bpermute_b32 v16, v4, v2
	s_waitcnt lgkmcnt(0)
	v_add_f32_e32 v2, v2, v16
	ds_bpermute_b32 v16, v10, v2
	s_waitcnt lgkmcnt(0)
	v_add_f32_e32 v2, v2, v16
	ds_bpermute_b32 v16, v12, v2
	s_waitcnt lgkmcnt(0)
	v_add_f32_e32 v2, v2, v16
.LBB175_14:
	s_or_b32 exec_lo, exec_lo, s0
	ds_bpermute_b32 v16, v1, v14
	v_add_f32_e32 v15, v15, v17
	s_waitcnt lgkmcnt(0)
	s_barrier
	buffer_gl0_inv
	v_add_f32_e32 v14, v14, v16
	ds_bpermute_b32 v16, v3, v14
	s_waitcnt lgkmcnt(0)
	v_add_f32_e32 v14, v14, v16
	ds_bpermute_b32 v16, v4, v14
	s_waitcnt lgkmcnt(0)
	v_add_f32_e32 v14, v14, v16
	ds_bpermute_b32 v16, v10, v14
	s_waitcnt lgkmcnt(0)
	v_add_f32_e32 v18, v14, v16
	v_cvt_f32_f16_e32 v14, v11
	v_cvt_f32_f16_sdwa v16, v11 dst_sel:DWORD dst_unused:UNUSED_PAD src0_sel:WORD_1
	ds_bpermute_b32 v19, v12, v18
	s_waitcnt lgkmcnt(0)
	v_add_f32_e32 v11, v18, v19
	ds_write_b32 v13, v11
	s_waitcnt lgkmcnt(0)
	s_barrier
	buffer_gl0_inv
	s_and_saveexec_b32 s0, vcc_lo
	s_cbranch_execz .LBB175_16
; %bb.15:
	ds_read_b32 v11, v5
	s_waitcnt lgkmcnt(0)
	ds_bpermute_b32 v17, v1, v11
	s_waitcnt lgkmcnt(0)
	v_add_f32_e32 v11, v11, v17
	ds_bpermute_b32 v17, v3, v11
	s_waitcnt lgkmcnt(0)
	v_add_f32_e32 v11, v11, v17
	ds_bpermute_b32 v17, v4, v11
	s_waitcnt lgkmcnt(0)
	v_add_f32_e32 v11, v11, v17
	ds_bpermute_b32 v17, v10, v11
	s_waitcnt lgkmcnt(0)
	v_add_f32_e32 v11, v11, v17
	ds_bpermute_b32 v17, v12, v11
	s_waitcnt lgkmcnt(0)
	v_add_f32_e32 v11, v11, v17
.LBB175_16:
	s_or_b32 exec_lo, exec_lo, s0
	ds_bpermute_b32 v17, v1, v15
	v_add_f32_e32 v14, v14, v16
	s_waitcnt lgkmcnt(0)
	s_barrier
	buffer_gl0_inv
	v_add_f32_e32 v15, v15, v17
	ds_bpermute_b32 v17, v3, v15
	s_waitcnt lgkmcnt(0)
	v_add_f32_e32 v15, v15, v17
	ds_bpermute_b32 v17, v4, v15
	s_waitcnt lgkmcnt(0)
	v_add_f32_e32 v15, v15, v17
	ds_bpermute_b32 v17, v10, v15
	s_waitcnt lgkmcnt(0)
	v_add_f32_e32 v18, v15, v17
	v_cvt_f32_f16_e32 v15, v9
	v_cvt_f32_f16_sdwa v17, v9 dst_sel:DWORD dst_unused:UNUSED_PAD src0_sel:WORD_1
	ds_bpermute_b32 v19, v12, v18
	s_waitcnt lgkmcnt(0)
	v_add_f32_e32 v9, v18, v19
	ds_write_b32 v13, v9
	s_waitcnt lgkmcnt(0)
	s_barrier
	buffer_gl0_inv
	s_and_saveexec_b32 s0, vcc_lo
	s_cbranch_execz .LBB175_18
; %bb.17:
	ds_read_b32 v9, v5
	s_waitcnt lgkmcnt(0)
	ds_bpermute_b32 v16, v1, v9
	s_waitcnt lgkmcnt(0)
	v_add_f32_e32 v9, v9, v16
	ds_bpermute_b32 v16, v3, v9
	s_waitcnt lgkmcnt(0)
	v_add_f32_e32 v9, v9, v16
	ds_bpermute_b32 v16, v4, v9
	s_waitcnt lgkmcnt(0)
	v_add_f32_e32 v9, v9, v16
	ds_bpermute_b32 v16, v10, v9
	s_waitcnt lgkmcnt(0)
	v_add_f32_e32 v9, v9, v16
	ds_bpermute_b32 v16, v12, v9
	s_waitcnt lgkmcnt(0)
	v_add_f32_e32 v9, v9, v16
.LBB175_18:
	s_or_b32 exec_lo, exec_lo, s0
	ds_bpermute_b32 v16, v1, v14
	v_add_f32_e32 v15, v15, v17
	s_waitcnt lgkmcnt(0)
	s_barrier
	buffer_gl0_inv
	v_add_f32_e32 v14, v14, v16
	ds_bpermute_b32 v16, v3, v14
	s_waitcnt lgkmcnt(0)
	v_add_f32_e32 v14, v14, v16
	ds_bpermute_b32 v16, v4, v14
	s_waitcnt lgkmcnt(0)
	v_add_f32_e32 v14, v14, v16
	ds_bpermute_b32 v16, v10, v14
	s_waitcnt lgkmcnt(0)
	v_add_f32_e32 v18, v14, v16
	v_cvt_f32_f16_e32 v14, v8
	v_cvt_f32_f16_sdwa v16, v8 dst_sel:DWORD dst_unused:UNUSED_PAD src0_sel:WORD_1
	ds_bpermute_b32 v19, v12, v18
	s_waitcnt lgkmcnt(0)
	v_add_f32_e32 v8, v18, v19
	ds_write_b32 v13, v8
	s_waitcnt lgkmcnt(0)
	s_barrier
	buffer_gl0_inv
	s_and_saveexec_b32 s0, vcc_lo
	s_cbranch_execz .LBB175_20
; %bb.19:
	ds_read_b32 v8, v5
	s_waitcnt lgkmcnt(0)
	ds_bpermute_b32 v17, v1, v8
	s_waitcnt lgkmcnt(0)
	v_add_f32_e32 v8, v8, v17
	ds_bpermute_b32 v17, v3, v8
	s_waitcnt lgkmcnt(0)
	v_add_f32_e32 v8, v8, v17
	ds_bpermute_b32 v17, v4, v8
	s_waitcnt lgkmcnt(0)
	v_add_f32_e32 v8, v8, v17
	ds_bpermute_b32 v17, v10, v8
	s_waitcnt lgkmcnt(0)
	v_add_f32_e32 v8, v8, v17
	ds_bpermute_b32 v17, v12, v8
	s_waitcnt lgkmcnt(0)
	v_add_f32_e32 v8, v8, v17
.LBB175_20:
	s_or_b32 exec_lo, exec_lo, s0
	ds_bpermute_b32 v17, v1, v15
	v_add_f32_e32 v14, v14, v16
	s_waitcnt lgkmcnt(0)
	s_barrier
	buffer_gl0_inv
	v_add_f32_e32 v15, v15, v17
	ds_bpermute_b32 v17, v3, v15
	s_waitcnt lgkmcnt(0)
	v_add_f32_e32 v15, v15, v17
	ds_bpermute_b32 v17, v4, v15
	s_waitcnt lgkmcnt(0)
	v_add_f32_e32 v15, v15, v17
	ds_bpermute_b32 v17, v10, v15
	s_waitcnt lgkmcnt(0)
	v_add_f32_e32 v18, v15, v17
	v_cvt_f32_f16_e32 v15, v7
	v_cvt_f32_f16_sdwa v17, v7 dst_sel:DWORD dst_unused:UNUSED_PAD src0_sel:WORD_1
	ds_bpermute_b32 v19, v12, v18
	s_waitcnt lgkmcnt(0)
	v_add_f32_e32 v7, v18, v19
	ds_write_b32 v13, v7
	s_waitcnt lgkmcnt(0)
	s_barrier
	buffer_gl0_inv
	s_and_saveexec_b32 s0, vcc_lo
	s_cbranch_execz .LBB175_22
; %bb.21:
	ds_read_b32 v7, v5
	s_waitcnt lgkmcnt(0)
	ds_bpermute_b32 v16, v1, v7
	s_waitcnt lgkmcnt(0)
	v_add_f32_e32 v7, v7, v16
	ds_bpermute_b32 v16, v3, v7
	s_waitcnt lgkmcnt(0)
	v_add_f32_e32 v7, v7, v16
	;; [unrolled: 3-line block ×5, first 2 shown]
.LBB175_22:
	s_or_b32 exec_lo, exec_lo, s0
	ds_bpermute_b32 v16, v1, v14
	v_cvt_f32_f16_sdwa v18, v6 dst_sel:DWORD dst_unused:UNUSED_PAD src0_sel:WORD_1
	s_waitcnt lgkmcnt(0)
	s_barrier
	buffer_gl0_inv
	v_add_f32_e32 v14, v14, v16
	ds_bpermute_b32 v16, v3, v14
	s_waitcnt lgkmcnt(0)
	v_add_f32_e32 v14, v14, v16
	ds_bpermute_b32 v16, v4, v14
	s_waitcnt lgkmcnt(0)
	;; [unrolled: 3-line block ×3, first 2 shown]
	v_add_f32_e32 v14, v14, v16
	v_cvt_f32_f16_e32 v16, v6
	ds_bpermute_b32 v19, v12, v14
	s_waitcnt lgkmcnt(0)
	v_add_f32_e32 v6, v14, v19
	v_add_f32_e32 v14, v15, v17
	ds_write_b32 v13, v6
	s_waitcnt lgkmcnt(0)
	s_barrier
	buffer_gl0_inv
	s_and_saveexec_b32 s0, vcc_lo
	s_cbranch_execz .LBB175_24
; %bb.23:
	ds_read_b32 v6, v5
	s_waitcnt lgkmcnt(0)
	ds_bpermute_b32 v15, v1, v6
	s_waitcnt lgkmcnt(0)
	v_add_f32_e32 v6, v6, v15
	ds_bpermute_b32 v15, v3, v6
	s_waitcnt lgkmcnt(0)
	v_add_f32_e32 v6, v6, v15
	;; [unrolled: 3-line block ×5, first 2 shown]
.LBB175_24:
	s_or_b32 exec_lo, exec_lo, s0
	ds_bpermute_b32 v15, v1, v14
	s_waitcnt lgkmcnt(0)
	s_barrier
	buffer_gl0_inv
	v_add_f32_e32 v14, v14, v15
	ds_bpermute_b32 v15, v3, v14
	s_waitcnt lgkmcnt(0)
	v_add_f32_e32 v14, v14, v15
	ds_bpermute_b32 v15, v4, v14
	s_waitcnt lgkmcnt(0)
	;; [unrolled: 3-line block ×4, first 2 shown]
	v_add_f32_e32 v14, v14, v15
	v_add_f32_e32 v15, v16, v18
	ds_write_b32 v13, v14
	s_waitcnt lgkmcnt(0)
	s_barrier
	buffer_gl0_inv
	s_and_saveexec_b32 s0, vcc_lo
	s_cbranch_execz .LBB175_26
; %bb.25:
	ds_read_b32 v14, v5
	s_waitcnt lgkmcnt(0)
	ds_bpermute_b32 v16, v1, v14
	s_waitcnt lgkmcnt(0)
	v_add_f32_e32 v14, v14, v16
	ds_bpermute_b32 v16, v3, v14
	s_waitcnt lgkmcnt(0)
	v_add_f32_e32 v14, v14, v16
	;; [unrolled: 3-line block ×5, first 2 shown]
.LBB175_26:
	s_or_b32 exec_lo, exec_lo, s0
	ds_bpermute_b32 v16, v1, v15
	s_waitcnt lgkmcnt(0)
	s_barrier
	buffer_gl0_inv
	v_add_f32_e32 v15, v15, v16
	ds_bpermute_b32 v16, v3, v15
	s_waitcnt lgkmcnt(0)
	v_add_f32_e32 v15, v15, v16
	ds_bpermute_b32 v16, v4, v15
	s_waitcnt lgkmcnt(0)
	;; [unrolled: 3-line block ×4, first 2 shown]
	v_add_f32_e32 v15, v15, v16
	ds_write_b32 v13, v15
	s_waitcnt lgkmcnt(0)
	s_barrier
	buffer_gl0_inv
	s_and_saveexec_b32 s0, vcc_lo
	s_cbranch_execz .LBB175_28
; %bb.27:
	ds_read_b32 v5, v5
	s_waitcnt lgkmcnt(0)
	ds_bpermute_b32 v1, v1, v5
	s_waitcnt lgkmcnt(0)
	v_add_f32_e32 v1, v5, v1
	ds_bpermute_b32 v3, v3, v1
	s_waitcnt lgkmcnt(0)
	v_add_f32_e32 v1, v1, v3
	;; [unrolled: 3-line block ×5, first 2 shown]
.LBB175_28:
	s_or_b32 exec_lo, exec_lo, s0
	s_barrier
	buffer_gl0_inv
	s_mov_b32 s0, exec_lo
	v_cmpx_gt_u32_e32 8, v0
	s_cbranch_execz .LBB175_30
; %bb.29:
	v_cmp_eq_u32_e32 vcc_lo, 1, v0
	s_load_dwordx2 s[0:1], s[4:5], 0x38
	s_mul_hi_i32 s3, s22, s10
	s_mul_i32 s2, s22, s10
	s_mul_i32 s4, s26, s7
	v_cndmask_b32_e32 v1, v2, v11, vcc_lo
	v_cmp_eq_u32_e32 vcc_lo, 2, v0
	s_lshl_b64 s[2:3], s[2:3], 2
	s_ashr_i32 s5, s4, 31
	v_cndmask_b32_e32 v3, v1, v9, vcc_lo
	v_cmp_eq_u32_e32 vcc_lo, 3, v0
	v_mad_u64_u32 v[1:2], null, s18, v0, s[6:7]
	v_cndmask_b32_e32 v2, v3, v8, vcc_lo
	v_cmp_eq_u32_e32 vcc_lo, 4, v0
	s_waitcnt lgkmcnt(0)
	s_add_u32 s2, s0, s2
	s_addc_u32 s3, s1, s3
	v_cndmask_b32_e32 v3, v2, v7, vcc_lo
	v_cmp_eq_u32_e32 vcc_lo, 5, v0
	v_ashrrev_i32_e32 v2, 31, v1
	s_lshl_b64 s[0:1], s[4:5], 2
	s_add_u32 s0, s2, s0
	v_cndmask_b32_e32 v3, v3, v6, vcc_lo
	v_cmp_eq_u32_e32 vcc_lo, 6, v0
	v_lshlrev_b64 v[1:2], 2, v[1:2]
	s_addc_u32 s1, s3, s1
	v_cndmask_b32_e32 v3, v3, v14, vcc_lo
	v_cmp_eq_u32_e32 vcc_lo, 7, v0
	v_cndmask_b32_e32 v3, v3, v15, vcc_lo
	v_add_co_u32 v0, vcc_lo, s0, v1
	v_add_co_ci_u32_e64 v1, null, s1, v2, vcc_lo
	global_store_dword v[0:1], v3, off
.LBB175_30:
	s_endpgm
	.section	.rodata,"a",@progbits
	.p2align	6, 0x0
	.amdhsa_kernel _ZL13mul_mat_vec_fI6__halfS0_Li8ELi256ELb0ELb0EEvPKT_PKfPKi31ggml_cuda_mm_fusion_args_devicePfi15HIP_vector_typeIjLj3EEiiiSB_iiiSB_iiii
		.amdhsa_group_segment_fixed_size 0
		.amdhsa_private_segment_fixed_size 0
		.amdhsa_kernarg_size 144
		.amdhsa_user_sgpr_count 6
		.amdhsa_user_sgpr_private_segment_buffer 1
		.amdhsa_user_sgpr_dispatch_ptr 0
		.amdhsa_user_sgpr_queue_ptr 0
		.amdhsa_user_sgpr_kernarg_segment_ptr 1
		.amdhsa_user_sgpr_dispatch_id 0
		.amdhsa_user_sgpr_flat_scratch_init 0
		.amdhsa_user_sgpr_private_segment_size 0
		.amdhsa_wavefront_size32 1
		.amdhsa_uses_dynamic_stack 0
		.amdhsa_system_sgpr_private_segment_wavefront_offset 0
		.amdhsa_system_sgpr_workgroup_id_x 1
		.amdhsa_system_sgpr_workgroup_id_y 1
		.amdhsa_system_sgpr_workgroup_id_z 1
		.amdhsa_system_sgpr_workgroup_info 0
		.amdhsa_system_vgpr_workitem_id 0
		.amdhsa_next_free_vgpr 32
		.amdhsa_next_free_sgpr 38
		.amdhsa_reserve_vcc 1
		.amdhsa_reserve_flat_scratch 0
		.amdhsa_float_round_mode_32 0
		.amdhsa_float_round_mode_16_64 0
		.amdhsa_float_denorm_mode_32 3
		.amdhsa_float_denorm_mode_16_64 3
		.amdhsa_dx10_clamp 1
		.amdhsa_ieee_mode 1
		.amdhsa_fp16_overflow 0
		.amdhsa_workgroup_processor_mode 1
		.amdhsa_memory_ordered 1
		.amdhsa_forward_progress 1
		.amdhsa_shared_vgpr_count 0
		.amdhsa_exception_fp_ieee_invalid_op 0
		.amdhsa_exception_fp_denorm_src 0
		.amdhsa_exception_fp_ieee_div_zero 0
		.amdhsa_exception_fp_ieee_overflow 0
		.amdhsa_exception_fp_ieee_underflow 0
		.amdhsa_exception_fp_ieee_inexact 0
		.amdhsa_exception_int_div_zero 0
	.end_amdhsa_kernel
	.section	.text._ZL13mul_mat_vec_fI6__halfS0_Li8ELi256ELb0ELb0EEvPKT_PKfPKi31ggml_cuda_mm_fusion_args_devicePfi15HIP_vector_typeIjLj3EEiiiSB_iiiSB_iiii,"axG",@progbits,_ZL13mul_mat_vec_fI6__halfS0_Li8ELi256ELb0ELb0EEvPKT_PKfPKi31ggml_cuda_mm_fusion_args_devicePfi15HIP_vector_typeIjLj3EEiiiSB_iiiSB_iiii,comdat
.Lfunc_end175:
	.size	_ZL13mul_mat_vec_fI6__halfS0_Li8ELi256ELb0ELb0EEvPKT_PKfPKi31ggml_cuda_mm_fusion_args_devicePfi15HIP_vector_typeIjLj3EEiiiSB_iiiSB_iiii, .Lfunc_end175-_ZL13mul_mat_vec_fI6__halfS0_Li8ELi256ELb0ELb0EEvPKT_PKfPKi31ggml_cuda_mm_fusion_args_devicePfi15HIP_vector_typeIjLj3EEiiiSB_iiiSB_iiii
                                        ; -- End function
	.set _ZL13mul_mat_vec_fI6__halfS0_Li8ELi256ELb0ELb0EEvPKT_PKfPKi31ggml_cuda_mm_fusion_args_devicePfi15HIP_vector_typeIjLj3EEiiiSB_iiiSB_iiii.num_vgpr, 32
	.set _ZL13mul_mat_vec_fI6__halfS0_Li8ELi256ELb0ELb0EEvPKT_PKfPKi31ggml_cuda_mm_fusion_args_devicePfi15HIP_vector_typeIjLj3EEiiiSB_iiiSB_iiii.num_agpr, 0
	.set _ZL13mul_mat_vec_fI6__halfS0_Li8ELi256ELb0ELb0EEvPKT_PKfPKi31ggml_cuda_mm_fusion_args_devicePfi15HIP_vector_typeIjLj3EEiiiSB_iiiSB_iiii.numbered_sgpr, 38
	.set _ZL13mul_mat_vec_fI6__halfS0_Li8ELi256ELb0ELb0EEvPKT_PKfPKi31ggml_cuda_mm_fusion_args_devicePfi15HIP_vector_typeIjLj3EEiiiSB_iiiSB_iiii.num_named_barrier, 0
	.set _ZL13mul_mat_vec_fI6__halfS0_Li8ELi256ELb0ELb0EEvPKT_PKfPKi31ggml_cuda_mm_fusion_args_devicePfi15HIP_vector_typeIjLj3EEiiiSB_iiiSB_iiii.private_seg_size, 0
	.set _ZL13mul_mat_vec_fI6__halfS0_Li8ELi256ELb0ELb0EEvPKT_PKfPKi31ggml_cuda_mm_fusion_args_devicePfi15HIP_vector_typeIjLj3EEiiiSB_iiiSB_iiii.uses_vcc, 1
	.set _ZL13mul_mat_vec_fI6__halfS0_Li8ELi256ELb0ELb0EEvPKT_PKfPKi31ggml_cuda_mm_fusion_args_devicePfi15HIP_vector_typeIjLj3EEiiiSB_iiiSB_iiii.uses_flat_scratch, 0
	.set _ZL13mul_mat_vec_fI6__halfS0_Li8ELi256ELb0ELb0EEvPKT_PKfPKi31ggml_cuda_mm_fusion_args_devicePfi15HIP_vector_typeIjLj3EEiiiSB_iiiSB_iiii.has_dyn_sized_stack, 0
	.set _ZL13mul_mat_vec_fI6__halfS0_Li8ELi256ELb0ELb0EEvPKT_PKfPKi31ggml_cuda_mm_fusion_args_devicePfi15HIP_vector_typeIjLj3EEiiiSB_iiiSB_iiii.has_recursion, 0
	.set _ZL13mul_mat_vec_fI6__halfS0_Li8ELi256ELb0ELb0EEvPKT_PKfPKi31ggml_cuda_mm_fusion_args_devicePfi15HIP_vector_typeIjLj3EEiiiSB_iiiSB_iiii.has_indirect_call, 0
	.section	.AMDGPU.csdata,"",@progbits
; Kernel info:
; codeLenInByte = 3324
; TotalNumSgprs: 40
; NumVgprs: 32
; ScratchSize: 0
; MemoryBound: 0
; FloatMode: 240
; IeeeMode: 1
; LDSByteSize: 0 bytes/workgroup (compile time only)
; SGPRBlocks: 0
; VGPRBlocks: 3
; NumSGPRsForWavesPerEU: 40
; NumVGPRsForWavesPerEU: 32
; Occupancy: 16
; WaveLimiterHint : 0
; COMPUTE_PGM_RSRC2:SCRATCH_EN: 0
; COMPUTE_PGM_RSRC2:USER_SGPR: 6
; COMPUTE_PGM_RSRC2:TRAP_HANDLER: 0
; COMPUTE_PGM_RSRC2:TGID_X_EN: 1
; COMPUTE_PGM_RSRC2:TGID_Y_EN: 1
; COMPUTE_PGM_RSRC2:TGID_Z_EN: 1
; COMPUTE_PGM_RSRC2:TIDIG_COMP_CNT: 0
	.section	.text._ZL13mul_mat_vec_fI6__halffLi1ELi32ELb1ELb1EEvPKT_PKfPKi31ggml_cuda_mm_fusion_args_devicePfi15HIP_vector_typeIjLj3EEiiiSB_iiiSB_iiii,"axG",@progbits,_ZL13mul_mat_vec_fI6__halffLi1ELi32ELb1ELb1EEvPKT_PKfPKi31ggml_cuda_mm_fusion_args_devicePfi15HIP_vector_typeIjLj3EEiiiSB_iiiSB_iiii,comdat
	.globl	_ZL13mul_mat_vec_fI6__halffLi1ELi32ELb1ELb1EEvPKT_PKfPKi31ggml_cuda_mm_fusion_args_devicePfi15HIP_vector_typeIjLj3EEiiiSB_iiiSB_iiii ; -- Begin function _ZL13mul_mat_vec_fI6__halffLi1ELi32ELb1ELb1EEvPKT_PKfPKi31ggml_cuda_mm_fusion_args_devicePfi15HIP_vector_typeIjLj3EEiiiSB_iiiSB_iiii
	.p2align	8
	.type	_ZL13mul_mat_vec_fI6__halffLi1ELi32ELb1ELb1EEvPKT_PKfPKi31ggml_cuda_mm_fusion_args_devicePfi15HIP_vector_typeIjLj3EEiiiSB_iiiSB_iiii,@function
_ZL13mul_mat_vec_fI6__halffLi1ELi32ELb1ELb1EEvPKT_PKfPKi31ggml_cuda_mm_fusion_args_devicePfi15HIP_vector_typeIjLj3EEiiiSB_iiiSB_iiii: ; @_ZL13mul_mat_vec_fI6__halffLi1ELi32ELb1ELb1EEvPKT_PKfPKi31ggml_cuda_mm_fusion_args_devicePfi15HIP_vector_typeIjLj3EEiiiSB_iiiSB_iiii
; %bb.0:
	s_clause 0x3
	s_load_dword s1, s[4:5], 0x8c
	s_load_dwordx8 s[20:27], s[4:5], 0x0
	s_load_dwordx4 s[36:39], s[4:5], 0x20
	s_load_dwordx8 s[12:19], s[4:5], 0x40
	v_mov_b32_e32 v7, 0
	v_mov_b32_e32 v8, 0
	s_mov_b32 s0, s7
	s_waitcnt lgkmcnt(0)
	s_mul_i32 s1, s1, s8
	s_add_i32 s2, s1, s7
	s_mov_b32 s7, exec_lo
	s_ashr_i32 s3, s2, 31
	s_lshl_b64 s[2:3], s[2:3], 2
	s_add_u32 s2, s24, s2
	s_addc_u32 s3, s25, s3
	s_load_dwordx4 s[28:31], s[4:5], 0x68
	s_load_dword s3, s[2:3], 0x0
	s_cmp_lg_u64 s[36:37], 0
	s_cselect_b32 s1, -1, 0
	v_cmpx_gt_i32_e64 s12, v0
	s_cbranch_execz .LBB176_7
; %bb.1:
	s_mul_hi_u32 s2, s13, s0
	s_waitcnt lgkmcnt(0)
	s_mul_i32 s9, s3, s28
	s_add_i32 s2, s0, s2
	s_mul_i32 s10, s16, s6
	s_lshr_b32 s2, s2, s14
	s_ashr_i32 s11, s9, 31
	s_mul_i32 s2, s2, s15
	s_ashr_i32 s13, s10, 31
	s_sub_i32 s2, s0, s2
	s_add_u32 s10, s9, s10
	s_mul_i32 s9, s8, s17
	s_addc_u32 s11, s11, s13
	s_mul_i32 s14, s2, s29
	s_lshl_b32 s16, s9, 1
	s_ashr_i32 s15, s14, 31
	s_ashr_i32 s17, s16, 31
	s_and_b32 s2, s1, exec_lo
	s_cselect_b32 s29, s11, 0
	s_cselect_b32 s28, s10, 0
	v_lshlrev_b32_e32 v5, 2, v0
	s_cselect_b32 s2, s37, 0
	s_cselect_b32 s9, s36, 0
	s_lshl_b64 s[28:29], s[28:29], 1
	v_lshlrev_b32_e32 v3, 3, v0
	s_add_u32 s9, s9, s28
	s_addc_u32 s2, s2, s29
	v_add_co_u32 v1, s9, s9, v5
	s_lshl_b64 s[14:15], s[14:15], 2
	s_lshl_b64 s[16:17], s[16:17], 2
	v_add_co_ci_u32_e64 v2, null, s2, 0, s9
	s_add_u32 s2, s22, s14
	s_addc_u32 s9, s23, s15
	s_add_u32 s2, s2, s16
	s_addc_u32 s9, s9, s17
	v_add_co_u32 v3, s2, s2, v3
	s_lshl_b64 s[10:11], s[10:11], 1
	v_add_co_ci_u32_e64 v4, null, s9, 0, s2
	s_add_u32 s2, s20, s10
	v_add_co_u32 v3, vcc_lo, v3, 4
	s_addc_u32 s9, s21, s11
	v_add_co_u32 v5, s2, s2, v5
	v_mov_b32_e32 v7, 0
	v_add_co_ci_u32_e64 v4, null, 0, v4, vcc_lo
	v_add_co_ci_u32_e64 v6, null, s9, 0, s2
	v_mov_b32_e32 v9, v0
	v_mov_b32_e32 v8, 0
	s_mov_b32 s9, 0
	s_inst_prefetch 0x1
	s_branch .LBB176_4
	.p2align	6
.LBB176_2:                              ;   in Loop: Header=BB176_4 Depth=1
	global_load_dword v11, v[1:2], off
	s_waitcnt vmcnt(0)
	v_cvt_f32_f16_e32 v12, v11
	v_cvt_f32_f16_sdwa v11, v11 dst_sel:DWORD dst_unused:UNUSED_PAD src0_sel:WORD_1
.LBB176_3:                              ;   in Loop: Header=BB176_4 Depth=1
	global_load_dwordx2 v[13:14], v[3:4], off offset:-4
	v_add_nc_u32_e32 v9, 32, v9
	v_add_co_u32 v1, vcc_lo, 0x80, v1
	v_add_co_ci_u32_e64 v2, null, 0, v2, vcc_lo
	v_add_co_u32 v3, vcc_lo, 0x100, v3
	v_add_co_ci_u32_e64 v4, null, 0, v4, vcc_lo
	v_cmp_le_i32_e32 vcc_lo, s12, v9
	v_add_co_u32 v5, s2, 0x80, v5
	v_add_co_ci_u32_e64 v6, null, 0, v6, s2
	s_or_b32 s9, vcc_lo, s9
	s_waitcnt vmcnt(0)
	v_fma_f32 v12, v13, v12, v7
	v_fma_mix_f32 v8, v13, v10, v8 op_sel_hi:[0,1,0]
	v_fmac_f32_e32 v12, v14, v11
	v_fma_mix_f32 v8, v14, v10, v8 op_sel:[0,1,0] op_sel_hi:[0,1,0]
	v_cndmask_b32_e64 v7, v7, v12, s1
	s_andn2_b32 exec_lo, exec_lo, s9
	s_cbranch_execz .LBB176_6
.LBB176_4:                              ; =>This Inner Loop Header: Depth=1
	global_load_dword v10, v[5:6], off
	s_andn2_b32 vcc_lo, exec_lo, s1
	s_cbranch_vccz .LBB176_2
; %bb.5:                                ;   in Loop: Header=BB176_4 Depth=1
	v_mov_b32_e32 v11, 0
	v_mov_b32_e32 v12, 0
	s_branch .LBB176_3
.LBB176_6:
	s_inst_prefetch 0x2
	s_or_b32 exec_lo, exec_lo, s9
.LBB176_7:
	s_or_b32 exec_lo, exec_lo, s7
	s_load_dword s9, s[4:5], 0x30
; %bb.8:
	v_mbcnt_lo_u32_b32 v2, -1, 0
	v_xor_b32_e32 v1, 16, v2
	v_xor_b32_e32 v4, 8, v2
	;; [unrolled: 1-line block ×3, first 2 shown]
	v_cmp_gt_i32_e32 vcc_lo, 32, v1
	v_cndmask_b32_e32 v1, v2, v1, vcc_lo
	v_cmp_gt_i32_e32 vcc_lo, 32, v4
	v_lshlrev_b32_e32 v1, 2, v1
	v_cndmask_b32_e32 v4, v2, v4, vcc_lo
	v_cmp_gt_i32_e32 vcc_lo, 32, v5
	ds_bpermute_b32 v3, v1, v8
	v_lshlrev_b32_e32 v4, 2, v4
	v_cndmask_b32_e32 v5, v2, v5, vcc_lo
	v_lshlrev_b32_e32 v5, 2, v5
	s_waitcnt lgkmcnt(0)
	v_add_f32_e32 v3, v8, v3
	ds_bpermute_b32 v6, v4, v3
	s_waitcnt lgkmcnt(0)
	v_add_f32_e32 v3, v3, v6
	v_xor_b32_e32 v6, 2, v2
	ds_bpermute_b32 v8, v5, v3
	v_cmp_gt_i32_e32 vcc_lo, 32, v6
	v_cndmask_b32_e32 v6, v2, v6, vcc_lo
	v_lshlrev_b32_e32 v6, 2, v6
	s_waitcnt lgkmcnt(0)
	v_add_f32_e32 v3, v3, v8
	v_xor_b32_e32 v8, 1, v2
	ds_bpermute_b32 v9, v6, v3
	v_cmp_gt_i32_e32 vcc_lo, 32, v8
	v_cndmask_b32_e32 v2, v2, v8, vcc_lo
	s_and_b32 vcc_lo, exec_lo, s1
	v_lshlrev_b32_e32 v8, 2, v2
	s_waitcnt lgkmcnt(0)
	v_add_f32_e32 v2, v3, v9
	ds_bpermute_b32 v3, v8, v2
	s_cbranch_vccz .LBB176_10
; %bb.9:
	ds_bpermute_b32 v1, v1, v7
	s_waitcnt lgkmcnt(0)
	v_add_f32_e32 v1, v7, v1
	ds_bpermute_b32 v4, v4, v1
	s_waitcnt lgkmcnt(0)
	v_add_f32_e32 v1, v1, v4
	;; [unrolled: 3-line block ×5, first 2 shown]
.LBB176_10:
	s_mov_b32 s2, exec_lo
	v_cmpx_eq_u32_e32 0, v0
	s_cbranch_execz .LBB176_34
; %bb.11:
	s_cmp_eq_u64 s[26:27], 0
	s_waitcnt lgkmcnt(0)
	v_add_f32_e32 v0, v2, v3
	s_cselect_b32 s7, -1, 0
	s_cmp_eq_u64 s[24:25], 0
	s_cselect_b32 s2, s0, s3
	s_mul_i32 s2, s2, s30
	s_ashr_i32 s3, s2, 31
	s_and_b32 vcc_lo, exec_lo, s7
	s_cbranch_vccnz .LBB176_13
; %bb.12:
	s_cselect_b32 s7, 0, s27
	s_cselect_b32 s12, 0, s26
	s_lshl_b64 s[10:11], s[2:3], 2
	s_add_u32 s12, s12, s10
	s_addc_u32 s13, s7, s11
	s_ashr_i32 s7, s6, 31
	s_lshl_b64 s[10:11], s[6:7], 2
	s_add_u32 s10, s12, s10
	s_addc_u32 s11, s13, s11
	s_load_dword s7, s[10:11], 0x0
	s_waitcnt lgkmcnt(0)
	v_add_f32_e32 v0, s7, v0
.LBB176_13:
	s_andn2_b32 vcc_lo, exec_lo, s1
	s_cbranch_vccnz .LBB176_33
; %bb.14:
	s_cmp_lg_u64 s[38:39], 0
	s_cselect_b32 s7, -1, 0
	s_and_b32 s1, s7, s1
	s_andn2_b32 vcc_lo, exec_lo, s1
	s_cbranch_vccnz .LBB176_16
; %bb.15:
	s_and_b32 s1, s1, exec_lo
	s_cselect_b32 s3, s3, 0
	s_cselect_b32 s2, s2, 0
	s_and_b32 s1, s7, exec_lo
	s_cselect_b32 s1, s39, 0
	s_cselect_b32 s7, s38, 0
	s_lshl_b64 s[2:3], s[2:3], 2
	s_add_u32 s10, s7, s2
	s_addc_u32 s1, s1, s3
	s_ashr_i32 s7, s6, 31
	s_lshl_b64 s[2:3], s[6:7], 2
	s_add_u32 s2, s10, s2
	s_addc_u32 s3, s1, s3
	s_load_dword s1, s[2:3], 0x0
	s_waitcnt lgkmcnt(0)
	v_add_f32_e32 v7, s1, v7
.LBB176_16:
	s_cmp_lt_i32 s9, 2
	s_cbranch_scc1 .LBB176_21
; %bb.17:
	s_cmp_lt_i32 s9, 3
	s_cbranch_scc1 .LBB176_22
; %bb.18:
	v_mov_b32_e32 v1, v0
	s_cmp_eq_u32 s9, 3
	s_cbranch_scc0 .LBB176_20
; %bb.19:
	v_max_f32_e32 v1, v7, v7
	v_min_f32_e32 v1, 0x40e00000, v1
	v_mul_f32_e32 v2, 0xbfd9db23, v1
	v_mul_f32_e32 v3, 0x3fb8aa3b, v2
	v_cmp_ngt_f32_e32 vcc_lo, 0xc2ce8ed0, v2
	v_fma_f32 v4, 0x3fb8aa3b, v2, -v3
	v_rndne_f32_e32 v5, v3
	v_fmamk_f32 v4, v2, 0x32a5705f, v4
	v_sub_f32_e32 v3, v3, v5
	v_add_f32_e32 v3, v3, v4
	v_cvt_i32_f32_e32 v4, v5
	v_exp_f32_e32 v3, v3
	v_ldexp_f32 v3, v3, v4
	v_cndmask_b32_e32 v3, 0, v3, vcc_lo
	v_cmp_nlt_f32_e32 vcc_lo, 0x42b17218, v2
	v_cndmask_b32_e32 v2, 0x7f800000, v3, vcc_lo
	v_add_f32_e32 v2, 1.0, v2
	v_div_scale_f32 v3, null, v2, v2, v1
	v_div_scale_f32 v6, vcc_lo, v1, v2, v1
	v_rcp_f32_e32 v4, v3
	v_fma_f32 v5, -v3, v4, 1.0
	v_fmac_f32_e32 v4, v5, v4
	v_mul_f32_e32 v5, v6, v4
	v_fma_f32 v8, -v3, v5, v6
	v_fmac_f32_e32 v5, v8, v4
	v_max_f32_e32 v8, v0, v0
	v_fma_f32 v3, -v3, v5, v6
	v_min_f32_e32 v6, 0x40e00000, v8
	v_div_fmas_f32 v3, v3, v4, v5
	v_max_f32_e32 v4, 0xc0e00000, v6
	v_div_fixup_f32 v1, v3, v2, v1
	v_add_f32_e32 v2, 1.0, v4
	v_mul_f32_e32 v1, v2, v1
.LBB176_20:
	s_cbranch_execz .LBB176_23
	s_branch .LBB176_24
.LBB176_21:
                                        ; implicit-def: $vgpr1
	s_branch .LBB176_25
.LBB176_22:
                                        ; implicit-def: $vgpr1
.LBB176_23:
	v_mul_f32_e32 v1, 0xbfb8aa3b, v7
	v_cmp_nlt_f32_e32 vcc_lo, 0x42ce8ed0, v7
	v_rndne_f32_e32 v2, v1
	v_fma_f32 v3, 0xbfb8aa3b, v7, -v1
	v_sub_f32_e32 v1, v1, v2
	v_fmamk_f32 v3, v7, 0xb2a5705f, v3
	v_cvt_i32_f32_e32 v2, v2
	v_add_f32_e32 v1, v1, v3
	v_exp_f32_e32 v1, v1
	v_ldexp_f32 v1, v1, v2
	v_cndmask_b32_e32 v1, 0, v1, vcc_lo
	v_cmp_ngt_f32_e32 vcc_lo, 0xc2b17218, v7
	v_cndmask_b32_e32 v1, 0x7f800000, v1, vcc_lo
	v_add_f32_e32 v1, 1.0, v1
	v_div_scale_f32 v2, null, v1, v1, v7
	v_rcp_f32_e32 v3, v2
	v_fma_f32 v4, -v2, v3, 1.0
	v_fmac_f32_e32 v3, v4, v3
	v_div_scale_f32 v4, vcc_lo, v7, v1, v7
	v_mul_f32_e32 v5, v4, v3
	v_fma_f32 v6, -v2, v5, v4
	v_fmac_f32_e32 v5, v6, v3
	v_fma_f32 v2, -v2, v5, v4
	v_div_fmas_f32 v2, v2, v3, v5
	v_div_fixup_f32 v1, v2, v1, v7
	v_mul_f32_e32 v1, v0, v1
.LBB176_24:
	s_cbranch_execnz .LBB176_32
.LBB176_25:
	s_cmp_eq_u32 s9, 1
	s_cbranch_scc0 .LBB176_31
; %bb.26:
	v_mul_f32_e32 v1, 0x3d372713, v7
	v_mul_f32_e32 v2, 0x3f4c422a, v7
	v_fma_f32 v1, v7, v1, 1.0
	v_mul_f32_e32 v1, v2, v1
                                        ; implicit-def: $vgpr2
	v_cmp_ngt_f32_e64 s1, 0x3f200000, |v1|
	s_and_saveexec_b32 s2, s1
	s_xor_b32 s1, exec_lo, s2
	s_cbranch_execz .LBB176_28
; %bb.27:
	v_add_f32_e64 v2, |v1|, |v1|
	v_mul_f32_e32 v3, 0x3fb8aa3b, v2
	v_cmp_ngt_f32_e32 vcc_lo, 0xc2ce8ed0, v2
	v_rndne_f32_e32 v4, v3
	v_fma_f32 v5, 0x3fb8aa3b, v2, -v3
	v_sub_f32_e32 v3, v3, v4
	v_fmamk_f32 v5, v2, 0x32a5705f, v5
	v_cvt_i32_f32_e32 v4, v4
	v_add_f32_e32 v3, v3, v5
	v_exp_f32_e32 v3, v3
	v_ldexp_f32 v3, v3, v4
	v_cndmask_b32_e32 v3, 0, v3, vcc_lo
	v_cmp_nlt_f32_e32 vcc_lo, 0x42b17218, v2
	v_cndmask_b32_e32 v2, 0x7f800000, v3, vcc_lo
	v_add_f32_e32 v2, 1.0, v2
	v_rcp_f32_e32 v2, v2
	v_fma_f32 v2, v2, -2.0, 1.0
.LBB176_28:
	s_andn2_saveexec_b32 s1, s1
	s_cbranch_execz .LBB176_30
; %bb.29:
	v_mul_f32_e32 v2, v1, v1
	s_mov_b32 s2, 0xbbbac73d
	v_fmaak_f32 v3, s2, v2, 0x3ca908c9
	v_fmaak_f32 v3, v2, v3, 0xbd5c1c4e
	;; [unrolled: 1-line block ×4, first 2 shown]
	v_mul_f32_e64 v3, |v1|, v3
	v_fma_f32 v2, v2, v3, |v1|
.LBB176_30:
	s_or_b32 exec_lo, exec_lo, s1
	v_bfi_b32 v1, 0x7fffffff, v2, v1
	v_mul_f32_e32 v2, 0.5, v7
	v_add_f32_e32 v1, 1.0, v1
	v_mul_f32_e32 v1, v2, v1
	v_mul_f32_e32 v0, v0, v1
.LBB176_31:
	v_mov_b32_e32 v1, v0
.LBB176_32:
	v_mov_b32_e32 v0, v1
.LBB176_33:
	s_load_dwordx2 s[2:3], s[4:5], 0x38
	s_mul_i32 s0, s30, s0
	s_mul_i32 s4, s18, s8
	s_ashr_i32 s1, s0, 31
	s_ashr_i32 s5, s4, 31
	s_lshl_b64 s[0:1], s[0:1], 2
	v_mov_b32_e32 v1, 0
	s_waitcnt lgkmcnt(0)
	s_add_u32 s2, s2, s0
	s_addc_u32 s3, s3, s1
	s_lshl_b64 s[0:1], s[4:5], 2
	s_add_u32 s2, s2, s0
	s_addc_u32 s3, s3, s1
	s_ashr_i32 s7, s6, 31
	s_lshl_b64 s[0:1], s[6:7], 2
	s_add_u32 s0, s2, s0
	s_addc_u32 s1, s3, s1
	global_store_dword v1, v0, s[0:1]
.LBB176_34:
	s_endpgm
	.section	.rodata,"a",@progbits
	.p2align	6, 0x0
	.amdhsa_kernel _ZL13mul_mat_vec_fI6__halffLi1ELi32ELb1ELb1EEvPKT_PKfPKi31ggml_cuda_mm_fusion_args_devicePfi15HIP_vector_typeIjLj3EEiiiSB_iiiSB_iiii
		.amdhsa_group_segment_fixed_size 0
		.amdhsa_private_segment_fixed_size 0
		.amdhsa_kernarg_size 144
		.amdhsa_user_sgpr_count 6
		.amdhsa_user_sgpr_private_segment_buffer 1
		.amdhsa_user_sgpr_dispatch_ptr 0
		.amdhsa_user_sgpr_queue_ptr 0
		.amdhsa_user_sgpr_kernarg_segment_ptr 1
		.amdhsa_user_sgpr_dispatch_id 0
		.amdhsa_user_sgpr_flat_scratch_init 0
		.amdhsa_user_sgpr_private_segment_size 0
		.amdhsa_wavefront_size32 1
		.amdhsa_uses_dynamic_stack 0
		.amdhsa_system_sgpr_private_segment_wavefront_offset 0
		.amdhsa_system_sgpr_workgroup_id_x 1
		.amdhsa_system_sgpr_workgroup_id_y 1
		.amdhsa_system_sgpr_workgroup_id_z 1
		.amdhsa_system_sgpr_workgroup_info 0
		.amdhsa_system_vgpr_workitem_id 0
		.amdhsa_next_free_vgpr 15
		.amdhsa_next_free_sgpr 40
		.amdhsa_reserve_vcc 1
		.amdhsa_reserve_flat_scratch 0
		.amdhsa_float_round_mode_32 0
		.amdhsa_float_round_mode_16_64 0
		.amdhsa_float_denorm_mode_32 3
		.amdhsa_float_denorm_mode_16_64 3
		.amdhsa_dx10_clamp 1
		.amdhsa_ieee_mode 1
		.amdhsa_fp16_overflow 0
		.amdhsa_workgroup_processor_mode 1
		.amdhsa_memory_ordered 1
		.amdhsa_forward_progress 1
		.amdhsa_shared_vgpr_count 0
		.amdhsa_exception_fp_ieee_invalid_op 0
		.amdhsa_exception_fp_denorm_src 0
		.amdhsa_exception_fp_ieee_div_zero 0
		.amdhsa_exception_fp_ieee_overflow 0
		.amdhsa_exception_fp_ieee_underflow 0
		.amdhsa_exception_fp_ieee_inexact 0
		.amdhsa_exception_int_div_zero 0
	.end_amdhsa_kernel
	.section	.text._ZL13mul_mat_vec_fI6__halffLi1ELi32ELb1ELb1EEvPKT_PKfPKi31ggml_cuda_mm_fusion_args_devicePfi15HIP_vector_typeIjLj3EEiiiSB_iiiSB_iiii,"axG",@progbits,_ZL13mul_mat_vec_fI6__halffLi1ELi32ELb1ELb1EEvPKT_PKfPKi31ggml_cuda_mm_fusion_args_devicePfi15HIP_vector_typeIjLj3EEiiiSB_iiiSB_iiii,comdat
.Lfunc_end176:
	.size	_ZL13mul_mat_vec_fI6__halffLi1ELi32ELb1ELb1EEvPKT_PKfPKi31ggml_cuda_mm_fusion_args_devicePfi15HIP_vector_typeIjLj3EEiiiSB_iiiSB_iiii, .Lfunc_end176-_ZL13mul_mat_vec_fI6__halffLi1ELi32ELb1ELb1EEvPKT_PKfPKi31ggml_cuda_mm_fusion_args_devicePfi15HIP_vector_typeIjLj3EEiiiSB_iiiSB_iiii
                                        ; -- End function
	.set _ZL13mul_mat_vec_fI6__halffLi1ELi32ELb1ELb1EEvPKT_PKfPKi31ggml_cuda_mm_fusion_args_devicePfi15HIP_vector_typeIjLj3EEiiiSB_iiiSB_iiii.num_vgpr, 15
	.set _ZL13mul_mat_vec_fI6__halffLi1ELi32ELb1ELb1EEvPKT_PKfPKi31ggml_cuda_mm_fusion_args_devicePfi15HIP_vector_typeIjLj3EEiiiSB_iiiSB_iiii.num_agpr, 0
	.set _ZL13mul_mat_vec_fI6__halffLi1ELi32ELb1ELb1EEvPKT_PKfPKi31ggml_cuda_mm_fusion_args_devicePfi15HIP_vector_typeIjLj3EEiiiSB_iiiSB_iiii.numbered_sgpr, 40
	.set _ZL13mul_mat_vec_fI6__halffLi1ELi32ELb1ELb1EEvPKT_PKfPKi31ggml_cuda_mm_fusion_args_devicePfi15HIP_vector_typeIjLj3EEiiiSB_iiiSB_iiii.num_named_barrier, 0
	.set _ZL13mul_mat_vec_fI6__halffLi1ELi32ELb1ELb1EEvPKT_PKfPKi31ggml_cuda_mm_fusion_args_devicePfi15HIP_vector_typeIjLj3EEiiiSB_iiiSB_iiii.private_seg_size, 0
	.set _ZL13mul_mat_vec_fI6__halffLi1ELi32ELb1ELb1EEvPKT_PKfPKi31ggml_cuda_mm_fusion_args_devicePfi15HIP_vector_typeIjLj3EEiiiSB_iiiSB_iiii.uses_vcc, 1
	.set _ZL13mul_mat_vec_fI6__halffLi1ELi32ELb1ELb1EEvPKT_PKfPKi31ggml_cuda_mm_fusion_args_devicePfi15HIP_vector_typeIjLj3EEiiiSB_iiiSB_iiii.uses_flat_scratch, 0
	.set _ZL13mul_mat_vec_fI6__halffLi1ELi32ELb1ELb1EEvPKT_PKfPKi31ggml_cuda_mm_fusion_args_devicePfi15HIP_vector_typeIjLj3EEiiiSB_iiiSB_iiii.has_dyn_sized_stack, 0
	.set _ZL13mul_mat_vec_fI6__halffLi1ELi32ELb1ELb1EEvPKT_PKfPKi31ggml_cuda_mm_fusion_args_devicePfi15HIP_vector_typeIjLj3EEiiiSB_iiiSB_iiii.has_recursion, 0
	.set _ZL13mul_mat_vec_fI6__halffLi1ELi32ELb1ELb1EEvPKT_PKfPKi31ggml_cuda_mm_fusion_args_devicePfi15HIP_vector_typeIjLj3EEiiiSB_iiiSB_iiii.has_indirect_call, 0
	.section	.AMDGPU.csdata,"",@progbits
; Kernel info:
; codeLenInByte = 1808
; TotalNumSgprs: 42
; NumVgprs: 15
; ScratchSize: 0
; MemoryBound: 0
; FloatMode: 240
; IeeeMode: 1
; LDSByteSize: 0 bytes/workgroup (compile time only)
; SGPRBlocks: 0
; VGPRBlocks: 1
; NumSGPRsForWavesPerEU: 42
; NumVGPRsForWavesPerEU: 15
; Occupancy: 16
; WaveLimiterHint : 1
; COMPUTE_PGM_RSRC2:SCRATCH_EN: 0
; COMPUTE_PGM_RSRC2:USER_SGPR: 6
; COMPUTE_PGM_RSRC2:TRAP_HANDLER: 0
; COMPUTE_PGM_RSRC2:TGID_X_EN: 1
; COMPUTE_PGM_RSRC2:TGID_Y_EN: 1
; COMPUTE_PGM_RSRC2:TGID_Z_EN: 1
; COMPUTE_PGM_RSRC2:TIDIG_COMP_CNT: 0
	.section	.text._ZL13mul_mat_vec_fI6__halffLi1ELi32ELb0ELb1EEvPKT_PKfPKi31ggml_cuda_mm_fusion_args_devicePfi15HIP_vector_typeIjLj3EEiiiSB_iiiSB_iiii,"axG",@progbits,_ZL13mul_mat_vec_fI6__halffLi1ELi32ELb0ELb1EEvPKT_PKfPKi31ggml_cuda_mm_fusion_args_devicePfi15HIP_vector_typeIjLj3EEiiiSB_iiiSB_iiii,comdat
	.globl	_ZL13mul_mat_vec_fI6__halffLi1ELi32ELb0ELb1EEvPKT_PKfPKi31ggml_cuda_mm_fusion_args_devicePfi15HIP_vector_typeIjLj3EEiiiSB_iiiSB_iiii ; -- Begin function _ZL13mul_mat_vec_fI6__halffLi1ELi32ELb0ELb1EEvPKT_PKfPKi31ggml_cuda_mm_fusion_args_devicePfi15HIP_vector_typeIjLj3EEiiiSB_iiiSB_iiii
	.p2align	8
	.type	_ZL13mul_mat_vec_fI6__halffLi1ELi32ELb0ELb1EEvPKT_PKfPKi31ggml_cuda_mm_fusion_args_devicePfi15HIP_vector_typeIjLj3EEiiiSB_iiiSB_iiii,@function
_ZL13mul_mat_vec_fI6__halffLi1ELi32ELb0ELb1EEvPKT_PKfPKi31ggml_cuda_mm_fusion_args_devicePfi15HIP_vector_typeIjLj3EEiiiSB_iiiSB_iiii: ; @_ZL13mul_mat_vec_fI6__halffLi1ELi32ELb0ELb1EEvPKT_PKfPKi31ggml_cuda_mm_fusion_args_devicePfi15HIP_vector_typeIjLj3EEiiiSB_iiiSB_iiii
; %bb.0:
	s_clause 0x1
	s_load_dwordx8 s[12:19], s[4:5], 0x40
	s_load_dwordx4 s[0:3], s[4:5], 0x68
	v_mov_b32_e32 v5, 0
	s_waitcnt lgkmcnt(0)
	s_mov_b32 s3, exec_lo
	v_cmpx_gt_i32_e64 s12, v0
	s_cbranch_execz .LBB177_4
; %bb.1:
	s_clause 0x1
	s_load_dword s9, s[4:5], 0x8c
	s_load_dwordx2 s[10:11], s[4:5], 0x10
	v_lshlrev_b32_e32 v1, 3, v0
	v_lshlrev_b32_e32 v3, 2, v0
	v_mov_b32_e32 v5, 0
	v_mov_b32_e32 v6, v0
	s_waitcnt lgkmcnt(0)
	s_mul_i32 s9, s9, s8
	s_add_i32 s20, s9, s7
	s_ashr_i32 s21, s20, 31
	s_lshl_b64 s[20:21], s[20:21], 2
	s_add_u32 s10, s10, s20
	s_addc_u32 s11, s11, s21
	s_load_dword s9, s[10:11], 0x0
	s_load_dwordx4 s[20:23], s[4:5], 0x0
	s_mul_hi_u32 s11, s13, s7
	s_mul_i32 s13, s8, s17
	s_add_i32 s11, s7, s11
	s_mul_i32 s10, s16, s6
	s_lshr_b32 s14, s11, s14
	s_ashr_i32 s11, s10, 31
	s_mul_i32 s15, s14, s15
	s_lshl_b32 s14, s13, 1
	s_sub_i32 s13, s7, s15
	s_ashr_i32 s15, s14, 31
	s_mul_i32 s16, s13, s1
	s_lshl_b64 s[14:15], s[14:15], 2
	s_ashr_i32 s17, s16, 31
	s_lshl_b64 s[16:17], s[16:17], 2
	s_waitcnt lgkmcnt(0)
	s_mul_i32 s0, s9, s0
	s_ashr_i32 s1, s0, 31
	s_add_u32 s9, s22, s16
	s_addc_u32 s13, s23, s17
	s_add_u32 s9, s9, s14
	s_addc_u32 s13, s13, s15
	s_lshl_b64 s[0:1], s[0:1], 1
	s_lshl_b64 s[10:11], s[10:11], 1
	v_add_co_u32 v1, s9, s9, v1
	s_add_u32 s0, s20, s0
	v_add_co_ci_u32_e64 v2, null, s13, 0, s9
	s_addc_u32 s1, s21, s1
	s_add_u32 s0, s0, s10
	s_addc_u32 s1, s1, s11
	v_add_co_u32 v1, vcc_lo, v1, 4
	v_add_co_u32 v3, s0, s0, v3
	v_add_co_ci_u32_e64 v2, null, 0, v2, vcc_lo
	v_add_co_ci_u32_e64 v4, null, s1, 0, s0
	s_mov_b32 s1, 0
	.p2align	6
.LBB177_2:                              ; =>This Inner Loop Header: Depth=1
	global_load_dword v9, v[3:4], off
	global_load_dwordx2 v[7:8], v[1:2], off offset:-4
	v_add_nc_u32_e32 v6, 32, v6
	v_add_co_u32 v1, vcc_lo, 0x100, v1
	v_add_co_ci_u32_e64 v2, null, 0, v2, vcc_lo
	v_add_co_u32 v3, vcc_lo, 0x80, v3
	v_cmp_le_i32_e64 s0, s12, v6
	v_add_co_ci_u32_e64 v4, null, 0, v4, vcc_lo
	s_or_b32 s1, s0, s1
	s_waitcnt vmcnt(0)
	v_fma_mix_f32 v5, v7, v9, v5 op_sel_hi:[0,1,0]
	v_fma_mix_f32 v5, v8, v9, v5 op_sel:[0,1,0] op_sel_hi:[0,1,0]
	s_andn2_b32 exec_lo, exec_lo, s1
	s_cbranch_execnz .LBB177_2
; %bb.3:
	s_or_b32 exec_lo, exec_lo, s1
.LBB177_4:
	s_or_b32 exec_lo, exec_lo, s3
	v_mbcnt_lo_u32_b32 v1, -1, 0
	s_mov_b32 s0, exec_lo
	v_xor_b32_e32 v2, 16, v1
	v_xor_b32_e32 v3, 8, v1
	;; [unrolled: 1-line block ×3, first 2 shown]
	v_cmp_gt_i32_e32 vcc_lo, 32, v2
	v_cndmask_b32_e32 v2, v1, v2, vcc_lo
	v_cmp_gt_i32_e32 vcc_lo, 32, v3
	v_lshlrev_b32_e32 v2, 2, v2
	v_cndmask_b32_e32 v3, v1, v3, vcc_lo
	v_cmp_gt_i32_e32 vcc_lo, 32, v4
	ds_bpermute_b32 v2, v2, v5
	v_lshlrev_b32_e32 v3, 2, v3
	v_cndmask_b32_e32 v4, v1, v4, vcc_lo
	v_lshlrev_b32_e32 v4, 2, v4
	s_waitcnt lgkmcnt(0)
	v_add_f32_e32 v2, v5, v2
	ds_bpermute_b32 v3, v3, v2
	s_waitcnt lgkmcnt(0)
	v_add_f32_e32 v2, v2, v3
	ds_bpermute_b32 v3, v4, v2
	v_xor_b32_e32 v4, 2, v1
	v_cmp_gt_i32_e32 vcc_lo, 32, v4
	v_cndmask_b32_e32 v4, v1, v4, vcc_lo
	v_lshlrev_b32_e32 v4, 2, v4
	s_waitcnt lgkmcnt(0)
	v_add_f32_e32 v2, v2, v3
	ds_bpermute_b32 v3, v4, v2
	v_xor_b32_e32 v4, 1, v1
	v_cmp_gt_i32_e32 vcc_lo, 32, v4
	v_cndmask_b32_e32 v1, v1, v4, vcc_lo
	v_lshlrev_b32_e32 v4, 2, v1
	s_waitcnt lgkmcnt(0)
	v_add_f32_e32 v1, v2, v3
	ds_bpermute_b32 v2, v4, v1
	v_cmpx_eq_u32_e32 0, v0
	s_cbranch_execz .LBB177_6
; %bb.5:
	s_load_dwordx2 s[0:1], s[4:5], 0x38
	s_mul_i32 s2, s2, s7
	s_mul_i32 s4, s18, s8
	s_ashr_i32 s3, s2, 31
	s_waitcnt lgkmcnt(0)
	v_add_f32_e32 v0, v1, v2
	s_lshl_b64 s[2:3], s[2:3], 2
	v_mov_b32_e32 v1, 0
	s_add_u32 s2, s0, s2
	s_addc_u32 s3, s1, s3
	s_ashr_i32 s5, s4, 31
	s_lshl_b64 s[0:1], s[4:5], 2
	s_add_u32 s2, s2, s0
	s_addc_u32 s3, s3, s1
	s_ashr_i32 s7, s6, 31
	s_lshl_b64 s[0:1], s[6:7], 2
	s_add_u32 s0, s2, s0
	s_addc_u32 s1, s3, s1
	global_store_dword v1, v0, s[0:1]
.LBB177_6:
	s_endpgm
	.section	.rodata,"a",@progbits
	.p2align	6, 0x0
	.amdhsa_kernel _ZL13mul_mat_vec_fI6__halffLi1ELi32ELb0ELb1EEvPKT_PKfPKi31ggml_cuda_mm_fusion_args_devicePfi15HIP_vector_typeIjLj3EEiiiSB_iiiSB_iiii
		.amdhsa_group_segment_fixed_size 0
		.amdhsa_private_segment_fixed_size 0
		.amdhsa_kernarg_size 144
		.amdhsa_user_sgpr_count 6
		.amdhsa_user_sgpr_private_segment_buffer 1
		.amdhsa_user_sgpr_dispatch_ptr 0
		.amdhsa_user_sgpr_queue_ptr 0
		.amdhsa_user_sgpr_kernarg_segment_ptr 1
		.amdhsa_user_sgpr_dispatch_id 0
		.amdhsa_user_sgpr_flat_scratch_init 0
		.amdhsa_user_sgpr_private_segment_size 0
		.amdhsa_wavefront_size32 1
		.amdhsa_uses_dynamic_stack 0
		.amdhsa_system_sgpr_private_segment_wavefront_offset 0
		.amdhsa_system_sgpr_workgroup_id_x 1
		.amdhsa_system_sgpr_workgroup_id_y 1
		.amdhsa_system_sgpr_workgroup_id_z 1
		.amdhsa_system_sgpr_workgroup_info 0
		.amdhsa_system_vgpr_workitem_id 0
		.amdhsa_next_free_vgpr 10
		.amdhsa_next_free_sgpr 24
		.amdhsa_reserve_vcc 1
		.amdhsa_reserve_flat_scratch 0
		.amdhsa_float_round_mode_32 0
		.amdhsa_float_round_mode_16_64 0
		.amdhsa_float_denorm_mode_32 3
		.amdhsa_float_denorm_mode_16_64 3
		.amdhsa_dx10_clamp 1
		.amdhsa_ieee_mode 1
		.amdhsa_fp16_overflow 0
		.amdhsa_workgroup_processor_mode 1
		.amdhsa_memory_ordered 1
		.amdhsa_forward_progress 1
		.amdhsa_shared_vgpr_count 0
		.amdhsa_exception_fp_ieee_invalid_op 0
		.amdhsa_exception_fp_denorm_src 0
		.amdhsa_exception_fp_ieee_div_zero 0
		.amdhsa_exception_fp_ieee_overflow 0
		.amdhsa_exception_fp_ieee_underflow 0
		.amdhsa_exception_fp_ieee_inexact 0
		.amdhsa_exception_int_div_zero 0
	.end_amdhsa_kernel
	.section	.text._ZL13mul_mat_vec_fI6__halffLi1ELi32ELb0ELb1EEvPKT_PKfPKi31ggml_cuda_mm_fusion_args_devicePfi15HIP_vector_typeIjLj3EEiiiSB_iiiSB_iiii,"axG",@progbits,_ZL13mul_mat_vec_fI6__halffLi1ELi32ELb0ELb1EEvPKT_PKfPKi31ggml_cuda_mm_fusion_args_devicePfi15HIP_vector_typeIjLj3EEiiiSB_iiiSB_iiii,comdat
.Lfunc_end177:
	.size	_ZL13mul_mat_vec_fI6__halffLi1ELi32ELb0ELb1EEvPKT_PKfPKi31ggml_cuda_mm_fusion_args_devicePfi15HIP_vector_typeIjLj3EEiiiSB_iiiSB_iiii, .Lfunc_end177-_ZL13mul_mat_vec_fI6__halffLi1ELi32ELb0ELb1EEvPKT_PKfPKi31ggml_cuda_mm_fusion_args_devicePfi15HIP_vector_typeIjLj3EEiiiSB_iiiSB_iiii
                                        ; -- End function
	.set _ZL13mul_mat_vec_fI6__halffLi1ELi32ELb0ELb1EEvPKT_PKfPKi31ggml_cuda_mm_fusion_args_devicePfi15HIP_vector_typeIjLj3EEiiiSB_iiiSB_iiii.num_vgpr, 10
	.set _ZL13mul_mat_vec_fI6__halffLi1ELi32ELb0ELb1EEvPKT_PKfPKi31ggml_cuda_mm_fusion_args_devicePfi15HIP_vector_typeIjLj3EEiiiSB_iiiSB_iiii.num_agpr, 0
	.set _ZL13mul_mat_vec_fI6__halffLi1ELi32ELb0ELb1EEvPKT_PKfPKi31ggml_cuda_mm_fusion_args_devicePfi15HIP_vector_typeIjLj3EEiiiSB_iiiSB_iiii.numbered_sgpr, 24
	.set _ZL13mul_mat_vec_fI6__halffLi1ELi32ELb0ELb1EEvPKT_PKfPKi31ggml_cuda_mm_fusion_args_devicePfi15HIP_vector_typeIjLj3EEiiiSB_iiiSB_iiii.num_named_barrier, 0
	.set _ZL13mul_mat_vec_fI6__halffLi1ELi32ELb0ELb1EEvPKT_PKfPKi31ggml_cuda_mm_fusion_args_devicePfi15HIP_vector_typeIjLj3EEiiiSB_iiiSB_iiii.private_seg_size, 0
	.set _ZL13mul_mat_vec_fI6__halffLi1ELi32ELb0ELb1EEvPKT_PKfPKi31ggml_cuda_mm_fusion_args_devicePfi15HIP_vector_typeIjLj3EEiiiSB_iiiSB_iiii.uses_vcc, 1
	.set _ZL13mul_mat_vec_fI6__halffLi1ELi32ELb0ELb1EEvPKT_PKfPKi31ggml_cuda_mm_fusion_args_devicePfi15HIP_vector_typeIjLj3EEiiiSB_iiiSB_iiii.uses_flat_scratch, 0
	.set _ZL13mul_mat_vec_fI6__halffLi1ELi32ELb0ELb1EEvPKT_PKfPKi31ggml_cuda_mm_fusion_args_devicePfi15HIP_vector_typeIjLj3EEiiiSB_iiiSB_iiii.has_dyn_sized_stack, 0
	.set _ZL13mul_mat_vec_fI6__halffLi1ELi32ELb0ELb1EEvPKT_PKfPKi31ggml_cuda_mm_fusion_args_devicePfi15HIP_vector_typeIjLj3EEiiiSB_iiiSB_iiii.has_recursion, 0
	.set _ZL13mul_mat_vec_fI6__halffLi1ELi32ELb0ELb1EEvPKT_PKfPKi31ggml_cuda_mm_fusion_args_devicePfi15HIP_vector_typeIjLj3EEiiiSB_iiiSB_iiii.has_indirect_call, 0
	.section	.AMDGPU.csdata,"",@progbits
; Kernel info:
; codeLenInByte = 688
; TotalNumSgprs: 26
; NumVgprs: 10
; ScratchSize: 0
; MemoryBound: 0
; FloatMode: 240
; IeeeMode: 1
; LDSByteSize: 0 bytes/workgroup (compile time only)
; SGPRBlocks: 0
; VGPRBlocks: 1
; NumSGPRsForWavesPerEU: 26
; NumVGPRsForWavesPerEU: 10
; Occupancy: 16
; WaveLimiterHint : 1
; COMPUTE_PGM_RSRC2:SCRATCH_EN: 0
; COMPUTE_PGM_RSRC2:USER_SGPR: 6
; COMPUTE_PGM_RSRC2:TRAP_HANDLER: 0
; COMPUTE_PGM_RSRC2:TGID_X_EN: 1
; COMPUTE_PGM_RSRC2:TGID_Y_EN: 1
; COMPUTE_PGM_RSRC2:TGID_Z_EN: 1
; COMPUTE_PGM_RSRC2:TIDIG_COMP_CNT: 0
	.section	.text._ZL13mul_mat_vec_fI6__halffLi1ELi64ELb1ELb1EEvPKT_PKfPKi31ggml_cuda_mm_fusion_args_devicePfi15HIP_vector_typeIjLj3EEiiiSB_iiiSB_iiii,"axG",@progbits,_ZL13mul_mat_vec_fI6__halffLi1ELi64ELb1ELb1EEvPKT_PKfPKi31ggml_cuda_mm_fusion_args_devicePfi15HIP_vector_typeIjLj3EEiiiSB_iiiSB_iiii,comdat
	.globl	_ZL13mul_mat_vec_fI6__halffLi1ELi64ELb1ELb1EEvPKT_PKfPKi31ggml_cuda_mm_fusion_args_devicePfi15HIP_vector_typeIjLj3EEiiiSB_iiiSB_iiii ; -- Begin function _ZL13mul_mat_vec_fI6__halffLi1ELi64ELb1ELb1EEvPKT_PKfPKi31ggml_cuda_mm_fusion_args_devicePfi15HIP_vector_typeIjLj3EEiiiSB_iiiSB_iiii
	.p2align	8
	.type	_ZL13mul_mat_vec_fI6__halffLi1ELi64ELb1ELb1EEvPKT_PKfPKi31ggml_cuda_mm_fusion_args_devicePfi15HIP_vector_typeIjLj3EEiiiSB_iiiSB_iiii,@function
_ZL13mul_mat_vec_fI6__halffLi1ELi64ELb1ELb1EEvPKT_PKfPKi31ggml_cuda_mm_fusion_args_devicePfi15HIP_vector_typeIjLj3EEiiiSB_iiiSB_iiii: ; @_ZL13mul_mat_vec_fI6__halffLi1ELi64ELb1ELb1EEvPKT_PKfPKi31ggml_cuda_mm_fusion_args_devicePfi15HIP_vector_typeIjLj3EEiiiSB_iiiSB_iiii
; %bb.0:
	s_clause 0x3
	s_load_dword s1, s[4:5], 0x8c
	s_load_dwordx8 s[20:27], s[4:5], 0x0
	s_load_dwordx4 s[36:39], s[4:5], 0x20
	s_load_dwordx8 s[12:19], s[4:5], 0x40
	v_lshl_add_u32 v8, v0, 2, 0
	s_mov_b32 s0, s7
	s_waitcnt lgkmcnt(0)
	s_mul_i32 s1, s1, s8
	s_add_i32 s2, s1, s7
	s_ashr_i32 s3, s2, 31
	s_lshl_b64 s[2:3], s[2:3], 2
	s_add_u32 s10, s24, s2
	s_addc_u32 s11, s25, s3
	s_cmp_lg_u64 s[36:37], 0
	v_cmp_gt_u32_e64 s2, 32, v0
	s_cselect_b32 s1, -1, 0
	s_cmp_eq_u64 s[36:37], 0
	s_cselect_b32 s19, -1, 0
	s_and_saveexec_b32 s3, s2
	s_cbranch_execz .LBB178_3
; %bb.1:
	v_mov_b32_e32 v1, 0
	s_andn2_b32 vcc_lo, exec_lo, s1
	ds_write_b32 v8, v1
	s_cbranch_vccnz .LBB178_3
; %bb.2:
	ds_write_b32 v8, v1 offset:128
.LBB178_3:
	s_or_b32 exec_lo, exec_lo, s3
	s_load_dword s7, s[10:11], 0x0
	s_load_dwordx4 s[28:31], s[4:5], 0x68
	v_mov_b32_e32 v7, 0
	v_mov_b32_e32 v9, 0
	s_mov_b32 s9, exec_lo
	s_waitcnt lgkmcnt(0)
	s_barrier
	buffer_gl0_inv
	v_cmpx_gt_i32_e64 s12, v0
	s_cbranch_execz .LBB178_10
; %bb.4:
	s_mul_hi_u32 s3, s13, s0
	s_mul_i32 s10, s7, s28
	s_add_i32 s3, s0, s3
	s_mul_i32 s11, s16, s6
	s_lshr_b32 s3, s3, s14
	s_ashr_i32 s13, s10, 31
	s_mul_i32 s3, s3, s15
	s_ashr_i32 s14, s11, 31
	s_sub_i32 s3, s0, s3
	s_add_u32 s10, s10, s11
	s_addc_u32 s11, s13, s14
	s_mul_i32 s13, s8, s17
	s_mul_i32 s14, s3, s29
	s_lshl_b32 s16, s13, 1
	s_ashr_i32 s15, s14, 31
	s_ashr_i32 s17, s16, 31
	s_and_b32 s3, s1, exec_lo
	s_cselect_b32 s29, s11, 0
	s_cselect_b32 s28, s10, 0
	v_lshlrev_b32_e32 v5, 2, v0
	s_cselect_b32 s3, s37, 0
	s_cselect_b32 s13, s36, 0
	s_lshl_b64 s[28:29], s[28:29], 1
	v_lshlrev_b32_e32 v3, 3, v0
	s_add_u32 s13, s13, s28
	s_addc_u32 s3, s3, s29
	v_add_co_u32 v1, s13, s13, v5
	s_lshl_b64 s[14:15], s[14:15], 2
	s_lshl_b64 s[16:17], s[16:17], 2
	v_add_co_ci_u32_e64 v2, null, s3, 0, s13
	s_add_u32 s3, s22, s14
	s_addc_u32 s13, s23, s15
	s_add_u32 s3, s3, s16
	s_addc_u32 s13, s13, s17
	v_add_co_u32 v3, s3, s3, v3
	s_lshl_b64 s[10:11], s[10:11], 1
	v_add_co_ci_u32_e64 v4, null, s13, 0, s3
	s_add_u32 s3, s20, s10
	v_add_co_u32 v3, vcc_lo, v3, 4
	s_addc_u32 s10, s21, s11
	v_add_co_u32 v5, s3, s3, v5
	v_mov_b32_e32 v7, 0
	v_add_co_ci_u32_e64 v4, null, 0, v4, vcc_lo
	v_add_co_ci_u32_e64 v6, null, s10, 0, s3
	v_mov_b32_e32 v10, v0
	v_mov_b32_e32 v9, 0
	s_mov_b32 s10, 0
	s_inst_prefetch 0x1
	s_branch .LBB178_7
	.p2align	6
.LBB178_5:                              ;   in Loop: Header=BB178_7 Depth=1
	global_load_dword v12, v[1:2], off
	s_waitcnt vmcnt(0)
	v_cvt_f32_f16_e32 v13, v12
	v_cvt_f32_f16_sdwa v12, v12 dst_sel:DWORD dst_unused:UNUSED_PAD src0_sel:WORD_1
.LBB178_6:                              ;   in Loop: Header=BB178_7 Depth=1
	global_load_dwordx2 v[14:15], v[3:4], off offset:-4
	v_add_nc_u32_e32 v10, 64, v10
	v_add_co_u32 v1, vcc_lo, 0x100, v1
	v_add_co_ci_u32_e64 v2, null, 0, v2, vcc_lo
	v_add_co_u32 v3, vcc_lo, 0x200, v3
	v_add_co_ci_u32_e64 v4, null, 0, v4, vcc_lo
	v_cmp_le_i32_e32 vcc_lo, s12, v10
	v_add_co_u32 v5, s3, 0x100, v5
	v_add_co_ci_u32_e64 v6, null, 0, v6, s3
	s_or_b32 s10, vcc_lo, s10
	s_waitcnt vmcnt(0)
	v_fma_f32 v13, v14, v13, v7
	v_fma_mix_f32 v9, v14, v11, v9 op_sel_hi:[0,1,0]
	v_fmac_f32_e32 v13, v15, v12
	v_fma_mix_f32 v9, v15, v11, v9 op_sel:[0,1,0] op_sel_hi:[0,1,0]
	v_cndmask_b32_e64 v7, v7, v13, s1
	s_andn2_b32 exec_lo, exec_lo, s10
	s_cbranch_execz .LBB178_9
.LBB178_7:                              ; =>This Inner Loop Header: Depth=1
	global_load_dword v11, v[5:6], off
	s_andn2_b32 vcc_lo, exec_lo, s1
	s_cbranch_vccz .LBB178_5
; %bb.8:                                ;   in Loop: Header=BB178_7 Depth=1
	v_mov_b32_e32 v12, 0
	v_mov_b32_e32 v13, 0
	s_branch .LBB178_6
.LBB178_9:
	s_inst_prefetch 0x2
	s_or_b32 exec_lo, exec_lo, s10
.LBB178_10:
	s_or_b32 exec_lo, exec_lo, s9
	v_mbcnt_lo_u32_b32 v1, -1, 0
	s_load_dword s9, s[4:5], 0x30
	s_mov_b32 s3, -1
	v_xor_b32_e32 v2, 16, v1
	v_xor_b32_e32 v3, 8, v1
	v_cmp_gt_i32_e32 vcc_lo, 32, v2
	v_cndmask_b32_e32 v2, v1, v2, vcc_lo
	v_cmp_gt_i32_e32 vcc_lo, 32, v3
	v_lshlrev_b32_e32 v2, 2, v2
	v_cndmask_b32_e32 v3, v1, v3, vcc_lo
	ds_bpermute_b32 v4, v2, v9
	v_lshlrev_b32_e32 v3, 2, v3
	s_waitcnt lgkmcnt(0)
	v_add_f32_e32 v5, v9, v4
	v_xor_b32_e32 v4, 4, v1
	ds_bpermute_b32 v6, v3, v5
	v_cmp_gt_i32_e32 vcc_lo, 32, v4
	v_cndmask_b32_e32 v4, v1, v4, vcc_lo
	v_lshlrev_b32_e32 v4, 2, v4
	s_waitcnt lgkmcnt(0)
	v_add_f32_e32 v6, v5, v6
	v_xor_b32_e32 v5, 2, v1
	ds_bpermute_b32 v9, v4, v6
	v_cmp_gt_i32_e32 vcc_lo, 32, v5
	v_cndmask_b32_e32 v5, v1, v5, vcc_lo
	;; [unrolled: 7-line block ×3, first 2 shown]
	s_and_b32 vcc_lo, exec_lo, s19
	v_lshlrev_b32_e32 v6, 2, v1
	s_waitcnt lgkmcnt(0)
	v_add_f32_e32 v1, v9, v10
	v_lshrrev_b32_e32 v10, 5, v0
	ds_bpermute_b32 v9, v6, v1
	s_waitcnt lgkmcnt(0)
	v_add_f32_e32 v1, v1, v9
	v_lshl_add_u32 v9, v10, 2, 0
	s_cbranch_vccz .LBB178_12
; %bb.11:
	s_mov_b32 s3, 0
	ds_write_b32 v9, v1
.LBB178_12:
	s_andn2_b32 vcc_lo, exec_lo, s3
	s_cbranch_vccnz .LBB178_14
; %bb.13:
	ds_bpermute_b32 v10, v2, v7
	s_waitcnt lgkmcnt(0)
	v_add_f32_e32 v7, v7, v10
	ds_bpermute_b32 v10, v3, v7
	s_waitcnt lgkmcnt(0)
	v_add_f32_e32 v7, v7, v10
	;; [unrolled: 3-line block ×5, first 2 shown]
	ds_write2_b32 v9, v1, v7 offset1:32
.LBB178_14:
	s_waitcnt lgkmcnt(0)
	s_barrier
	buffer_gl0_inv
	s_and_saveexec_b32 s3, s2
	s_cbranch_execz .LBB178_18
; %bb.15:
	ds_read_b32 v1, v8
	s_andn2_b32 vcc_lo, exec_lo, s1
	s_waitcnt lgkmcnt(0)
	ds_bpermute_b32 v9, v2, v1
	s_waitcnt lgkmcnt(0)
	v_add_f32_e32 v1, v1, v9
	ds_bpermute_b32 v9, v3, v1
	s_waitcnt lgkmcnt(0)
	v_add_f32_e32 v1, v1, v9
	;; [unrolled: 3-line block ×4, first 2 shown]
	ds_bpermute_b32 v9, v6, v1
	s_cbranch_vccnz .LBB178_17
; %bb.16:
	ds_read_b32 v7, v8 offset:128
	s_waitcnt lgkmcnt(0)
	ds_bpermute_b32 v2, v2, v7
	s_waitcnt lgkmcnt(0)
	v_add_f32_e32 v2, v7, v2
	ds_bpermute_b32 v3, v3, v2
	s_waitcnt lgkmcnt(0)
	v_add_f32_e32 v2, v2, v3
	;; [unrolled: 3-line block ×5, first 2 shown]
.LBB178_17:
	s_waitcnt lgkmcnt(0)
	v_add_f32_e32 v1, v1, v9
.LBB178_18:
	s_or_b32 exec_lo, exec_lo, s3
	s_barrier
	buffer_gl0_inv
	s_mov_b32 s2, exec_lo
	v_cmpx_eq_u32_e32 0, v0
	s_cbranch_execz .LBB178_42
; %bb.19:
	s_cmp_eq_u64 s[26:27], 0
	s_cselect_b32 s10, -1, 0
	s_cmp_eq_u64 s[24:25], 0
	s_cselect_b32 s2, s0, s7
	s_mul_i32 s2, s2, s30
	s_ashr_i32 s3, s2, 31
	s_and_b32 vcc_lo, exec_lo, s10
	s_cbranch_vccnz .LBB178_21
; %bb.20:
	s_cselect_b32 s7, 0, s27
	s_cselect_b32 s12, 0, s26
	s_lshl_b64 s[10:11], s[2:3], 2
	s_add_u32 s12, s12, s10
	s_addc_u32 s13, s7, s11
	s_ashr_i32 s7, s6, 31
	s_lshl_b64 s[10:11], s[6:7], 2
	s_add_u32 s10, s12, s10
	s_addc_u32 s11, s13, s11
	s_load_dword s7, s[10:11], 0x0
	s_waitcnt lgkmcnt(0)
	v_add_f32_e32 v1, s7, v1
.LBB178_21:
	s_andn2_b32 vcc_lo, exec_lo, s1
	s_cbranch_vccnz .LBB178_41
; %bb.22:
	s_cmp_lg_u64 s[38:39], 0
	s_cselect_b32 s7, -1, 0
	s_and_b32 s1, s7, s1
	s_andn2_b32 vcc_lo, exec_lo, s1
	s_cbranch_vccnz .LBB178_24
; %bb.23:
	s_and_b32 s7, s7, exec_lo
	s_cselect_b32 s7, s39, 0
	s_cselect_b32 s10, s38, 0
	s_and_b32 s1, s1, exec_lo
	s_cselect_b32 s3, s3, 0
	s_cselect_b32 s2, s2, 0
	s_lshl_b64 s[2:3], s[2:3], 2
	s_add_u32 s1, s10, s2
	s_addc_u32 s10, s7, s3
	s_ashr_i32 s7, s6, 31
	s_lshl_b64 s[2:3], s[6:7], 2
	s_add_u32 s2, s1, s2
	s_addc_u32 s3, s10, s3
	s_load_dword s1, s[2:3], 0x0
	s_waitcnt lgkmcnt(0)
	v_add_f32_e32 v7, s1, v7
.LBB178_24:
	s_cmp_lt_i32 s9, 2
	s_cbranch_scc1 .LBB178_29
; %bb.25:
	s_cmp_lt_i32 s9, 3
	s_cbranch_scc1 .LBB178_30
; %bb.26:
	v_mov_b32_e32 v0, v1
	s_cmp_eq_u32 s9, 3
	s_cbranch_scc0 .LBB178_28
; %bb.27:
	v_max_f32_e32 v0, v7, v7
	v_min_f32_e32 v0, 0x40e00000, v0
	v_mul_f32_e32 v2, 0xbfd9db23, v0
	v_mul_f32_e32 v3, 0x3fb8aa3b, v2
	v_cmp_ngt_f32_e32 vcc_lo, 0xc2ce8ed0, v2
	v_fma_f32 v4, 0x3fb8aa3b, v2, -v3
	v_rndne_f32_e32 v5, v3
	v_fmamk_f32 v4, v2, 0x32a5705f, v4
	v_sub_f32_e32 v3, v3, v5
	v_add_f32_e32 v3, v3, v4
	v_cvt_i32_f32_e32 v4, v5
	v_exp_f32_e32 v3, v3
	v_ldexp_f32 v3, v3, v4
	v_cndmask_b32_e32 v3, 0, v3, vcc_lo
	v_cmp_nlt_f32_e32 vcc_lo, 0x42b17218, v2
	v_cndmask_b32_e32 v2, 0x7f800000, v3, vcc_lo
	v_add_f32_e32 v2, 1.0, v2
	v_div_scale_f32 v3, null, v2, v2, v0
	v_div_scale_f32 v6, vcc_lo, v0, v2, v0
	v_rcp_f32_e32 v4, v3
	v_fma_f32 v5, -v3, v4, 1.0
	v_fmac_f32_e32 v4, v5, v4
	v_mul_f32_e32 v5, v6, v4
	v_fma_f32 v8, -v3, v5, v6
	v_fmac_f32_e32 v5, v8, v4
	v_max_f32_e32 v8, v1, v1
	v_fma_f32 v3, -v3, v5, v6
	v_min_f32_e32 v6, 0x40e00000, v8
	v_div_fmas_f32 v3, v3, v4, v5
	v_max_f32_e32 v4, 0xc0e00000, v6
	v_div_fixup_f32 v0, v3, v2, v0
	v_add_f32_e32 v2, 1.0, v4
	v_mul_f32_e32 v0, v2, v0
.LBB178_28:
	s_cbranch_execz .LBB178_31
	s_branch .LBB178_32
.LBB178_29:
                                        ; implicit-def: $vgpr0
	s_branch .LBB178_33
.LBB178_30:
                                        ; implicit-def: $vgpr0
.LBB178_31:
	v_mul_f32_e32 v0, 0xbfb8aa3b, v7
	v_cmp_nlt_f32_e32 vcc_lo, 0x42ce8ed0, v7
	v_rndne_f32_e32 v2, v0
	v_fma_f32 v3, 0xbfb8aa3b, v7, -v0
	v_sub_f32_e32 v0, v0, v2
	v_fmamk_f32 v3, v7, 0xb2a5705f, v3
	v_cvt_i32_f32_e32 v2, v2
	v_add_f32_e32 v0, v0, v3
	v_exp_f32_e32 v0, v0
	v_ldexp_f32 v0, v0, v2
	v_cndmask_b32_e32 v0, 0, v0, vcc_lo
	v_cmp_ngt_f32_e32 vcc_lo, 0xc2b17218, v7
	v_cndmask_b32_e32 v0, 0x7f800000, v0, vcc_lo
	v_add_f32_e32 v0, 1.0, v0
	v_div_scale_f32 v2, null, v0, v0, v7
	v_rcp_f32_e32 v3, v2
	v_fma_f32 v4, -v2, v3, 1.0
	v_fmac_f32_e32 v3, v4, v3
	v_div_scale_f32 v4, vcc_lo, v7, v0, v7
	v_mul_f32_e32 v5, v4, v3
	v_fma_f32 v6, -v2, v5, v4
	v_fmac_f32_e32 v5, v6, v3
	v_fma_f32 v2, -v2, v5, v4
	v_div_fmas_f32 v2, v2, v3, v5
	v_div_fixup_f32 v0, v2, v0, v7
	v_mul_f32_e32 v0, v1, v0
.LBB178_32:
	s_cbranch_execnz .LBB178_40
.LBB178_33:
	s_cmp_eq_u32 s9, 1
	s_cbranch_scc0 .LBB178_39
; %bb.34:
	v_mul_f32_e32 v0, 0x3d372713, v7
	v_mul_f32_e32 v2, 0x3f4c422a, v7
	v_fma_f32 v0, v7, v0, 1.0
	v_mul_f32_e32 v0, v2, v0
                                        ; implicit-def: $vgpr2
	v_cmp_ngt_f32_e64 s1, 0x3f200000, |v0|
	s_and_saveexec_b32 s2, s1
	s_xor_b32 s1, exec_lo, s2
	s_cbranch_execz .LBB178_36
; %bb.35:
	v_add_f32_e64 v2, |v0|, |v0|
	v_mul_f32_e32 v3, 0x3fb8aa3b, v2
	v_cmp_ngt_f32_e32 vcc_lo, 0xc2ce8ed0, v2
	v_rndne_f32_e32 v4, v3
	v_fma_f32 v5, 0x3fb8aa3b, v2, -v3
	v_sub_f32_e32 v3, v3, v4
	v_fmamk_f32 v5, v2, 0x32a5705f, v5
	v_cvt_i32_f32_e32 v4, v4
	v_add_f32_e32 v3, v3, v5
	v_exp_f32_e32 v3, v3
	v_ldexp_f32 v3, v3, v4
	v_cndmask_b32_e32 v3, 0, v3, vcc_lo
	v_cmp_nlt_f32_e32 vcc_lo, 0x42b17218, v2
	v_cndmask_b32_e32 v2, 0x7f800000, v3, vcc_lo
	v_add_f32_e32 v2, 1.0, v2
	v_rcp_f32_e32 v2, v2
	v_fma_f32 v2, v2, -2.0, 1.0
.LBB178_36:
	s_andn2_saveexec_b32 s1, s1
	s_cbranch_execz .LBB178_38
; %bb.37:
	v_mul_f32_e32 v2, v0, v0
	s_mov_b32 s2, 0xbbbac73d
	v_fmaak_f32 v3, s2, v2, 0x3ca908c9
	v_fmaak_f32 v3, v2, v3, 0xbd5c1c4e
	;; [unrolled: 1-line block ×4, first 2 shown]
	v_mul_f32_e64 v3, |v0|, v3
	v_fma_f32 v2, v2, v3, |v0|
.LBB178_38:
	s_or_b32 exec_lo, exec_lo, s1
	v_bfi_b32 v0, 0x7fffffff, v2, v0
	v_mul_f32_e32 v2, 0.5, v7
	v_add_f32_e32 v0, 1.0, v0
	v_mul_f32_e32 v0, v2, v0
	v_mul_f32_e32 v1, v1, v0
.LBB178_39:
	v_mov_b32_e32 v0, v1
.LBB178_40:
	v_mov_b32_e32 v1, v0
.LBB178_41:
	s_load_dwordx2 s[2:3], s[4:5], 0x38
	s_mul_i32 s0, s30, s0
	s_mul_i32 s4, s18, s8
	s_ashr_i32 s1, s0, 31
	v_mov_b32_e32 v0, 0
	s_lshl_b64 s[0:1], s[0:1], 2
	s_waitcnt lgkmcnt(0)
	s_add_u32 s2, s2, s0
	s_addc_u32 s3, s3, s1
	s_ashr_i32 s5, s4, 31
	s_lshl_b64 s[0:1], s[4:5], 2
	s_add_u32 s2, s2, s0
	s_addc_u32 s3, s3, s1
	s_ashr_i32 s7, s6, 31
	s_lshl_b64 s[0:1], s[6:7], 2
	s_add_u32 s0, s2, s0
	s_addc_u32 s1, s3, s1
	global_store_dword v0, v1, s[0:1]
.LBB178_42:
	s_endpgm
	.section	.rodata,"a",@progbits
	.p2align	6, 0x0
	.amdhsa_kernel _ZL13mul_mat_vec_fI6__halffLi1ELi64ELb1ELb1EEvPKT_PKfPKi31ggml_cuda_mm_fusion_args_devicePfi15HIP_vector_typeIjLj3EEiiiSB_iiiSB_iiii
		.amdhsa_group_segment_fixed_size 0
		.amdhsa_private_segment_fixed_size 0
		.amdhsa_kernarg_size 144
		.amdhsa_user_sgpr_count 6
		.amdhsa_user_sgpr_private_segment_buffer 1
		.amdhsa_user_sgpr_dispatch_ptr 0
		.amdhsa_user_sgpr_queue_ptr 0
		.amdhsa_user_sgpr_kernarg_segment_ptr 1
		.amdhsa_user_sgpr_dispatch_id 0
		.amdhsa_user_sgpr_flat_scratch_init 0
		.amdhsa_user_sgpr_private_segment_size 0
		.amdhsa_wavefront_size32 1
		.amdhsa_uses_dynamic_stack 0
		.amdhsa_system_sgpr_private_segment_wavefront_offset 0
		.amdhsa_system_sgpr_workgroup_id_x 1
		.amdhsa_system_sgpr_workgroup_id_y 1
		.amdhsa_system_sgpr_workgroup_id_z 1
		.amdhsa_system_sgpr_workgroup_info 0
		.amdhsa_system_vgpr_workitem_id 0
		.amdhsa_next_free_vgpr 16
		.amdhsa_next_free_sgpr 40
		.amdhsa_reserve_vcc 1
		.amdhsa_reserve_flat_scratch 0
		.amdhsa_float_round_mode_32 0
		.amdhsa_float_round_mode_16_64 0
		.amdhsa_float_denorm_mode_32 3
		.amdhsa_float_denorm_mode_16_64 3
		.amdhsa_dx10_clamp 1
		.amdhsa_ieee_mode 1
		.amdhsa_fp16_overflow 0
		.amdhsa_workgroup_processor_mode 1
		.amdhsa_memory_ordered 1
		.amdhsa_forward_progress 1
		.amdhsa_shared_vgpr_count 0
		.amdhsa_exception_fp_ieee_invalid_op 0
		.amdhsa_exception_fp_denorm_src 0
		.amdhsa_exception_fp_ieee_div_zero 0
		.amdhsa_exception_fp_ieee_overflow 0
		.amdhsa_exception_fp_ieee_underflow 0
		.amdhsa_exception_fp_ieee_inexact 0
		.amdhsa_exception_int_div_zero 0
	.end_amdhsa_kernel
	.section	.text._ZL13mul_mat_vec_fI6__halffLi1ELi64ELb1ELb1EEvPKT_PKfPKi31ggml_cuda_mm_fusion_args_devicePfi15HIP_vector_typeIjLj3EEiiiSB_iiiSB_iiii,"axG",@progbits,_ZL13mul_mat_vec_fI6__halffLi1ELi64ELb1ELb1EEvPKT_PKfPKi31ggml_cuda_mm_fusion_args_devicePfi15HIP_vector_typeIjLj3EEiiiSB_iiiSB_iiii,comdat
.Lfunc_end178:
	.size	_ZL13mul_mat_vec_fI6__halffLi1ELi64ELb1ELb1EEvPKT_PKfPKi31ggml_cuda_mm_fusion_args_devicePfi15HIP_vector_typeIjLj3EEiiiSB_iiiSB_iiii, .Lfunc_end178-_ZL13mul_mat_vec_fI6__halffLi1ELi64ELb1ELb1EEvPKT_PKfPKi31ggml_cuda_mm_fusion_args_devicePfi15HIP_vector_typeIjLj3EEiiiSB_iiiSB_iiii
                                        ; -- End function
	.set _ZL13mul_mat_vec_fI6__halffLi1ELi64ELb1ELb1EEvPKT_PKfPKi31ggml_cuda_mm_fusion_args_devicePfi15HIP_vector_typeIjLj3EEiiiSB_iiiSB_iiii.num_vgpr, 16
	.set _ZL13mul_mat_vec_fI6__halffLi1ELi64ELb1ELb1EEvPKT_PKfPKi31ggml_cuda_mm_fusion_args_devicePfi15HIP_vector_typeIjLj3EEiiiSB_iiiSB_iiii.num_agpr, 0
	.set _ZL13mul_mat_vec_fI6__halffLi1ELi64ELb1ELb1EEvPKT_PKfPKi31ggml_cuda_mm_fusion_args_devicePfi15HIP_vector_typeIjLj3EEiiiSB_iiiSB_iiii.numbered_sgpr, 40
	.set _ZL13mul_mat_vec_fI6__halffLi1ELi64ELb1ELb1EEvPKT_PKfPKi31ggml_cuda_mm_fusion_args_devicePfi15HIP_vector_typeIjLj3EEiiiSB_iiiSB_iiii.num_named_barrier, 0
	.set _ZL13mul_mat_vec_fI6__halffLi1ELi64ELb1ELb1EEvPKT_PKfPKi31ggml_cuda_mm_fusion_args_devicePfi15HIP_vector_typeIjLj3EEiiiSB_iiiSB_iiii.private_seg_size, 0
	.set _ZL13mul_mat_vec_fI6__halffLi1ELi64ELb1ELb1EEvPKT_PKfPKi31ggml_cuda_mm_fusion_args_devicePfi15HIP_vector_typeIjLj3EEiiiSB_iiiSB_iiii.uses_vcc, 1
	.set _ZL13mul_mat_vec_fI6__halffLi1ELi64ELb1ELb1EEvPKT_PKfPKi31ggml_cuda_mm_fusion_args_devicePfi15HIP_vector_typeIjLj3EEiiiSB_iiiSB_iiii.uses_flat_scratch, 0
	.set _ZL13mul_mat_vec_fI6__halffLi1ELi64ELb1ELb1EEvPKT_PKfPKi31ggml_cuda_mm_fusion_args_devicePfi15HIP_vector_typeIjLj3EEiiiSB_iiiSB_iiii.has_dyn_sized_stack, 0
	.set _ZL13mul_mat_vec_fI6__halffLi1ELi64ELb1ELb1EEvPKT_PKfPKi31ggml_cuda_mm_fusion_args_devicePfi15HIP_vector_typeIjLj3EEiiiSB_iiiSB_iiii.has_recursion, 0
	.set _ZL13mul_mat_vec_fI6__halffLi1ELi64ELb1ELb1EEvPKT_PKfPKi31ggml_cuda_mm_fusion_args_devicePfi15HIP_vector_typeIjLj3EEiiiSB_iiiSB_iiii.has_indirect_call, 0
	.section	.AMDGPU.csdata,"",@progbits
; Kernel info:
; codeLenInByte = 2148
; TotalNumSgprs: 42
; NumVgprs: 16
; ScratchSize: 0
; MemoryBound: 0
; FloatMode: 240
; IeeeMode: 1
; LDSByteSize: 0 bytes/workgroup (compile time only)
; SGPRBlocks: 0
; VGPRBlocks: 1
; NumSGPRsForWavesPerEU: 42
; NumVGPRsForWavesPerEU: 16
; Occupancy: 16
; WaveLimiterHint : 1
; COMPUTE_PGM_RSRC2:SCRATCH_EN: 0
; COMPUTE_PGM_RSRC2:USER_SGPR: 6
; COMPUTE_PGM_RSRC2:TRAP_HANDLER: 0
; COMPUTE_PGM_RSRC2:TGID_X_EN: 1
; COMPUTE_PGM_RSRC2:TGID_Y_EN: 1
; COMPUTE_PGM_RSRC2:TGID_Z_EN: 1
; COMPUTE_PGM_RSRC2:TIDIG_COMP_CNT: 0
	.section	.text._ZL13mul_mat_vec_fI6__halffLi1ELi64ELb0ELb1EEvPKT_PKfPKi31ggml_cuda_mm_fusion_args_devicePfi15HIP_vector_typeIjLj3EEiiiSB_iiiSB_iiii,"axG",@progbits,_ZL13mul_mat_vec_fI6__halffLi1ELi64ELb0ELb1EEvPKT_PKfPKi31ggml_cuda_mm_fusion_args_devicePfi15HIP_vector_typeIjLj3EEiiiSB_iiiSB_iiii,comdat
	.globl	_ZL13mul_mat_vec_fI6__halffLi1ELi64ELb0ELb1EEvPKT_PKfPKi31ggml_cuda_mm_fusion_args_devicePfi15HIP_vector_typeIjLj3EEiiiSB_iiiSB_iiii ; -- Begin function _ZL13mul_mat_vec_fI6__halffLi1ELi64ELb0ELb1EEvPKT_PKfPKi31ggml_cuda_mm_fusion_args_devicePfi15HIP_vector_typeIjLj3EEiiiSB_iiiSB_iiii
	.p2align	8
	.type	_ZL13mul_mat_vec_fI6__halffLi1ELi64ELb0ELb1EEvPKT_PKfPKi31ggml_cuda_mm_fusion_args_devicePfi15HIP_vector_typeIjLj3EEiiiSB_iiiSB_iiii,@function
_ZL13mul_mat_vec_fI6__halffLi1ELi64ELb0ELb1EEvPKT_PKfPKi31ggml_cuda_mm_fusion_args_devicePfi15HIP_vector_typeIjLj3EEiiiSB_iiiSB_iiii: ; @_ZL13mul_mat_vec_fI6__halffLi1ELi64ELb0ELb1EEvPKT_PKfPKi31ggml_cuda_mm_fusion_args_devicePfi15HIP_vector_typeIjLj3EEiiiSB_iiiSB_iiii
; %bb.0:
	s_clause 0x2
	s_load_dword s2, s[4:5], 0x8c
	s_load_dwordx2 s[0:1], s[4:5], 0x10
	s_load_dwordx8 s[12:19], s[4:5], 0x40
	v_cmp_gt_u32_e32 vcc_lo, 32, v0
	v_lshl_add_u32 v5, v0, 2, 0
	s_waitcnt lgkmcnt(0)
	s_mul_i32 s2, s2, s8
	s_add_i32 s2, s2, s7
	s_ashr_i32 s3, s2, 31
	s_lshl_b64 s[2:3], s[2:3], 2
	s_add_u32 s2, s0, s2
	s_addc_u32 s3, s1, s3
	s_and_saveexec_b32 s0, vcc_lo
; %bb.1:
	v_mov_b32_e32 v1, 0
	ds_write_b32 v5, v1
; %bb.2:
	s_or_b32 exec_lo, exec_lo, s0
	s_load_dwordx4 s[20:23], s[4:5], 0x68
	v_mov_b32_e32 v6, 0
	s_mov_b32 s9, exec_lo
	s_waitcnt lgkmcnt(0)
	s_barrier
	buffer_gl0_inv
	v_cmpx_gt_i32_e64 s12, v0
	s_cbranch_execz .LBB179_6
; %bb.3:
	s_load_dword s19, s[2:3], 0x0
	s_load_dwordx4 s[24:27], s[4:5], 0x0
	s_mul_hi_u32 s0, s13, s7
	s_mul_i32 s1, s8, s17
	s_add_i32 s0, s7, s0
	s_mul_i32 s2, s16, s6
	s_lshr_b32 s0, s0, s14
	v_lshlrev_b32_e32 v1, 3, v0
	s_mul_i32 s10, s0, s15
	s_lshl_b32 s0, s1, 1
	s_sub_i32 s10, s7, s10
	s_ashr_i32 s1, s0, 31
	s_mul_i32 s10, s10, s21
	s_ashr_i32 s3, s2, 31
	s_ashr_i32 s11, s10, 31
	s_lshl_b64 s[0:1], s[0:1], 2
	s_lshl_b64 s[10:11], s[10:11], 2
	v_lshlrev_b32_e32 v3, 2, v0
	v_mov_b32_e32 v6, 0
	v_mov_b32_e32 v7, v0
	s_waitcnt lgkmcnt(0)
	s_mul_i32 s14, s19, s20
	s_ashr_i32 s15, s14, 31
	s_add_u32 s10, s26, s10
	s_addc_u32 s11, s27, s11
	s_add_u32 s0, s10, s0
	s_addc_u32 s1, s11, s1
	v_add_co_u32 v1, s0, s0, v1
	v_add_co_ci_u32_e64 v2, null, s1, 0, s0
	s_lshl_b64 s[10:11], s[14:15], 1
	v_add_co_u32 v1, s0, v1, 4
	v_add_co_ci_u32_e64 v2, null, 0, v2, s0
	s_lshl_b64 s[0:1], s[2:3], 1
	s_add_u32 s2, s24, s10
	s_addc_u32 s3, s25, s11
	s_add_u32 s0, s2, s0
	s_addc_u32 s1, s3, s1
	v_add_co_u32 v3, s0, s0, v3
	v_add_co_ci_u32_e64 v4, null, s1, 0, s0
	s_mov_b32 s2, 0
	.p2align	6
.LBB179_4:                              ; =>This Inner Loop Header: Depth=1
	global_load_dword v10, v[3:4], off
	global_load_dwordx2 v[8:9], v[1:2], off offset:-4
	v_add_nc_u32_e32 v7, 64, v7
	v_add_co_u32 v1, s0, 0x200, v1
	v_add_co_ci_u32_e64 v2, null, 0, v2, s0
	v_add_co_u32 v3, s0, 0x100, v3
	v_cmp_le_i32_e64 s1, s12, v7
	v_add_co_ci_u32_e64 v4, null, 0, v4, s0
	s_or_b32 s2, s1, s2
	s_waitcnt vmcnt(0)
	v_fma_mix_f32 v6, v8, v10, v6 op_sel_hi:[0,1,0]
	v_fma_mix_f32 v6, v9, v10, v6 op_sel:[0,1,0] op_sel_hi:[0,1,0]
	s_andn2_b32 exec_lo, exec_lo, s2
	s_cbranch_execnz .LBB179_4
; %bb.5:
	s_or_b32 exec_lo, exec_lo, s2
.LBB179_6:
	s_or_b32 exec_lo, exec_lo, s9
	v_mbcnt_lo_u32_b32 v2, -1, 0
	v_xor_b32_e32 v1, 16, v2
	v_xor_b32_e32 v3, 8, v2
	v_cmp_gt_i32_e64 s0, 32, v1
	v_cndmask_b32_e64 v1, v2, v1, s0
	v_cmp_gt_i32_e64 s0, 32, v3
	v_lshlrev_b32_e32 v1, 2, v1
	v_cndmask_b32_e64 v3, v2, v3, s0
	ds_bpermute_b32 v4, v1, v6
	v_lshlrev_b32_e32 v3, 2, v3
	s_waitcnt lgkmcnt(0)
	v_add_f32_e32 v6, v6, v4
	v_xor_b32_e32 v4, 4, v2
	ds_bpermute_b32 v7, v3, v6
	v_cmp_gt_i32_e64 s0, 32, v4
	v_cndmask_b32_e64 v4, v2, v4, s0
	v_lshlrev_b32_e32 v4, 2, v4
	s_waitcnt lgkmcnt(0)
	v_add_f32_e32 v7, v6, v7
	v_xor_b32_e32 v6, 2, v2
	ds_bpermute_b32 v8, v4, v7
	v_cmp_gt_i32_e64 s0, 32, v6
	v_cndmask_b32_e64 v6, v2, v6, s0
	;; [unrolled: 7-line block ×3, first 2 shown]
	v_lshlrev_b32_e32 v7, 2, v2
	s_waitcnt lgkmcnt(0)
	v_add_f32_e32 v2, v8, v9
	v_lshrrev_b32_e32 v9, 3, v0
	ds_bpermute_b32 v8, v7, v2
	v_and_b32_e32 v9, 0x7c, v9
	v_add_nc_u32_e32 v9, 0, v9
	s_waitcnt lgkmcnt(0)
	v_add_f32_e32 v2, v2, v8
	ds_write_b32 v9, v2
	s_waitcnt lgkmcnt(0)
	s_barrier
	buffer_gl0_inv
	s_and_saveexec_b32 s0, vcc_lo
	s_cbranch_execz .LBB179_8
; %bb.7:
	ds_read_b32 v2, v5
	s_waitcnt lgkmcnt(0)
	ds_bpermute_b32 v1, v1, v2
	s_waitcnt lgkmcnt(0)
	v_add_f32_e32 v1, v2, v1
	ds_bpermute_b32 v2, v3, v1
	s_waitcnt lgkmcnt(0)
	v_add_f32_e32 v1, v1, v2
	;; [unrolled: 3-line block ×5, first 2 shown]
.LBB179_8:
	s_or_b32 exec_lo, exec_lo, s0
	s_barrier
	buffer_gl0_inv
	s_mov_b32 s0, exec_lo
	v_cmpx_eq_u32_e32 0, v0
	s_cbranch_execz .LBB179_10
; %bb.9:
	s_load_dwordx2 s[0:1], s[4:5], 0x38
	s_mul_i32 s2, s22, s7
	s_mul_i32 s4, s18, s8
	s_ashr_i32 s3, s2, 31
	v_mov_b32_e32 v0, 0
	s_lshl_b64 s[2:3], s[2:3], 2
	s_waitcnt lgkmcnt(0)
	s_add_u32 s2, s0, s2
	s_addc_u32 s3, s1, s3
	s_ashr_i32 s5, s4, 31
	s_lshl_b64 s[0:1], s[4:5], 2
	s_add_u32 s2, s2, s0
	s_addc_u32 s3, s3, s1
	s_ashr_i32 s7, s6, 31
	s_lshl_b64 s[0:1], s[6:7], 2
	s_add_u32 s0, s2, s0
	s_addc_u32 s1, s3, s1
	global_store_dword v0, v2, s[0:1]
.LBB179_10:
	s_endpgm
	.section	.rodata,"a",@progbits
	.p2align	6, 0x0
	.amdhsa_kernel _ZL13mul_mat_vec_fI6__halffLi1ELi64ELb0ELb1EEvPKT_PKfPKi31ggml_cuda_mm_fusion_args_devicePfi15HIP_vector_typeIjLj3EEiiiSB_iiiSB_iiii
		.amdhsa_group_segment_fixed_size 0
		.amdhsa_private_segment_fixed_size 0
		.amdhsa_kernarg_size 144
		.amdhsa_user_sgpr_count 6
		.amdhsa_user_sgpr_private_segment_buffer 1
		.amdhsa_user_sgpr_dispatch_ptr 0
		.amdhsa_user_sgpr_queue_ptr 0
		.amdhsa_user_sgpr_kernarg_segment_ptr 1
		.amdhsa_user_sgpr_dispatch_id 0
		.amdhsa_user_sgpr_flat_scratch_init 0
		.amdhsa_user_sgpr_private_segment_size 0
		.amdhsa_wavefront_size32 1
		.amdhsa_uses_dynamic_stack 0
		.amdhsa_system_sgpr_private_segment_wavefront_offset 0
		.amdhsa_system_sgpr_workgroup_id_x 1
		.amdhsa_system_sgpr_workgroup_id_y 1
		.amdhsa_system_sgpr_workgroup_id_z 1
		.amdhsa_system_sgpr_workgroup_info 0
		.amdhsa_system_vgpr_workitem_id 0
		.amdhsa_next_free_vgpr 11
		.amdhsa_next_free_sgpr 28
		.amdhsa_reserve_vcc 1
		.amdhsa_reserve_flat_scratch 0
		.amdhsa_float_round_mode_32 0
		.amdhsa_float_round_mode_16_64 0
		.amdhsa_float_denorm_mode_32 3
		.amdhsa_float_denorm_mode_16_64 3
		.amdhsa_dx10_clamp 1
		.amdhsa_ieee_mode 1
		.amdhsa_fp16_overflow 0
		.amdhsa_workgroup_processor_mode 1
		.amdhsa_memory_ordered 1
		.amdhsa_forward_progress 1
		.amdhsa_shared_vgpr_count 0
		.amdhsa_exception_fp_ieee_invalid_op 0
		.amdhsa_exception_fp_denorm_src 0
		.amdhsa_exception_fp_ieee_div_zero 0
		.amdhsa_exception_fp_ieee_overflow 0
		.amdhsa_exception_fp_ieee_underflow 0
		.amdhsa_exception_fp_ieee_inexact 0
		.amdhsa_exception_int_div_zero 0
	.end_amdhsa_kernel
	.section	.text._ZL13mul_mat_vec_fI6__halffLi1ELi64ELb0ELb1EEvPKT_PKfPKi31ggml_cuda_mm_fusion_args_devicePfi15HIP_vector_typeIjLj3EEiiiSB_iiiSB_iiii,"axG",@progbits,_ZL13mul_mat_vec_fI6__halffLi1ELi64ELb0ELb1EEvPKT_PKfPKi31ggml_cuda_mm_fusion_args_devicePfi15HIP_vector_typeIjLj3EEiiiSB_iiiSB_iiii,comdat
.Lfunc_end179:
	.size	_ZL13mul_mat_vec_fI6__halffLi1ELi64ELb0ELb1EEvPKT_PKfPKi31ggml_cuda_mm_fusion_args_devicePfi15HIP_vector_typeIjLj3EEiiiSB_iiiSB_iiii, .Lfunc_end179-_ZL13mul_mat_vec_fI6__halffLi1ELi64ELb0ELb1EEvPKT_PKfPKi31ggml_cuda_mm_fusion_args_devicePfi15HIP_vector_typeIjLj3EEiiiSB_iiiSB_iiii
                                        ; -- End function
	.set _ZL13mul_mat_vec_fI6__halffLi1ELi64ELb0ELb1EEvPKT_PKfPKi31ggml_cuda_mm_fusion_args_devicePfi15HIP_vector_typeIjLj3EEiiiSB_iiiSB_iiii.num_vgpr, 11
	.set _ZL13mul_mat_vec_fI6__halffLi1ELi64ELb0ELb1EEvPKT_PKfPKi31ggml_cuda_mm_fusion_args_devicePfi15HIP_vector_typeIjLj3EEiiiSB_iiiSB_iiii.num_agpr, 0
	.set _ZL13mul_mat_vec_fI6__halffLi1ELi64ELb0ELb1EEvPKT_PKfPKi31ggml_cuda_mm_fusion_args_devicePfi15HIP_vector_typeIjLj3EEiiiSB_iiiSB_iiii.numbered_sgpr, 28
	.set _ZL13mul_mat_vec_fI6__halffLi1ELi64ELb0ELb1EEvPKT_PKfPKi31ggml_cuda_mm_fusion_args_devicePfi15HIP_vector_typeIjLj3EEiiiSB_iiiSB_iiii.num_named_barrier, 0
	.set _ZL13mul_mat_vec_fI6__halffLi1ELi64ELb0ELb1EEvPKT_PKfPKi31ggml_cuda_mm_fusion_args_devicePfi15HIP_vector_typeIjLj3EEiiiSB_iiiSB_iiii.private_seg_size, 0
	.set _ZL13mul_mat_vec_fI6__halffLi1ELi64ELb0ELb1EEvPKT_PKfPKi31ggml_cuda_mm_fusion_args_devicePfi15HIP_vector_typeIjLj3EEiiiSB_iiiSB_iiii.uses_vcc, 1
	.set _ZL13mul_mat_vec_fI6__halffLi1ELi64ELb0ELb1EEvPKT_PKfPKi31ggml_cuda_mm_fusion_args_devicePfi15HIP_vector_typeIjLj3EEiiiSB_iiiSB_iiii.uses_flat_scratch, 0
	.set _ZL13mul_mat_vec_fI6__halffLi1ELi64ELb0ELb1EEvPKT_PKfPKi31ggml_cuda_mm_fusion_args_devicePfi15HIP_vector_typeIjLj3EEiiiSB_iiiSB_iiii.has_dyn_sized_stack, 0
	.set _ZL13mul_mat_vec_fI6__halffLi1ELi64ELb0ELb1EEvPKT_PKfPKi31ggml_cuda_mm_fusion_args_devicePfi15HIP_vector_typeIjLj3EEiiiSB_iiiSB_iiii.has_recursion, 0
	.set _ZL13mul_mat_vec_fI6__halffLi1ELi64ELb0ELb1EEvPKT_PKfPKi31ggml_cuda_mm_fusion_args_devicePfi15HIP_vector_typeIjLj3EEiiiSB_iiiSB_iiii.has_indirect_call, 0
	.section	.AMDGPU.csdata,"",@progbits
; Kernel info:
; codeLenInByte = 952
; TotalNumSgprs: 30
; NumVgprs: 11
; ScratchSize: 0
; MemoryBound: 0
; FloatMode: 240
; IeeeMode: 1
; LDSByteSize: 0 bytes/workgroup (compile time only)
; SGPRBlocks: 0
; VGPRBlocks: 1
; NumSGPRsForWavesPerEU: 30
; NumVGPRsForWavesPerEU: 11
; Occupancy: 16
; WaveLimiterHint : 1
; COMPUTE_PGM_RSRC2:SCRATCH_EN: 0
; COMPUTE_PGM_RSRC2:USER_SGPR: 6
; COMPUTE_PGM_RSRC2:TRAP_HANDLER: 0
; COMPUTE_PGM_RSRC2:TGID_X_EN: 1
; COMPUTE_PGM_RSRC2:TGID_Y_EN: 1
; COMPUTE_PGM_RSRC2:TGID_Z_EN: 1
; COMPUTE_PGM_RSRC2:TIDIG_COMP_CNT: 0
	.section	.text._ZL13mul_mat_vec_fI6__halffLi1ELi96ELb1ELb1EEvPKT_PKfPKi31ggml_cuda_mm_fusion_args_devicePfi15HIP_vector_typeIjLj3EEiiiSB_iiiSB_iiii,"axG",@progbits,_ZL13mul_mat_vec_fI6__halffLi1ELi96ELb1ELb1EEvPKT_PKfPKi31ggml_cuda_mm_fusion_args_devicePfi15HIP_vector_typeIjLj3EEiiiSB_iiiSB_iiii,comdat
	.globl	_ZL13mul_mat_vec_fI6__halffLi1ELi96ELb1ELb1EEvPKT_PKfPKi31ggml_cuda_mm_fusion_args_devicePfi15HIP_vector_typeIjLj3EEiiiSB_iiiSB_iiii ; -- Begin function _ZL13mul_mat_vec_fI6__halffLi1ELi96ELb1ELb1EEvPKT_PKfPKi31ggml_cuda_mm_fusion_args_devicePfi15HIP_vector_typeIjLj3EEiiiSB_iiiSB_iiii
	.p2align	8
	.type	_ZL13mul_mat_vec_fI6__halffLi1ELi96ELb1ELb1EEvPKT_PKfPKi31ggml_cuda_mm_fusion_args_devicePfi15HIP_vector_typeIjLj3EEiiiSB_iiiSB_iiii,@function
_ZL13mul_mat_vec_fI6__halffLi1ELi96ELb1ELb1EEvPKT_PKfPKi31ggml_cuda_mm_fusion_args_devicePfi15HIP_vector_typeIjLj3EEiiiSB_iiiSB_iiii: ; @_ZL13mul_mat_vec_fI6__halffLi1ELi96ELb1ELb1EEvPKT_PKfPKi31ggml_cuda_mm_fusion_args_devicePfi15HIP_vector_typeIjLj3EEiiiSB_iiiSB_iiii
; %bb.0:
	s_clause 0x3
	s_load_dword s1, s[4:5], 0x8c
	s_load_dwordx8 s[20:27], s[4:5], 0x0
	s_load_dwordx4 s[36:39], s[4:5], 0x20
	s_load_dwordx8 s[12:19], s[4:5], 0x40
	v_lshl_add_u32 v8, v0, 2, 0
	s_mov_b32 s0, s7
	s_waitcnt lgkmcnt(0)
	s_mul_i32 s1, s1, s8
	s_add_i32 s2, s1, s7
	s_ashr_i32 s3, s2, 31
	s_lshl_b64 s[2:3], s[2:3], 2
	s_add_u32 s10, s24, s2
	s_addc_u32 s11, s25, s3
	s_cmp_lg_u64 s[36:37], 0
	v_cmp_gt_u32_e64 s2, 32, v0
	s_cselect_b32 s1, -1, 0
	s_cmp_eq_u64 s[36:37], 0
	s_cselect_b32 s19, -1, 0
	s_and_saveexec_b32 s3, s2
	s_cbranch_execz .LBB180_3
; %bb.1:
	v_mov_b32_e32 v1, 0
	s_andn2_b32 vcc_lo, exec_lo, s1
	ds_write_b32 v8, v1
	s_cbranch_vccnz .LBB180_3
; %bb.2:
	ds_write_b32 v8, v1 offset:128
.LBB180_3:
	s_or_b32 exec_lo, exec_lo, s3
	s_load_dword s7, s[10:11], 0x0
	s_load_dwordx4 s[28:31], s[4:5], 0x68
	v_mov_b32_e32 v7, 0
	v_mov_b32_e32 v9, 0
	s_mov_b32 s9, exec_lo
	s_waitcnt lgkmcnt(0)
	s_barrier
	buffer_gl0_inv
	v_cmpx_gt_i32_e64 s12, v0
	s_cbranch_execz .LBB180_10
; %bb.4:
	s_mul_hi_u32 s3, s13, s0
	s_mul_i32 s10, s7, s28
	s_add_i32 s3, s0, s3
	s_mul_i32 s11, s16, s6
	s_lshr_b32 s3, s3, s14
	s_ashr_i32 s13, s10, 31
	s_mul_i32 s3, s3, s15
	s_ashr_i32 s14, s11, 31
	s_sub_i32 s3, s0, s3
	s_add_u32 s10, s10, s11
	s_addc_u32 s11, s13, s14
	s_mul_i32 s13, s8, s17
	s_mul_i32 s14, s3, s29
	s_lshl_b32 s16, s13, 1
	s_ashr_i32 s15, s14, 31
	s_ashr_i32 s17, s16, 31
	s_and_b32 s3, s1, exec_lo
	s_cselect_b32 s29, s11, 0
	s_cselect_b32 s28, s10, 0
	v_lshlrev_b32_e32 v5, 2, v0
	s_cselect_b32 s3, s37, 0
	s_cselect_b32 s13, s36, 0
	s_lshl_b64 s[28:29], s[28:29], 1
	v_lshlrev_b32_e32 v3, 3, v0
	s_add_u32 s13, s13, s28
	s_addc_u32 s3, s3, s29
	v_add_co_u32 v1, s13, s13, v5
	s_lshl_b64 s[14:15], s[14:15], 2
	s_lshl_b64 s[16:17], s[16:17], 2
	v_add_co_ci_u32_e64 v2, null, s3, 0, s13
	s_add_u32 s3, s22, s14
	s_addc_u32 s13, s23, s15
	s_add_u32 s3, s3, s16
	s_addc_u32 s13, s13, s17
	v_add_co_u32 v3, s3, s3, v3
	s_lshl_b64 s[10:11], s[10:11], 1
	v_add_co_ci_u32_e64 v4, null, s13, 0, s3
	s_add_u32 s3, s20, s10
	v_add_co_u32 v3, vcc_lo, v3, 4
	s_addc_u32 s10, s21, s11
	v_add_co_u32 v5, s3, s3, v5
	v_mov_b32_e32 v7, 0
	v_add_co_ci_u32_e64 v4, null, 0, v4, vcc_lo
	v_add_co_ci_u32_e64 v6, null, s10, 0, s3
	v_mov_b32_e32 v10, v0
	v_mov_b32_e32 v9, 0
	s_mov_b32 s10, 0
	s_inst_prefetch 0x1
	s_branch .LBB180_7
	.p2align	6
.LBB180_5:                              ;   in Loop: Header=BB180_7 Depth=1
	global_load_dword v12, v[1:2], off
	s_waitcnt vmcnt(0)
	v_cvt_f32_f16_e32 v13, v12
	v_cvt_f32_f16_sdwa v12, v12 dst_sel:DWORD dst_unused:UNUSED_PAD src0_sel:WORD_1
.LBB180_6:                              ;   in Loop: Header=BB180_7 Depth=1
	global_load_dwordx2 v[14:15], v[3:4], off offset:-4
	v_add_nc_u32_e32 v10, 0x60, v10
	v_add_co_u32 v1, vcc_lo, 0x180, v1
	v_add_co_ci_u32_e64 v2, null, 0, v2, vcc_lo
	v_add_co_u32 v3, vcc_lo, 0x300, v3
	v_add_co_ci_u32_e64 v4, null, 0, v4, vcc_lo
	v_cmp_le_i32_e32 vcc_lo, s12, v10
	v_add_co_u32 v5, s3, 0x180, v5
	v_add_co_ci_u32_e64 v6, null, 0, v6, s3
	s_or_b32 s10, vcc_lo, s10
	s_waitcnt vmcnt(0)
	v_fma_f32 v13, v14, v13, v7
	v_fma_mix_f32 v9, v14, v11, v9 op_sel_hi:[0,1,0]
	v_fmac_f32_e32 v13, v15, v12
	v_fma_mix_f32 v9, v15, v11, v9 op_sel:[0,1,0] op_sel_hi:[0,1,0]
	v_cndmask_b32_e64 v7, v7, v13, s1
	s_andn2_b32 exec_lo, exec_lo, s10
	s_cbranch_execz .LBB180_9
.LBB180_7:                              ; =>This Inner Loop Header: Depth=1
	global_load_dword v11, v[5:6], off
	s_andn2_b32 vcc_lo, exec_lo, s1
	s_cbranch_vccz .LBB180_5
; %bb.8:                                ;   in Loop: Header=BB180_7 Depth=1
	v_mov_b32_e32 v12, 0
	v_mov_b32_e32 v13, 0
	s_branch .LBB180_6
.LBB180_9:
	s_inst_prefetch 0x2
	s_or_b32 exec_lo, exec_lo, s10
.LBB180_10:
	s_or_b32 exec_lo, exec_lo, s9
	v_mbcnt_lo_u32_b32 v1, -1, 0
	s_load_dword s9, s[4:5], 0x30
	s_mov_b32 s3, -1
	v_xor_b32_e32 v2, 16, v1
	v_xor_b32_e32 v3, 8, v1
	v_cmp_gt_i32_e32 vcc_lo, 32, v2
	v_cndmask_b32_e32 v2, v1, v2, vcc_lo
	v_cmp_gt_i32_e32 vcc_lo, 32, v3
	v_lshlrev_b32_e32 v2, 2, v2
	v_cndmask_b32_e32 v3, v1, v3, vcc_lo
	ds_bpermute_b32 v4, v2, v9
	v_lshlrev_b32_e32 v3, 2, v3
	s_waitcnt lgkmcnt(0)
	v_add_f32_e32 v5, v9, v4
	v_xor_b32_e32 v4, 4, v1
	ds_bpermute_b32 v6, v3, v5
	v_cmp_gt_i32_e32 vcc_lo, 32, v4
	v_cndmask_b32_e32 v4, v1, v4, vcc_lo
	v_lshlrev_b32_e32 v4, 2, v4
	s_waitcnt lgkmcnt(0)
	v_add_f32_e32 v6, v5, v6
	v_xor_b32_e32 v5, 2, v1
	ds_bpermute_b32 v9, v4, v6
	v_cmp_gt_i32_e32 vcc_lo, 32, v5
	v_cndmask_b32_e32 v5, v1, v5, vcc_lo
	v_lshlrev_b32_e32 v5, 2, v5
	s_waitcnt lgkmcnt(0)
	v_add_f32_e32 v9, v6, v9
	v_xor_b32_e32 v6, 1, v1
	ds_bpermute_b32 v10, v5, v9
	v_cmp_gt_i32_e32 vcc_lo, 32, v6
	v_cndmask_b32_e32 v1, v1, v6, vcc_lo
	s_and_b32 vcc_lo, exec_lo, s19
	v_lshlrev_b32_e32 v6, 2, v1
	s_waitcnt lgkmcnt(0)
	v_add_f32_e32 v1, v9, v10
	v_lshrrev_b32_e32 v10, 5, v0
	ds_bpermute_b32 v9, v6, v1
	s_waitcnt lgkmcnt(0)
	v_add_f32_e32 v1, v1, v9
	v_lshl_add_u32 v9, v10, 2, 0
	s_cbranch_vccz .LBB180_12
; %bb.11:
	s_mov_b32 s3, 0
	ds_write_b32 v9, v1
.LBB180_12:
	s_andn2_b32 vcc_lo, exec_lo, s3
	s_cbranch_vccnz .LBB180_14
; %bb.13:
	ds_bpermute_b32 v10, v2, v7
	s_waitcnt lgkmcnt(0)
	v_add_f32_e32 v7, v7, v10
	ds_bpermute_b32 v10, v3, v7
	s_waitcnt lgkmcnt(0)
	v_add_f32_e32 v7, v7, v10
	;; [unrolled: 3-line block ×5, first 2 shown]
	ds_write2_b32 v9, v1, v7 offset1:32
.LBB180_14:
	s_waitcnt lgkmcnt(0)
	s_barrier
	buffer_gl0_inv
	s_and_saveexec_b32 s3, s2
	s_cbranch_execz .LBB180_18
; %bb.15:
	ds_read_b32 v1, v8
	s_andn2_b32 vcc_lo, exec_lo, s1
	s_waitcnt lgkmcnt(0)
	ds_bpermute_b32 v9, v2, v1
	s_waitcnt lgkmcnt(0)
	v_add_f32_e32 v1, v1, v9
	ds_bpermute_b32 v9, v3, v1
	s_waitcnt lgkmcnt(0)
	v_add_f32_e32 v1, v1, v9
	;; [unrolled: 3-line block ×4, first 2 shown]
	ds_bpermute_b32 v9, v6, v1
	s_cbranch_vccnz .LBB180_17
; %bb.16:
	ds_read_b32 v7, v8 offset:128
	s_waitcnt lgkmcnt(0)
	ds_bpermute_b32 v2, v2, v7
	s_waitcnt lgkmcnt(0)
	v_add_f32_e32 v2, v7, v2
	ds_bpermute_b32 v3, v3, v2
	s_waitcnt lgkmcnt(0)
	v_add_f32_e32 v2, v2, v3
	;; [unrolled: 3-line block ×5, first 2 shown]
.LBB180_17:
	s_waitcnt lgkmcnt(0)
	v_add_f32_e32 v1, v1, v9
.LBB180_18:
	s_or_b32 exec_lo, exec_lo, s3
	s_barrier
	buffer_gl0_inv
	s_mov_b32 s2, exec_lo
	v_cmpx_eq_u32_e32 0, v0
	s_cbranch_execz .LBB180_42
; %bb.19:
	s_cmp_eq_u64 s[26:27], 0
	s_cselect_b32 s10, -1, 0
	s_cmp_eq_u64 s[24:25], 0
	s_cselect_b32 s2, s0, s7
	s_mul_i32 s2, s2, s30
	s_ashr_i32 s3, s2, 31
	s_and_b32 vcc_lo, exec_lo, s10
	s_cbranch_vccnz .LBB180_21
; %bb.20:
	s_cselect_b32 s7, 0, s27
	s_cselect_b32 s12, 0, s26
	s_lshl_b64 s[10:11], s[2:3], 2
	s_add_u32 s12, s12, s10
	s_addc_u32 s13, s7, s11
	s_ashr_i32 s7, s6, 31
	s_lshl_b64 s[10:11], s[6:7], 2
	s_add_u32 s10, s12, s10
	s_addc_u32 s11, s13, s11
	s_load_dword s7, s[10:11], 0x0
	s_waitcnt lgkmcnt(0)
	v_add_f32_e32 v1, s7, v1
.LBB180_21:
	s_andn2_b32 vcc_lo, exec_lo, s1
	s_cbranch_vccnz .LBB180_41
; %bb.22:
	s_cmp_lg_u64 s[38:39], 0
	s_cselect_b32 s7, -1, 0
	s_and_b32 s1, s7, s1
	s_andn2_b32 vcc_lo, exec_lo, s1
	s_cbranch_vccnz .LBB180_24
; %bb.23:
	s_and_b32 s7, s7, exec_lo
	s_cselect_b32 s7, s39, 0
	s_cselect_b32 s10, s38, 0
	s_and_b32 s1, s1, exec_lo
	s_cselect_b32 s3, s3, 0
	s_cselect_b32 s2, s2, 0
	s_lshl_b64 s[2:3], s[2:3], 2
	s_add_u32 s1, s10, s2
	s_addc_u32 s10, s7, s3
	s_ashr_i32 s7, s6, 31
	s_lshl_b64 s[2:3], s[6:7], 2
	s_add_u32 s2, s1, s2
	s_addc_u32 s3, s10, s3
	s_load_dword s1, s[2:3], 0x0
	s_waitcnt lgkmcnt(0)
	v_add_f32_e32 v7, s1, v7
.LBB180_24:
	s_cmp_lt_i32 s9, 2
	s_cbranch_scc1 .LBB180_29
; %bb.25:
	s_cmp_lt_i32 s9, 3
	s_cbranch_scc1 .LBB180_30
; %bb.26:
	v_mov_b32_e32 v0, v1
	s_cmp_eq_u32 s9, 3
	s_cbranch_scc0 .LBB180_28
; %bb.27:
	v_max_f32_e32 v0, v7, v7
	v_min_f32_e32 v0, 0x40e00000, v0
	v_mul_f32_e32 v2, 0xbfd9db23, v0
	v_mul_f32_e32 v3, 0x3fb8aa3b, v2
	v_cmp_ngt_f32_e32 vcc_lo, 0xc2ce8ed0, v2
	v_fma_f32 v4, 0x3fb8aa3b, v2, -v3
	v_rndne_f32_e32 v5, v3
	v_fmamk_f32 v4, v2, 0x32a5705f, v4
	v_sub_f32_e32 v3, v3, v5
	v_add_f32_e32 v3, v3, v4
	v_cvt_i32_f32_e32 v4, v5
	v_exp_f32_e32 v3, v3
	v_ldexp_f32 v3, v3, v4
	v_cndmask_b32_e32 v3, 0, v3, vcc_lo
	v_cmp_nlt_f32_e32 vcc_lo, 0x42b17218, v2
	v_cndmask_b32_e32 v2, 0x7f800000, v3, vcc_lo
	v_add_f32_e32 v2, 1.0, v2
	v_div_scale_f32 v3, null, v2, v2, v0
	v_div_scale_f32 v6, vcc_lo, v0, v2, v0
	v_rcp_f32_e32 v4, v3
	v_fma_f32 v5, -v3, v4, 1.0
	v_fmac_f32_e32 v4, v5, v4
	v_mul_f32_e32 v5, v6, v4
	v_fma_f32 v8, -v3, v5, v6
	v_fmac_f32_e32 v5, v8, v4
	v_max_f32_e32 v8, v1, v1
	v_fma_f32 v3, -v3, v5, v6
	v_min_f32_e32 v6, 0x40e00000, v8
	v_div_fmas_f32 v3, v3, v4, v5
	v_max_f32_e32 v4, 0xc0e00000, v6
	v_div_fixup_f32 v0, v3, v2, v0
	v_add_f32_e32 v2, 1.0, v4
	v_mul_f32_e32 v0, v2, v0
.LBB180_28:
	s_cbranch_execz .LBB180_31
	s_branch .LBB180_32
.LBB180_29:
                                        ; implicit-def: $vgpr0
	s_branch .LBB180_33
.LBB180_30:
                                        ; implicit-def: $vgpr0
.LBB180_31:
	v_mul_f32_e32 v0, 0xbfb8aa3b, v7
	v_cmp_nlt_f32_e32 vcc_lo, 0x42ce8ed0, v7
	v_rndne_f32_e32 v2, v0
	v_fma_f32 v3, 0xbfb8aa3b, v7, -v0
	v_sub_f32_e32 v0, v0, v2
	v_fmamk_f32 v3, v7, 0xb2a5705f, v3
	v_cvt_i32_f32_e32 v2, v2
	v_add_f32_e32 v0, v0, v3
	v_exp_f32_e32 v0, v0
	v_ldexp_f32 v0, v0, v2
	v_cndmask_b32_e32 v0, 0, v0, vcc_lo
	v_cmp_ngt_f32_e32 vcc_lo, 0xc2b17218, v7
	v_cndmask_b32_e32 v0, 0x7f800000, v0, vcc_lo
	v_add_f32_e32 v0, 1.0, v0
	v_div_scale_f32 v2, null, v0, v0, v7
	v_rcp_f32_e32 v3, v2
	v_fma_f32 v4, -v2, v3, 1.0
	v_fmac_f32_e32 v3, v4, v3
	v_div_scale_f32 v4, vcc_lo, v7, v0, v7
	v_mul_f32_e32 v5, v4, v3
	v_fma_f32 v6, -v2, v5, v4
	v_fmac_f32_e32 v5, v6, v3
	v_fma_f32 v2, -v2, v5, v4
	v_div_fmas_f32 v2, v2, v3, v5
	v_div_fixup_f32 v0, v2, v0, v7
	v_mul_f32_e32 v0, v1, v0
.LBB180_32:
	s_cbranch_execnz .LBB180_40
.LBB180_33:
	s_cmp_eq_u32 s9, 1
	s_cbranch_scc0 .LBB180_39
; %bb.34:
	v_mul_f32_e32 v0, 0x3d372713, v7
	v_mul_f32_e32 v2, 0x3f4c422a, v7
	v_fma_f32 v0, v7, v0, 1.0
	v_mul_f32_e32 v0, v2, v0
                                        ; implicit-def: $vgpr2
	v_cmp_ngt_f32_e64 s1, 0x3f200000, |v0|
	s_and_saveexec_b32 s2, s1
	s_xor_b32 s1, exec_lo, s2
	s_cbranch_execz .LBB180_36
; %bb.35:
	v_add_f32_e64 v2, |v0|, |v0|
	v_mul_f32_e32 v3, 0x3fb8aa3b, v2
	v_cmp_ngt_f32_e32 vcc_lo, 0xc2ce8ed0, v2
	v_rndne_f32_e32 v4, v3
	v_fma_f32 v5, 0x3fb8aa3b, v2, -v3
	v_sub_f32_e32 v3, v3, v4
	v_fmamk_f32 v5, v2, 0x32a5705f, v5
	v_cvt_i32_f32_e32 v4, v4
	v_add_f32_e32 v3, v3, v5
	v_exp_f32_e32 v3, v3
	v_ldexp_f32 v3, v3, v4
	v_cndmask_b32_e32 v3, 0, v3, vcc_lo
	v_cmp_nlt_f32_e32 vcc_lo, 0x42b17218, v2
	v_cndmask_b32_e32 v2, 0x7f800000, v3, vcc_lo
	v_add_f32_e32 v2, 1.0, v2
	v_rcp_f32_e32 v2, v2
	v_fma_f32 v2, v2, -2.0, 1.0
.LBB180_36:
	s_andn2_saveexec_b32 s1, s1
	s_cbranch_execz .LBB180_38
; %bb.37:
	v_mul_f32_e32 v2, v0, v0
	s_mov_b32 s2, 0xbbbac73d
	v_fmaak_f32 v3, s2, v2, 0x3ca908c9
	v_fmaak_f32 v3, v2, v3, 0xbd5c1c4e
	;; [unrolled: 1-line block ×4, first 2 shown]
	v_mul_f32_e64 v3, |v0|, v3
	v_fma_f32 v2, v2, v3, |v0|
.LBB180_38:
	s_or_b32 exec_lo, exec_lo, s1
	v_bfi_b32 v0, 0x7fffffff, v2, v0
	v_mul_f32_e32 v2, 0.5, v7
	v_add_f32_e32 v0, 1.0, v0
	v_mul_f32_e32 v0, v2, v0
	v_mul_f32_e32 v1, v1, v0
.LBB180_39:
	v_mov_b32_e32 v0, v1
.LBB180_40:
	v_mov_b32_e32 v1, v0
.LBB180_41:
	s_load_dwordx2 s[2:3], s[4:5], 0x38
	s_mul_i32 s0, s30, s0
	s_mul_i32 s4, s18, s8
	s_ashr_i32 s1, s0, 31
	v_mov_b32_e32 v0, 0
	s_lshl_b64 s[0:1], s[0:1], 2
	s_waitcnt lgkmcnt(0)
	s_add_u32 s2, s2, s0
	s_addc_u32 s3, s3, s1
	s_ashr_i32 s5, s4, 31
	s_lshl_b64 s[0:1], s[4:5], 2
	s_add_u32 s2, s2, s0
	s_addc_u32 s3, s3, s1
	s_ashr_i32 s7, s6, 31
	s_lshl_b64 s[0:1], s[6:7], 2
	s_add_u32 s0, s2, s0
	s_addc_u32 s1, s3, s1
	global_store_dword v0, v1, s[0:1]
.LBB180_42:
	s_endpgm
	.section	.rodata,"a",@progbits
	.p2align	6, 0x0
	.amdhsa_kernel _ZL13mul_mat_vec_fI6__halffLi1ELi96ELb1ELb1EEvPKT_PKfPKi31ggml_cuda_mm_fusion_args_devicePfi15HIP_vector_typeIjLj3EEiiiSB_iiiSB_iiii
		.amdhsa_group_segment_fixed_size 0
		.amdhsa_private_segment_fixed_size 0
		.amdhsa_kernarg_size 144
		.amdhsa_user_sgpr_count 6
		.amdhsa_user_sgpr_private_segment_buffer 1
		.amdhsa_user_sgpr_dispatch_ptr 0
		.amdhsa_user_sgpr_queue_ptr 0
		.amdhsa_user_sgpr_kernarg_segment_ptr 1
		.amdhsa_user_sgpr_dispatch_id 0
		.amdhsa_user_sgpr_flat_scratch_init 0
		.amdhsa_user_sgpr_private_segment_size 0
		.amdhsa_wavefront_size32 1
		.amdhsa_uses_dynamic_stack 0
		.amdhsa_system_sgpr_private_segment_wavefront_offset 0
		.amdhsa_system_sgpr_workgroup_id_x 1
		.amdhsa_system_sgpr_workgroup_id_y 1
		.amdhsa_system_sgpr_workgroup_id_z 1
		.amdhsa_system_sgpr_workgroup_info 0
		.amdhsa_system_vgpr_workitem_id 0
		.amdhsa_next_free_vgpr 16
		.amdhsa_next_free_sgpr 40
		.amdhsa_reserve_vcc 1
		.amdhsa_reserve_flat_scratch 0
		.amdhsa_float_round_mode_32 0
		.amdhsa_float_round_mode_16_64 0
		.amdhsa_float_denorm_mode_32 3
		.amdhsa_float_denorm_mode_16_64 3
		.amdhsa_dx10_clamp 1
		.amdhsa_ieee_mode 1
		.amdhsa_fp16_overflow 0
		.amdhsa_workgroup_processor_mode 1
		.amdhsa_memory_ordered 1
		.amdhsa_forward_progress 1
		.amdhsa_shared_vgpr_count 0
		.amdhsa_exception_fp_ieee_invalid_op 0
		.amdhsa_exception_fp_denorm_src 0
		.amdhsa_exception_fp_ieee_div_zero 0
		.amdhsa_exception_fp_ieee_overflow 0
		.amdhsa_exception_fp_ieee_underflow 0
		.amdhsa_exception_fp_ieee_inexact 0
		.amdhsa_exception_int_div_zero 0
	.end_amdhsa_kernel
	.section	.text._ZL13mul_mat_vec_fI6__halffLi1ELi96ELb1ELb1EEvPKT_PKfPKi31ggml_cuda_mm_fusion_args_devicePfi15HIP_vector_typeIjLj3EEiiiSB_iiiSB_iiii,"axG",@progbits,_ZL13mul_mat_vec_fI6__halffLi1ELi96ELb1ELb1EEvPKT_PKfPKi31ggml_cuda_mm_fusion_args_devicePfi15HIP_vector_typeIjLj3EEiiiSB_iiiSB_iiii,comdat
.Lfunc_end180:
	.size	_ZL13mul_mat_vec_fI6__halffLi1ELi96ELb1ELb1EEvPKT_PKfPKi31ggml_cuda_mm_fusion_args_devicePfi15HIP_vector_typeIjLj3EEiiiSB_iiiSB_iiii, .Lfunc_end180-_ZL13mul_mat_vec_fI6__halffLi1ELi96ELb1ELb1EEvPKT_PKfPKi31ggml_cuda_mm_fusion_args_devicePfi15HIP_vector_typeIjLj3EEiiiSB_iiiSB_iiii
                                        ; -- End function
	.set _ZL13mul_mat_vec_fI6__halffLi1ELi96ELb1ELb1EEvPKT_PKfPKi31ggml_cuda_mm_fusion_args_devicePfi15HIP_vector_typeIjLj3EEiiiSB_iiiSB_iiii.num_vgpr, 16
	.set _ZL13mul_mat_vec_fI6__halffLi1ELi96ELb1ELb1EEvPKT_PKfPKi31ggml_cuda_mm_fusion_args_devicePfi15HIP_vector_typeIjLj3EEiiiSB_iiiSB_iiii.num_agpr, 0
	.set _ZL13mul_mat_vec_fI6__halffLi1ELi96ELb1ELb1EEvPKT_PKfPKi31ggml_cuda_mm_fusion_args_devicePfi15HIP_vector_typeIjLj3EEiiiSB_iiiSB_iiii.numbered_sgpr, 40
	.set _ZL13mul_mat_vec_fI6__halffLi1ELi96ELb1ELb1EEvPKT_PKfPKi31ggml_cuda_mm_fusion_args_devicePfi15HIP_vector_typeIjLj3EEiiiSB_iiiSB_iiii.num_named_barrier, 0
	.set _ZL13mul_mat_vec_fI6__halffLi1ELi96ELb1ELb1EEvPKT_PKfPKi31ggml_cuda_mm_fusion_args_devicePfi15HIP_vector_typeIjLj3EEiiiSB_iiiSB_iiii.private_seg_size, 0
	.set _ZL13mul_mat_vec_fI6__halffLi1ELi96ELb1ELb1EEvPKT_PKfPKi31ggml_cuda_mm_fusion_args_devicePfi15HIP_vector_typeIjLj3EEiiiSB_iiiSB_iiii.uses_vcc, 1
	.set _ZL13mul_mat_vec_fI6__halffLi1ELi96ELb1ELb1EEvPKT_PKfPKi31ggml_cuda_mm_fusion_args_devicePfi15HIP_vector_typeIjLj3EEiiiSB_iiiSB_iiii.uses_flat_scratch, 0
	.set _ZL13mul_mat_vec_fI6__halffLi1ELi96ELb1ELb1EEvPKT_PKfPKi31ggml_cuda_mm_fusion_args_devicePfi15HIP_vector_typeIjLj3EEiiiSB_iiiSB_iiii.has_dyn_sized_stack, 0
	.set _ZL13mul_mat_vec_fI6__halffLi1ELi96ELb1ELb1EEvPKT_PKfPKi31ggml_cuda_mm_fusion_args_devicePfi15HIP_vector_typeIjLj3EEiiiSB_iiiSB_iiii.has_recursion, 0
	.set _ZL13mul_mat_vec_fI6__halffLi1ELi96ELb1ELb1EEvPKT_PKfPKi31ggml_cuda_mm_fusion_args_devicePfi15HIP_vector_typeIjLj3EEiiiSB_iiiSB_iiii.has_indirect_call, 0
	.section	.AMDGPU.csdata,"",@progbits
; Kernel info:
; codeLenInByte = 2152
; TotalNumSgprs: 42
; NumVgprs: 16
; ScratchSize: 0
; MemoryBound: 0
; FloatMode: 240
; IeeeMode: 1
; LDSByteSize: 0 bytes/workgroup (compile time only)
; SGPRBlocks: 0
; VGPRBlocks: 1
; NumSGPRsForWavesPerEU: 42
; NumVGPRsForWavesPerEU: 16
; Occupancy: 16
; WaveLimiterHint : 1
; COMPUTE_PGM_RSRC2:SCRATCH_EN: 0
; COMPUTE_PGM_RSRC2:USER_SGPR: 6
; COMPUTE_PGM_RSRC2:TRAP_HANDLER: 0
; COMPUTE_PGM_RSRC2:TGID_X_EN: 1
; COMPUTE_PGM_RSRC2:TGID_Y_EN: 1
; COMPUTE_PGM_RSRC2:TGID_Z_EN: 1
; COMPUTE_PGM_RSRC2:TIDIG_COMP_CNT: 0
	.section	.text._ZL13mul_mat_vec_fI6__halffLi1ELi96ELb0ELb1EEvPKT_PKfPKi31ggml_cuda_mm_fusion_args_devicePfi15HIP_vector_typeIjLj3EEiiiSB_iiiSB_iiii,"axG",@progbits,_ZL13mul_mat_vec_fI6__halffLi1ELi96ELb0ELb1EEvPKT_PKfPKi31ggml_cuda_mm_fusion_args_devicePfi15HIP_vector_typeIjLj3EEiiiSB_iiiSB_iiii,comdat
	.globl	_ZL13mul_mat_vec_fI6__halffLi1ELi96ELb0ELb1EEvPKT_PKfPKi31ggml_cuda_mm_fusion_args_devicePfi15HIP_vector_typeIjLj3EEiiiSB_iiiSB_iiii ; -- Begin function _ZL13mul_mat_vec_fI6__halffLi1ELi96ELb0ELb1EEvPKT_PKfPKi31ggml_cuda_mm_fusion_args_devicePfi15HIP_vector_typeIjLj3EEiiiSB_iiiSB_iiii
	.p2align	8
	.type	_ZL13mul_mat_vec_fI6__halffLi1ELi96ELb0ELb1EEvPKT_PKfPKi31ggml_cuda_mm_fusion_args_devicePfi15HIP_vector_typeIjLj3EEiiiSB_iiiSB_iiii,@function
_ZL13mul_mat_vec_fI6__halffLi1ELi96ELb0ELb1EEvPKT_PKfPKi31ggml_cuda_mm_fusion_args_devicePfi15HIP_vector_typeIjLj3EEiiiSB_iiiSB_iiii: ; @_ZL13mul_mat_vec_fI6__halffLi1ELi96ELb0ELb1EEvPKT_PKfPKi31ggml_cuda_mm_fusion_args_devicePfi15HIP_vector_typeIjLj3EEiiiSB_iiiSB_iiii
; %bb.0:
	s_clause 0x2
	s_load_dword s2, s[4:5], 0x8c
	s_load_dwordx2 s[0:1], s[4:5], 0x10
	s_load_dwordx8 s[12:19], s[4:5], 0x40
	v_cmp_gt_u32_e32 vcc_lo, 32, v0
	v_lshl_add_u32 v5, v0, 2, 0
	s_waitcnt lgkmcnt(0)
	s_mul_i32 s2, s2, s8
	s_add_i32 s2, s2, s7
	s_ashr_i32 s3, s2, 31
	s_lshl_b64 s[2:3], s[2:3], 2
	s_add_u32 s2, s0, s2
	s_addc_u32 s3, s1, s3
	s_and_saveexec_b32 s0, vcc_lo
; %bb.1:
	v_mov_b32_e32 v1, 0
	ds_write_b32 v5, v1
; %bb.2:
	s_or_b32 exec_lo, exec_lo, s0
	s_load_dwordx4 s[20:23], s[4:5], 0x68
	v_mov_b32_e32 v6, 0
	s_mov_b32 s9, exec_lo
	s_waitcnt lgkmcnt(0)
	s_barrier
	buffer_gl0_inv
	v_cmpx_gt_i32_e64 s12, v0
	s_cbranch_execz .LBB181_6
; %bb.3:
	s_load_dword s19, s[2:3], 0x0
	s_load_dwordx4 s[24:27], s[4:5], 0x0
	s_mul_hi_u32 s0, s13, s7
	s_mul_i32 s1, s8, s17
	s_add_i32 s0, s7, s0
	s_mul_i32 s2, s16, s6
	s_lshr_b32 s0, s0, s14
	v_lshlrev_b32_e32 v1, 3, v0
	s_mul_i32 s10, s0, s15
	s_lshl_b32 s0, s1, 1
	s_sub_i32 s10, s7, s10
	s_ashr_i32 s1, s0, 31
	s_mul_i32 s10, s10, s21
	s_ashr_i32 s3, s2, 31
	s_ashr_i32 s11, s10, 31
	s_lshl_b64 s[0:1], s[0:1], 2
	s_lshl_b64 s[10:11], s[10:11], 2
	v_lshlrev_b32_e32 v3, 2, v0
	v_mov_b32_e32 v6, 0
	v_mov_b32_e32 v7, v0
	s_waitcnt lgkmcnt(0)
	s_mul_i32 s14, s19, s20
	s_ashr_i32 s15, s14, 31
	s_add_u32 s10, s26, s10
	s_addc_u32 s11, s27, s11
	s_add_u32 s0, s10, s0
	s_addc_u32 s1, s11, s1
	v_add_co_u32 v1, s0, s0, v1
	v_add_co_ci_u32_e64 v2, null, s1, 0, s0
	s_lshl_b64 s[10:11], s[14:15], 1
	v_add_co_u32 v1, s0, v1, 4
	v_add_co_ci_u32_e64 v2, null, 0, v2, s0
	s_lshl_b64 s[0:1], s[2:3], 1
	s_add_u32 s2, s24, s10
	s_addc_u32 s3, s25, s11
	s_add_u32 s0, s2, s0
	s_addc_u32 s1, s3, s1
	v_add_co_u32 v3, s0, s0, v3
	v_add_co_ci_u32_e64 v4, null, s1, 0, s0
	s_mov_b32 s2, 0
	.p2align	6
.LBB181_4:                              ; =>This Inner Loop Header: Depth=1
	global_load_dword v10, v[3:4], off
	global_load_dwordx2 v[8:9], v[1:2], off offset:-4
	v_add_nc_u32_e32 v7, 0x60, v7
	v_add_co_u32 v1, s0, 0x300, v1
	v_add_co_ci_u32_e64 v2, null, 0, v2, s0
	v_add_co_u32 v3, s0, 0x180, v3
	v_cmp_le_i32_e64 s1, s12, v7
	v_add_co_ci_u32_e64 v4, null, 0, v4, s0
	s_or_b32 s2, s1, s2
	s_waitcnt vmcnt(0)
	v_fma_mix_f32 v6, v8, v10, v6 op_sel_hi:[0,1,0]
	v_fma_mix_f32 v6, v9, v10, v6 op_sel:[0,1,0] op_sel_hi:[0,1,0]
	s_andn2_b32 exec_lo, exec_lo, s2
	s_cbranch_execnz .LBB181_4
; %bb.5:
	s_or_b32 exec_lo, exec_lo, s2
.LBB181_6:
	s_or_b32 exec_lo, exec_lo, s9
	v_mbcnt_lo_u32_b32 v2, -1, 0
	v_xor_b32_e32 v1, 16, v2
	v_xor_b32_e32 v3, 8, v2
	v_cmp_gt_i32_e64 s0, 32, v1
	v_cndmask_b32_e64 v1, v2, v1, s0
	v_cmp_gt_i32_e64 s0, 32, v3
	v_lshlrev_b32_e32 v1, 2, v1
	v_cndmask_b32_e64 v3, v2, v3, s0
	ds_bpermute_b32 v4, v1, v6
	v_lshlrev_b32_e32 v3, 2, v3
	s_waitcnt lgkmcnt(0)
	v_add_f32_e32 v6, v6, v4
	v_xor_b32_e32 v4, 4, v2
	ds_bpermute_b32 v7, v3, v6
	v_cmp_gt_i32_e64 s0, 32, v4
	v_cndmask_b32_e64 v4, v2, v4, s0
	v_lshlrev_b32_e32 v4, 2, v4
	s_waitcnt lgkmcnt(0)
	v_add_f32_e32 v7, v6, v7
	v_xor_b32_e32 v6, 2, v2
	ds_bpermute_b32 v8, v4, v7
	v_cmp_gt_i32_e64 s0, 32, v6
	v_cndmask_b32_e64 v6, v2, v6, s0
	;; [unrolled: 7-line block ×3, first 2 shown]
	v_lshlrev_b32_e32 v7, 2, v2
	s_waitcnt lgkmcnt(0)
	v_add_f32_e32 v2, v8, v9
	v_lshrrev_b32_e32 v9, 3, v0
	ds_bpermute_b32 v8, v7, v2
	v_and_b32_e32 v9, 0x7c, v9
	v_add_nc_u32_e32 v9, 0, v9
	s_waitcnt lgkmcnt(0)
	v_add_f32_e32 v2, v2, v8
	ds_write_b32 v9, v2
	s_waitcnt lgkmcnt(0)
	s_barrier
	buffer_gl0_inv
	s_and_saveexec_b32 s0, vcc_lo
	s_cbranch_execz .LBB181_8
; %bb.7:
	ds_read_b32 v2, v5
	s_waitcnt lgkmcnt(0)
	ds_bpermute_b32 v1, v1, v2
	s_waitcnt lgkmcnt(0)
	v_add_f32_e32 v1, v2, v1
	ds_bpermute_b32 v2, v3, v1
	s_waitcnt lgkmcnt(0)
	v_add_f32_e32 v1, v1, v2
	;; [unrolled: 3-line block ×5, first 2 shown]
.LBB181_8:
	s_or_b32 exec_lo, exec_lo, s0
	s_barrier
	buffer_gl0_inv
	s_mov_b32 s0, exec_lo
	v_cmpx_eq_u32_e32 0, v0
	s_cbranch_execz .LBB181_10
; %bb.9:
	s_load_dwordx2 s[0:1], s[4:5], 0x38
	s_mul_i32 s2, s22, s7
	s_mul_i32 s4, s18, s8
	s_ashr_i32 s3, s2, 31
	v_mov_b32_e32 v0, 0
	s_lshl_b64 s[2:3], s[2:3], 2
	s_waitcnt lgkmcnt(0)
	s_add_u32 s2, s0, s2
	s_addc_u32 s3, s1, s3
	s_ashr_i32 s5, s4, 31
	s_lshl_b64 s[0:1], s[4:5], 2
	s_add_u32 s2, s2, s0
	s_addc_u32 s3, s3, s1
	s_ashr_i32 s7, s6, 31
	s_lshl_b64 s[0:1], s[6:7], 2
	s_add_u32 s0, s2, s0
	s_addc_u32 s1, s3, s1
	global_store_dword v0, v2, s[0:1]
.LBB181_10:
	s_endpgm
	.section	.rodata,"a",@progbits
	.p2align	6, 0x0
	.amdhsa_kernel _ZL13mul_mat_vec_fI6__halffLi1ELi96ELb0ELb1EEvPKT_PKfPKi31ggml_cuda_mm_fusion_args_devicePfi15HIP_vector_typeIjLj3EEiiiSB_iiiSB_iiii
		.amdhsa_group_segment_fixed_size 0
		.amdhsa_private_segment_fixed_size 0
		.amdhsa_kernarg_size 144
		.amdhsa_user_sgpr_count 6
		.amdhsa_user_sgpr_private_segment_buffer 1
		.amdhsa_user_sgpr_dispatch_ptr 0
		.amdhsa_user_sgpr_queue_ptr 0
		.amdhsa_user_sgpr_kernarg_segment_ptr 1
		.amdhsa_user_sgpr_dispatch_id 0
		.amdhsa_user_sgpr_flat_scratch_init 0
		.amdhsa_user_sgpr_private_segment_size 0
		.amdhsa_wavefront_size32 1
		.amdhsa_uses_dynamic_stack 0
		.amdhsa_system_sgpr_private_segment_wavefront_offset 0
		.amdhsa_system_sgpr_workgroup_id_x 1
		.amdhsa_system_sgpr_workgroup_id_y 1
		.amdhsa_system_sgpr_workgroup_id_z 1
		.amdhsa_system_sgpr_workgroup_info 0
		.amdhsa_system_vgpr_workitem_id 0
		.amdhsa_next_free_vgpr 11
		.amdhsa_next_free_sgpr 28
		.amdhsa_reserve_vcc 1
		.amdhsa_reserve_flat_scratch 0
		.amdhsa_float_round_mode_32 0
		.amdhsa_float_round_mode_16_64 0
		.amdhsa_float_denorm_mode_32 3
		.amdhsa_float_denorm_mode_16_64 3
		.amdhsa_dx10_clamp 1
		.amdhsa_ieee_mode 1
		.amdhsa_fp16_overflow 0
		.amdhsa_workgroup_processor_mode 1
		.amdhsa_memory_ordered 1
		.amdhsa_forward_progress 1
		.amdhsa_shared_vgpr_count 0
		.amdhsa_exception_fp_ieee_invalid_op 0
		.amdhsa_exception_fp_denorm_src 0
		.amdhsa_exception_fp_ieee_div_zero 0
		.amdhsa_exception_fp_ieee_overflow 0
		.amdhsa_exception_fp_ieee_underflow 0
		.amdhsa_exception_fp_ieee_inexact 0
		.amdhsa_exception_int_div_zero 0
	.end_amdhsa_kernel
	.section	.text._ZL13mul_mat_vec_fI6__halffLi1ELi96ELb0ELb1EEvPKT_PKfPKi31ggml_cuda_mm_fusion_args_devicePfi15HIP_vector_typeIjLj3EEiiiSB_iiiSB_iiii,"axG",@progbits,_ZL13mul_mat_vec_fI6__halffLi1ELi96ELb0ELb1EEvPKT_PKfPKi31ggml_cuda_mm_fusion_args_devicePfi15HIP_vector_typeIjLj3EEiiiSB_iiiSB_iiii,comdat
.Lfunc_end181:
	.size	_ZL13mul_mat_vec_fI6__halffLi1ELi96ELb0ELb1EEvPKT_PKfPKi31ggml_cuda_mm_fusion_args_devicePfi15HIP_vector_typeIjLj3EEiiiSB_iiiSB_iiii, .Lfunc_end181-_ZL13mul_mat_vec_fI6__halffLi1ELi96ELb0ELb1EEvPKT_PKfPKi31ggml_cuda_mm_fusion_args_devicePfi15HIP_vector_typeIjLj3EEiiiSB_iiiSB_iiii
                                        ; -- End function
	.set _ZL13mul_mat_vec_fI6__halffLi1ELi96ELb0ELb1EEvPKT_PKfPKi31ggml_cuda_mm_fusion_args_devicePfi15HIP_vector_typeIjLj3EEiiiSB_iiiSB_iiii.num_vgpr, 11
	.set _ZL13mul_mat_vec_fI6__halffLi1ELi96ELb0ELb1EEvPKT_PKfPKi31ggml_cuda_mm_fusion_args_devicePfi15HIP_vector_typeIjLj3EEiiiSB_iiiSB_iiii.num_agpr, 0
	.set _ZL13mul_mat_vec_fI6__halffLi1ELi96ELb0ELb1EEvPKT_PKfPKi31ggml_cuda_mm_fusion_args_devicePfi15HIP_vector_typeIjLj3EEiiiSB_iiiSB_iiii.numbered_sgpr, 28
	.set _ZL13mul_mat_vec_fI6__halffLi1ELi96ELb0ELb1EEvPKT_PKfPKi31ggml_cuda_mm_fusion_args_devicePfi15HIP_vector_typeIjLj3EEiiiSB_iiiSB_iiii.num_named_barrier, 0
	.set _ZL13mul_mat_vec_fI6__halffLi1ELi96ELb0ELb1EEvPKT_PKfPKi31ggml_cuda_mm_fusion_args_devicePfi15HIP_vector_typeIjLj3EEiiiSB_iiiSB_iiii.private_seg_size, 0
	.set _ZL13mul_mat_vec_fI6__halffLi1ELi96ELb0ELb1EEvPKT_PKfPKi31ggml_cuda_mm_fusion_args_devicePfi15HIP_vector_typeIjLj3EEiiiSB_iiiSB_iiii.uses_vcc, 1
	.set _ZL13mul_mat_vec_fI6__halffLi1ELi96ELb0ELb1EEvPKT_PKfPKi31ggml_cuda_mm_fusion_args_devicePfi15HIP_vector_typeIjLj3EEiiiSB_iiiSB_iiii.uses_flat_scratch, 0
	.set _ZL13mul_mat_vec_fI6__halffLi1ELi96ELb0ELb1EEvPKT_PKfPKi31ggml_cuda_mm_fusion_args_devicePfi15HIP_vector_typeIjLj3EEiiiSB_iiiSB_iiii.has_dyn_sized_stack, 0
	.set _ZL13mul_mat_vec_fI6__halffLi1ELi96ELb0ELb1EEvPKT_PKfPKi31ggml_cuda_mm_fusion_args_devicePfi15HIP_vector_typeIjLj3EEiiiSB_iiiSB_iiii.has_recursion, 0
	.set _ZL13mul_mat_vec_fI6__halffLi1ELi96ELb0ELb1EEvPKT_PKfPKi31ggml_cuda_mm_fusion_args_devicePfi15HIP_vector_typeIjLj3EEiiiSB_iiiSB_iiii.has_indirect_call, 0
	.section	.AMDGPU.csdata,"",@progbits
; Kernel info:
; codeLenInByte = 956
; TotalNumSgprs: 30
; NumVgprs: 11
; ScratchSize: 0
; MemoryBound: 0
; FloatMode: 240
; IeeeMode: 1
; LDSByteSize: 0 bytes/workgroup (compile time only)
; SGPRBlocks: 0
; VGPRBlocks: 1
; NumSGPRsForWavesPerEU: 30
; NumVGPRsForWavesPerEU: 11
; Occupancy: 16
; WaveLimiterHint : 1
; COMPUTE_PGM_RSRC2:SCRATCH_EN: 0
; COMPUTE_PGM_RSRC2:USER_SGPR: 6
; COMPUTE_PGM_RSRC2:TRAP_HANDLER: 0
; COMPUTE_PGM_RSRC2:TGID_X_EN: 1
; COMPUTE_PGM_RSRC2:TGID_Y_EN: 1
; COMPUTE_PGM_RSRC2:TGID_Z_EN: 1
; COMPUTE_PGM_RSRC2:TIDIG_COMP_CNT: 0
	.section	.text._ZL13mul_mat_vec_fI6__halffLi1ELi128ELb1ELb1EEvPKT_PKfPKi31ggml_cuda_mm_fusion_args_devicePfi15HIP_vector_typeIjLj3EEiiiSB_iiiSB_iiii,"axG",@progbits,_ZL13mul_mat_vec_fI6__halffLi1ELi128ELb1ELb1EEvPKT_PKfPKi31ggml_cuda_mm_fusion_args_devicePfi15HIP_vector_typeIjLj3EEiiiSB_iiiSB_iiii,comdat
	.globl	_ZL13mul_mat_vec_fI6__halffLi1ELi128ELb1ELb1EEvPKT_PKfPKi31ggml_cuda_mm_fusion_args_devicePfi15HIP_vector_typeIjLj3EEiiiSB_iiiSB_iiii ; -- Begin function _ZL13mul_mat_vec_fI6__halffLi1ELi128ELb1ELb1EEvPKT_PKfPKi31ggml_cuda_mm_fusion_args_devicePfi15HIP_vector_typeIjLj3EEiiiSB_iiiSB_iiii
	.p2align	8
	.type	_ZL13mul_mat_vec_fI6__halffLi1ELi128ELb1ELb1EEvPKT_PKfPKi31ggml_cuda_mm_fusion_args_devicePfi15HIP_vector_typeIjLj3EEiiiSB_iiiSB_iiii,@function
_ZL13mul_mat_vec_fI6__halffLi1ELi128ELb1ELb1EEvPKT_PKfPKi31ggml_cuda_mm_fusion_args_devicePfi15HIP_vector_typeIjLj3EEiiiSB_iiiSB_iiii: ; @_ZL13mul_mat_vec_fI6__halffLi1ELi128ELb1ELb1EEvPKT_PKfPKi31ggml_cuda_mm_fusion_args_devicePfi15HIP_vector_typeIjLj3EEiiiSB_iiiSB_iiii
; %bb.0:
	s_clause 0x3
	s_load_dword s1, s[4:5], 0x8c
	s_load_dwordx8 s[20:27], s[4:5], 0x0
	s_load_dwordx4 s[36:39], s[4:5], 0x20
	s_load_dwordx8 s[12:19], s[4:5], 0x40
	v_lshl_add_u32 v8, v0, 2, 0
	s_mov_b32 s0, s7
	s_waitcnt lgkmcnt(0)
	s_mul_i32 s1, s1, s8
	s_add_i32 s2, s1, s7
	s_ashr_i32 s3, s2, 31
	s_lshl_b64 s[2:3], s[2:3], 2
	s_add_u32 s10, s24, s2
	s_addc_u32 s11, s25, s3
	s_cmp_lg_u64 s[36:37], 0
	v_cmp_gt_u32_e64 s2, 32, v0
	s_cselect_b32 s1, -1, 0
	s_cmp_eq_u64 s[36:37], 0
	s_cselect_b32 s19, -1, 0
	s_and_saveexec_b32 s3, s2
	s_cbranch_execz .LBB182_3
; %bb.1:
	v_mov_b32_e32 v1, 0
	s_andn2_b32 vcc_lo, exec_lo, s1
	ds_write_b32 v8, v1
	s_cbranch_vccnz .LBB182_3
; %bb.2:
	ds_write_b32 v8, v1 offset:128
.LBB182_3:
	s_or_b32 exec_lo, exec_lo, s3
	s_load_dword s7, s[10:11], 0x0
	s_load_dwordx4 s[28:31], s[4:5], 0x68
	v_mov_b32_e32 v7, 0
	v_mov_b32_e32 v9, 0
	s_mov_b32 s9, exec_lo
	s_waitcnt lgkmcnt(0)
	s_barrier
	buffer_gl0_inv
	v_cmpx_gt_i32_e64 s12, v0
	s_cbranch_execz .LBB182_10
; %bb.4:
	s_mul_hi_u32 s3, s13, s0
	s_mul_i32 s10, s7, s28
	s_add_i32 s3, s0, s3
	s_mul_i32 s11, s16, s6
	s_lshr_b32 s3, s3, s14
	s_ashr_i32 s13, s10, 31
	s_mul_i32 s3, s3, s15
	s_ashr_i32 s14, s11, 31
	s_sub_i32 s3, s0, s3
	s_add_u32 s10, s10, s11
	s_addc_u32 s11, s13, s14
	s_mul_i32 s13, s8, s17
	s_mul_i32 s14, s3, s29
	s_lshl_b32 s16, s13, 1
	s_ashr_i32 s15, s14, 31
	s_ashr_i32 s17, s16, 31
	s_and_b32 s3, s1, exec_lo
	s_cselect_b32 s29, s11, 0
	s_cselect_b32 s28, s10, 0
	v_lshlrev_b32_e32 v5, 2, v0
	s_cselect_b32 s3, s37, 0
	s_cselect_b32 s13, s36, 0
	s_lshl_b64 s[28:29], s[28:29], 1
	v_lshlrev_b32_e32 v3, 3, v0
	s_add_u32 s13, s13, s28
	s_addc_u32 s3, s3, s29
	v_add_co_u32 v1, s13, s13, v5
	s_lshl_b64 s[14:15], s[14:15], 2
	s_lshl_b64 s[16:17], s[16:17], 2
	v_add_co_ci_u32_e64 v2, null, s3, 0, s13
	s_add_u32 s3, s22, s14
	s_addc_u32 s13, s23, s15
	s_add_u32 s3, s3, s16
	s_addc_u32 s13, s13, s17
	v_add_co_u32 v3, s3, s3, v3
	s_lshl_b64 s[10:11], s[10:11], 1
	v_add_co_ci_u32_e64 v4, null, s13, 0, s3
	s_add_u32 s3, s20, s10
	v_add_co_u32 v3, vcc_lo, v3, 4
	s_addc_u32 s10, s21, s11
	v_add_co_u32 v5, s3, s3, v5
	v_mov_b32_e32 v7, 0
	v_add_co_ci_u32_e64 v4, null, 0, v4, vcc_lo
	v_add_co_ci_u32_e64 v6, null, s10, 0, s3
	v_mov_b32_e32 v10, v0
	v_mov_b32_e32 v9, 0
	s_mov_b32 s10, 0
	s_inst_prefetch 0x1
	s_branch .LBB182_7
	.p2align	6
.LBB182_5:                              ;   in Loop: Header=BB182_7 Depth=1
	global_load_dword v12, v[1:2], off
	s_waitcnt vmcnt(0)
	v_cvt_f32_f16_e32 v13, v12
	v_cvt_f32_f16_sdwa v12, v12 dst_sel:DWORD dst_unused:UNUSED_PAD src0_sel:WORD_1
.LBB182_6:                              ;   in Loop: Header=BB182_7 Depth=1
	global_load_dwordx2 v[14:15], v[3:4], off offset:-4
	v_add_nc_u32_e32 v10, 0x80, v10
	v_add_co_u32 v1, vcc_lo, 0x200, v1
	v_add_co_ci_u32_e64 v2, null, 0, v2, vcc_lo
	v_add_co_u32 v3, vcc_lo, 0x400, v3
	v_add_co_ci_u32_e64 v4, null, 0, v4, vcc_lo
	v_cmp_le_i32_e32 vcc_lo, s12, v10
	v_add_co_u32 v5, s3, 0x200, v5
	v_add_co_ci_u32_e64 v6, null, 0, v6, s3
	s_or_b32 s10, vcc_lo, s10
	s_waitcnt vmcnt(0)
	v_fma_f32 v13, v14, v13, v7
	v_fma_mix_f32 v9, v14, v11, v9 op_sel_hi:[0,1,0]
	v_fmac_f32_e32 v13, v15, v12
	v_fma_mix_f32 v9, v15, v11, v9 op_sel:[0,1,0] op_sel_hi:[0,1,0]
	v_cndmask_b32_e64 v7, v7, v13, s1
	s_andn2_b32 exec_lo, exec_lo, s10
	s_cbranch_execz .LBB182_9
.LBB182_7:                              ; =>This Inner Loop Header: Depth=1
	global_load_dword v11, v[5:6], off
	s_andn2_b32 vcc_lo, exec_lo, s1
	s_cbranch_vccz .LBB182_5
; %bb.8:                                ;   in Loop: Header=BB182_7 Depth=1
	v_mov_b32_e32 v12, 0
	v_mov_b32_e32 v13, 0
	s_branch .LBB182_6
.LBB182_9:
	s_inst_prefetch 0x2
	s_or_b32 exec_lo, exec_lo, s10
.LBB182_10:
	s_or_b32 exec_lo, exec_lo, s9
	v_mbcnt_lo_u32_b32 v1, -1, 0
	s_load_dword s9, s[4:5], 0x30
	s_mov_b32 s3, -1
	v_xor_b32_e32 v2, 16, v1
	v_xor_b32_e32 v3, 8, v1
	v_cmp_gt_i32_e32 vcc_lo, 32, v2
	v_cndmask_b32_e32 v2, v1, v2, vcc_lo
	v_cmp_gt_i32_e32 vcc_lo, 32, v3
	v_lshlrev_b32_e32 v2, 2, v2
	v_cndmask_b32_e32 v3, v1, v3, vcc_lo
	ds_bpermute_b32 v4, v2, v9
	v_lshlrev_b32_e32 v3, 2, v3
	s_waitcnt lgkmcnt(0)
	v_add_f32_e32 v5, v9, v4
	v_xor_b32_e32 v4, 4, v1
	ds_bpermute_b32 v6, v3, v5
	v_cmp_gt_i32_e32 vcc_lo, 32, v4
	v_cndmask_b32_e32 v4, v1, v4, vcc_lo
	v_lshlrev_b32_e32 v4, 2, v4
	s_waitcnt lgkmcnt(0)
	v_add_f32_e32 v6, v5, v6
	v_xor_b32_e32 v5, 2, v1
	ds_bpermute_b32 v9, v4, v6
	v_cmp_gt_i32_e32 vcc_lo, 32, v5
	v_cndmask_b32_e32 v5, v1, v5, vcc_lo
	v_lshlrev_b32_e32 v5, 2, v5
	s_waitcnt lgkmcnt(0)
	v_add_f32_e32 v9, v6, v9
	v_xor_b32_e32 v6, 1, v1
	ds_bpermute_b32 v10, v5, v9
	v_cmp_gt_i32_e32 vcc_lo, 32, v6
	v_cndmask_b32_e32 v1, v1, v6, vcc_lo
	s_and_b32 vcc_lo, exec_lo, s19
	v_lshlrev_b32_e32 v6, 2, v1
	s_waitcnt lgkmcnt(0)
	v_add_f32_e32 v1, v9, v10
	v_lshrrev_b32_e32 v10, 5, v0
	ds_bpermute_b32 v9, v6, v1
	s_waitcnt lgkmcnt(0)
	v_add_f32_e32 v1, v1, v9
	v_lshl_add_u32 v9, v10, 2, 0
	s_cbranch_vccz .LBB182_12
; %bb.11:
	s_mov_b32 s3, 0
	ds_write_b32 v9, v1
.LBB182_12:
	s_andn2_b32 vcc_lo, exec_lo, s3
	s_cbranch_vccnz .LBB182_14
; %bb.13:
	ds_bpermute_b32 v10, v2, v7
	s_waitcnt lgkmcnt(0)
	v_add_f32_e32 v7, v7, v10
	ds_bpermute_b32 v10, v3, v7
	s_waitcnt lgkmcnt(0)
	v_add_f32_e32 v7, v7, v10
	;; [unrolled: 3-line block ×5, first 2 shown]
	ds_write2_b32 v9, v1, v7 offset1:32
.LBB182_14:
	s_waitcnt lgkmcnt(0)
	s_barrier
	buffer_gl0_inv
	s_and_saveexec_b32 s3, s2
	s_cbranch_execz .LBB182_18
; %bb.15:
	ds_read_b32 v1, v8
	s_andn2_b32 vcc_lo, exec_lo, s1
	s_waitcnt lgkmcnt(0)
	ds_bpermute_b32 v9, v2, v1
	s_waitcnt lgkmcnt(0)
	v_add_f32_e32 v1, v1, v9
	ds_bpermute_b32 v9, v3, v1
	s_waitcnt lgkmcnt(0)
	v_add_f32_e32 v1, v1, v9
	;; [unrolled: 3-line block ×4, first 2 shown]
	ds_bpermute_b32 v9, v6, v1
	s_cbranch_vccnz .LBB182_17
; %bb.16:
	ds_read_b32 v7, v8 offset:128
	s_waitcnt lgkmcnt(0)
	ds_bpermute_b32 v2, v2, v7
	s_waitcnt lgkmcnt(0)
	v_add_f32_e32 v2, v7, v2
	ds_bpermute_b32 v3, v3, v2
	s_waitcnt lgkmcnt(0)
	v_add_f32_e32 v2, v2, v3
	;; [unrolled: 3-line block ×5, first 2 shown]
.LBB182_17:
	s_waitcnt lgkmcnt(0)
	v_add_f32_e32 v1, v1, v9
.LBB182_18:
	s_or_b32 exec_lo, exec_lo, s3
	s_barrier
	buffer_gl0_inv
	s_mov_b32 s2, exec_lo
	v_cmpx_eq_u32_e32 0, v0
	s_cbranch_execz .LBB182_42
; %bb.19:
	s_cmp_eq_u64 s[26:27], 0
	s_cselect_b32 s10, -1, 0
	s_cmp_eq_u64 s[24:25], 0
	s_cselect_b32 s2, s0, s7
	s_mul_i32 s2, s2, s30
	s_ashr_i32 s3, s2, 31
	s_and_b32 vcc_lo, exec_lo, s10
	s_cbranch_vccnz .LBB182_21
; %bb.20:
	s_cselect_b32 s7, 0, s27
	s_cselect_b32 s12, 0, s26
	s_lshl_b64 s[10:11], s[2:3], 2
	s_add_u32 s12, s12, s10
	s_addc_u32 s13, s7, s11
	s_ashr_i32 s7, s6, 31
	s_lshl_b64 s[10:11], s[6:7], 2
	s_add_u32 s10, s12, s10
	s_addc_u32 s11, s13, s11
	s_load_dword s7, s[10:11], 0x0
	s_waitcnt lgkmcnt(0)
	v_add_f32_e32 v1, s7, v1
.LBB182_21:
	s_andn2_b32 vcc_lo, exec_lo, s1
	s_cbranch_vccnz .LBB182_41
; %bb.22:
	s_cmp_lg_u64 s[38:39], 0
	s_cselect_b32 s7, -1, 0
	s_and_b32 s1, s7, s1
	s_andn2_b32 vcc_lo, exec_lo, s1
	s_cbranch_vccnz .LBB182_24
; %bb.23:
	s_and_b32 s7, s7, exec_lo
	s_cselect_b32 s7, s39, 0
	s_cselect_b32 s10, s38, 0
	s_and_b32 s1, s1, exec_lo
	s_cselect_b32 s3, s3, 0
	s_cselect_b32 s2, s2, 0
	s_lshl_b64 s[2:3], s[2:3], 2
	s_add_u32 s1, s10, s2
	s_addc_u32 s10, s7, s3
	s_ashr_i32 s7, s6, 31
	s_lshl_b64 s[2:3], s[6:7], 2
	s_add_u32 s2, s1, s2
	s_addc_u32 s3, s10, s3
	s_load_dword s1, s[2:3], 0x0
	s_waitcnt lgkmcnt(0)
	v_add_f32_e32 v7, s1, v7
.LBB182_24:
	s_cmp_lt_i32 s9, 2
	s_cbranch_scc1 .LBB182_29
; %bb.25:
	s_cmp_lt_i32 s9, 3
	s_cbranch_scc1 .LBB182_30
; %bb.26:
	v_mov_b32_e32 v0, v1
	s_cmp_eq_u32 s9, 3
	s_cbranch_scc0 .LBB182_28
; %bb.27:
	v_max_f32_e32 v0, v7, v7
	v_min_f32_e32 v0, 0x40e00000, v0
	v_mul_f32_e32 v2, 0xbfd9db23, v0
	v_mul_f32_e32 v3, 0x3fb8aa3b, v2
	v_cmp_ngt_f32_e32 vcc_lo, 0xc2ce8ed0, v2
	v_fma_f32 v4, 0x3fb8aa3b, v2, -v3
	v_rndne_f32_e32 v5, v3
	v_fmamk_f32 v4, v2, 0x32a5705f, v4
	v_sub_f32_e32 v3, v3, v5
	v_add_f32_e32 v3, v3, v4
	v_cvt_i32_f32_e32 v4, v5
	v_exp_f32_e32 v3, v3
	v_ldexp_f32 v3, v3, v4
	v_cndmask_b32_e32 v3, 0, v3, vcc_lo
	v_cmp_nlt_f32_e32 vcc_lo, 0x42b17218, v2
	v_cndmask_b32_e32 v2, 0x7f800000, v3, vcc_lo
	v_add_f32_e32 v2, 1.0, v2
	v_div_scale_f32 v3, null, v2, v2, v0
	v_div_scale_f32 v6, vcc_lo, v0, v2, v0
	v_rcp_f32_e32 v4, v3
	v_fma_f32 v5, -v3, v4, 1.0
	v_fmac_f32_e32 v4, v5, v4
	v_mul_f32_e32 v5, v6, v4
	v_fma_f32 v8, -v3, v5, v6
	v_fmac_f32_e32 v5, v8, v4
	v_max_f32_e32 v8, v1, v1
	v_fma_f32 v3, -v3, v5, v6
	v_min_f32_e32 v6, 0x40e00000, v8
	v_div_fmas_f32 v3, v3, v4, v5
	v_max_f32_e32 v4, 0xc0e00000, v6
	v_div_fixup_f32 v0, v3, v2, v0
	v_add_f32_e32 v2, 1.0, v4
	v_mul_f32_e32 v0, v2, v0
.LBB182_28:
	s_cbranch_execz .LBB182_31
	s_branch .LBB182_32
.LBB182_29:
                                        ; implicit-def: $vgpr0
	s_branch .LBB182_33
.LBB182_30:
                                        ; implicit-def: $vgpr0
.LBB182_31:
	v_mul_f32_e32 v0, 0xbfb8aa3b, v7
	v_cmp_nlt_f32_e32 vcc_lo, 0x42ce8ed0, v7
	v_rndne_f32_e32 v2, v0
	v_fma_f32 v3, 0xbfb8aa3b, v7, -v0
	v_sub_f32_e32 v0, v0, v2
	v_fmamk_f32 v3, v7, 0xb2a5705f, v3
	v_cvt_i32_f32_e32 v2, v2
	v_add_f32_e32 v0, v0, v3
	v_exp_f32_e32 v0, v0
	v_ldexp_f32 v0, v0, v2
	v_cndmask_b32_e32 v0, 0, v0, vcc_lo
	v_cmp_ngt_f32_e32 vcc_lo, 0xc2b17218, v7
	v_cndmask_b32_e32 v0, 0x7f800000, v0, vcc_lo
	v_add_f32_e32 v0, 1.0, v0
	v_div_scale_f32 v2, null, v0, v0, v7
	v_rcp_f32_e32 v3, v2
	v_fma_f32 v4, -v2, v3, 1.0
	v_fmac_f32_e32 v3, v4, v3
	v_div_scale_f32 v4, vcc_lo, v7, v0, v7
	v_mul_f32_e32 v5, v4, v3
	v_fma_f32 v6, -v2, v5, v4
	v_fmac_f32_e32 v5, v6, v3
	v_fma_f32 v2, -v2, v5, v4
	v_div_fmas_f32 v2, v2, v3, v5
	v_div_fixup_f32 v0, v2, v0, v7
	v_mul_f32_e32 v0, v1, v0
.LBB182_32:
	s_cbranch_execnz .LBB182_40
.LBB182_33:
	s_cmp_eq_u32 s9, 1
	s_cbranch_scc0 .LBB182_39
; %bb.34:
	v_mul_f32_e32 v0, 0x3d372713, v7
	v_mul_f32_e32 v2, 0x3f4c422a, v7
	v_fma_f32 v0, v7, v0, 1.0
	v_mul_f32_e32 v0, v2, v0
                                        ; implicit-def: $vgpr2
	v_cmp_ngt_f32_e64 s1, 0x3f200000, |v0|
	s_and_saveexec_b32 s2, s1
	s_xor_b32 s1, exec_lo, s2
	s_cbranch_execz .LBB182_36
; %bb.35:
	v_add_f32_e64 v2, |v0|, |v0|
	v_mul_f32_e32 v3, 0x3fb8aa3b, v2
	v_cmp_ngt_f32_e32 vcc_lo, 0xc2ce8ed0, v2
	v_rndne_f32_e32 v4, v3
	v_fma_f32 v5, 0x3fb8aa3b, v2, -v3
	v_sub_f32_e32 v3, v3, v4
	v_fmamk_f32 v5, v2, 0x32a5705f, v5
	v_cvt_i32_f32_e32 v4, v4
	v_add_f32_e32 v3, v3, v5
	v_exp_f32_e32 v3, v3
	v_ldexp_f32 v3, v3, v4
	v_cndmask_b32_e32 v3, 0, v3, vcc_lo
	v_cmp_nlt_f32_e32 vcc_lo, 0x42b17218, v2
	v_cndmask_b32_e32 v2, 0x7f800000, v3, vcc_lo
	v_add_f32_e32 v2, 1.0, v2
	v_rcp_f32_e32 v2, v2
	v_fma_f32 v2, v2, -2.0, 1.0
.LBB182_36:
	s_andn2_saveexec_b32 s1, s1
	s_cbranch_execz .LBB182_38
; %bb.37:
	v_mul_f32_e32 v2, v0, v0
	s_mov_b32 s2, 0xbbbac73d
	v_fmaak_f32 v3, s2, v2, 0x3ca908c9
	v_fmaak_f32 v3, v2, v3, 0xbd5c1c4e
	;; [unrolled: 1-line block ×4, first 2 shown]
	v_mul_f32_e64 v3, |v0|, v3
	v_fma_f32 v2, v2, v3, |v0|
.LBB182_38:
	s_or_b32 exec_lo, exec_lo, s1
	v_bfi_b32 v0, 0x7fffffff, v2, v0
	v_mul_f32_e32 v2, 0.5, v7
	v_add_f32_e32 v0, 1.0, v0
	v_mul_f32_e32 v0, v2, v0
	v_mul_f32_e32 v1, v1, v0
.LBB182_39:
	v_mov_b32_e32 v0, v1
.LBB182_40:
	v_mov_b32_e32 v1, v0
.LBB182_41:
	s_load_dwordx2 s[2:3], s[4:5], 0x38
	s_mul_i32 s0, s30, s0
	s_mul_i32 s4, s18, s8
	s_ashr_i32 s1, s0, 31
	v_mov_b32_e32 v0, 0
	s_lshl_b64 s[0:1], s[0:1], 2
	s_waitcnt lgkmcnt(0)
	s_add_u32 s2, s2, s0
	s_addc_u32 s3, s3, s1
	s_ashr_i32 s5, s4, 31
	s_lshl_b64 s[0:1], s[4:5], 2
	s_add_u32 s2, s2, s0
	s_addc_u32 s3, s3, s1
	s_ashr_i32 s7, s6, 31
	s_lshl_b64 s[0:1], s[6:7], 2
	s_add_u32 s0, s2, s0
	s_addc_u32 s1, s3, s1
	global_store_dword v0, v1, s[0:1]
.LBB182_42:
	s_endpgm
	.section	.rodata,"a",@progbits
	.p2align	6, 0x0
	.amdhsa_kernel _ZL13mul_mat_vec_fI6__halffLi1ELi128ELb1ELb1EEvPKT_PKfPKi31ggml_cuda_mm_fusion_args_devicePfi15HIP_vector_typeIjLj3EEiiiSB_iiiSB_iiii
		.amdhsa_group_segment_fixed_size 0
		.amdhsa_private_segment_fixed_size 0
		.amdhsa_kernarg_size 144
		.amdhsa_user_sgpr_count 6
		.amdhsa_user_sgpr_private_segment_buffer 1
		.amdhsa_user_sgpr_dispatch_ptr 0
		.amdhsa_user_sgpr_queue_ptr 0
		.amdhsa_user_sgpr_kernarg_segment_ptr 1
		.amdhsa_user_sgpr_dispatch_id 0
		.amdhsa_user_sgpr_flat_scratch_init 0
		.amdhsa_user_sgpr_private_segment_size 0
		.amdhsa_wavefront_size32 1
		.amdhsa_uses_dynamic_stack 0
		.amdhsa_system_sgpr_private_segment_wavefront_offset 0
		.amdhsa_system_sgpr_workgroup_id_x 1
		.amdhsa_system_sgpr_workgroup_id_y 1
		.amdhsa_system_sgpr_workgroup_id_z 1
		.amdhsa_system_sgpr_workgroup_info 0
		.amdhsa_system_vgpr_workitem_id 0
		.amdhsa_next_free_vgpr 16
		.amdhsa_next_free_sgpr 40
		.amdhsa_reserve_vcc 1
		.amdhsa_reserve_flat_scratch 0
		.amdhsa_float_round_mode_32 0
		.amdhsa_float_round_mode_16_64 0
		.amdhsa_float_denorm_mode_32 3
		.amdhsa_float_denorm_mode_16_64 3
		.amdhsa_dx10_clamp 1
		.amdhsa_ieee_mode 1
		.amdhsa_fp16_overflow 0
		.amdhsa_workgroup_processor_mode 1
		.amdhsa_memory_ordered 1
		.amdhsa_forward_progress 1
		.amdhsa_shared_vgpr_count 0
		.amdhsa_exception_fp_ieee_invalid_op 0
		.amdhsa_exception_fp_denorm_src 0
		.amdhsa_exception_fp_ieee_div_zero 0
		.amdhsa_exception_fp_ieee_overflow 0
		.amdhsa_exception_fp_ieee_underflow 0
		.amdhsa_exception_fp_ieee_inexact 0
		.amdhsa_exception_int_div_zero 0
	.end_amdhsa_kernel
	.section	.text._ZL13mul_mat_vec_fI6__halffLi1ELi128ELb1ELb1EEvPKT_PKfPKi31ggml_cuda_mm_fusion_args_devicePfi15HIP_vector_typeIjLj3EEiiiSB_iiiSB_iiii,"axG",@progbits,_ZL13mul_mat_vec_fI6__halffLi1ELi128ELb1ELb1EEvPKT_PKfPKi31ggml_cuda_mm_fusion_args_devicePfi15HIP_vector_typeIjLj3EEiiiSB_iiiSB_iiii,comdat
.Lfunc_end182:
	.size	_ZL13mul_mat_vec_fI6__halffLi1ELi128ELb1ELb1EEvPKT_PKfPKi31ggml_cuda_mm_fusion_args_devicePfi15HIP_vector_typeIjLj3EEiiiSB_iiiSB_iiii, .Lfunc_end182-_ZL13mul_mat_vec_fI6__halffLi1ELi128ELb1ELb1EEvPKT_PKfPKi31ggml_cuda_mm_fusion_args_devicePfi15HIP_vector_typeIjLj3EEiiiSB_iiiSB_iiii
                                        ; -- End function
	.set _ZL13mul_mat_vec_fI6__halffLi1ELi128ELb1ELb1EEvPKT_PKfPKi31ggml_cuda_mm_fusion_args_devicePfi15HIP_vector_typeIjLj3EEiiiSB_iiiSB_iiii.num_vgpr, 16
	.set _ZL13mul_mat_vec_fI6__halffLi1ELi128ELb1ELb1EEvPKT_PKfPKi31ggml_cuda_mm_fusion_args_devicePfi15HIP_vector_typeIjLj3EEiiiSB_iiiSB_iiii.num_agpr, 0
	.set _ZL13mul_mat_vec_fI6__halffLi1ELi128ELb1ELb1EEvPKT_PKfPKi31ggml_cuda_mm_fusion_args_devicePfi15HIP_vector_typeIjLj3EEiiiSB_iiiSB_iiii.numbered_sgpr, 40
	.set _ZL13mul_mat_vec_fI6__halffLi1ELi128ELb1ELb1EEvPKT_PKfPKi31ggml_cuda_mm_fusion_args_devicePfi15HIP_vector_typeIjLj3EEiiiSB_iiiSB_iiii.num_named_barrier, 0
	.set _ZL13mul_mat_vec_fI6__halffLi1ELi128ELb1ELb1EEvPKT_PKfPKi31ggml_cuda_mm_fusion_args_devicePfi15HIP_vector_typeIjLj3EEiiiSB_iiiSB_iiii.private_seg_size, 0
	.set _ZL13mul_mat_vec_fI6__halffLi1ELi128ELb1ELb1EEvPKT_PKfPKi31ggml_cuda_mm_fusion_args_devicePfi15HIP_vector_typeIjLj3EEiiiSB_iiiSB_iiii.uses_vcc, 1
	.set _ZL13mul_mat_vec_fI6__halffLi1ELi128ELb1ELb1EEvPKT_PKfPKi31ggml_cuda_mm_fusion_args_devicePfi15HIP_vector_typeIjLj3EEiiiSB_iiiSB_iiii.uses_flat_scratch, 0
	.set _ZL13mul_mat_vec_fI6__halffLi1ELi128ELb1ELb1EEvPKT_PKfPKi31ggml_cuda_mm_fusion_args_devicePfi15HIP_vector_typeIjLj3EEiiiSB_iiiSB_iiii.has_dyn_sized_stack, 0
	.set _ZL13mul_mat_vec_fI6__halffLi1ELi128ELb1ELb1EEvPKT_PKfPKi31ggml_cuda_mm_fusion_args_devicePfi15HIP_vector_typeIjLj3EEiiiSB_iiiSB_iiii.has_recursion, 0
	.set _ZL13mul_mat_vec_fI6__halffLi1ELi128ELb1ELb1EEvPKT_PKfPKi31ggml_cuda_mm_fusion_args_devicePfi15HIP_vector_typeIjLj3EEiiiSB_iiiSB_iiii.has_indirect_call, 0
	.section	.AMDGPU.csdata,"",@progbits
; Kernel info:
; codeLenInByte = 2152
; TotalNumSgprs: 42
; NumVgprs: 16
; ScratchSize: 0
; MemoryBound: 0
; FloatMode: 240
; IeeeMode: 1
; LDSByteSize: 0 bytes/workgroup (compile time only)
; SGPRBlocks: 0
; VGPRBlocks: 1
; NumSGPRsForWavesPerEU: 42
; NumVGPRsForWavesPerEU: 16
; Occupancy: 16
; WaveLimiterHint : 1
; COMPUTE_PGM_RSRC2:SCRATCH_EN: 0
; COMPUTE_PGM_RSRC2:USER_SGPR: 6
; COMPUTE_PGM_RSRC2:TRAP_HANDLER: 0
; COMPUTE_PGM_RSRC2:TGID_X_EN: 1
; COMPUTE_PGM_RSRC2:TGID_Y_EN: 1
; COMPUTE_PGM_RSRC2:TGID_Z_EN: 1
; COMPUTE_PGM_RSRC2:TIDIG_COMP_CNT: 0
	.section	.text._ZL13mul_mat_vec_fI6__halffLi1ELi128ELb0ELb1EEvPKT_PKfPKi31ggml_cuda_mm_fusion_args_devicePfi15HIP_vector_typeIjLj3EEiiiSB_iiiSB_iiii,"axG",@progbits,_ZL13mul_mat_vec_fI6__halffLi1ELi128ELb0ELb1EEvPKT_PKfPKi31ggml_cuda_mm_fusion_args_devicePfi15HIP_vector_typeIjLj3EEiiiSB_iiiSB_iiii,comdat
	.globl	_ZL13mul_mat_vec_fI6__halffLi1ELi128ELb0ELb1EEvPKT_PKfPKi31ggml_cuda_mm_fusion_args_devicePfi15HIP_vector_typeIjLj3EEiiiSB_iiiSB_iiii ; -- Begin function _ZL13mul_mat_vec_fI6__halffLi1ELi128ELb0ELb1EEvPKT_PKfPKi31ggml_cuda_mm_fusion_args_devicePfi15HIP_vector_typeIjLj3EEiiiSB_iiiSB_iiii
	.p2align	8
	.type	_ZL13mul_mat_vec_fI6__halffLi1ELi128ELb0ELb1EEvPKT_PKfPKi31ggml_cuda_mm_fusion_args_devicePfi15HIP_vector_typeIjLj3EEiiiSB_iiiSB_iiii,@function
_ZL13mul_mat_vec_fI6__halffLi1ELi128ELb0ELb1EEvPKT_PKfPKi31ggml_cuda_mm_fusion_args_devicePfi15HIP_vector_typeIjLj3EEiiiSB_iiiSB_iiii: ; @_ZL13mul_mat_vec_fI6__halffLi1ELi128ELb0ELb1EEvPKT_PKfPKi31ggml_cuda_mm_fusion_args_devicePfi15HIP_vector_typeIjLj3EEiiiSB_iiiSB_iiii
; %bb.0:
	s_clause 0x2
	s_load_dword s2, s[4:5], 0x8c
	s_load_dwordx2 s[0:1], s[4:5], 0x10
	s_load_dwordx8 s[12:19], s[4:5], 0x40
	v_cmp_gt_u32_e32 vcc_lo, 32, v0
	v_lshl_add_u32 v5, v0, 2, 0
	s_waitcnt lgkmcnt(0)
	s_mul_i32 s2, s2, s8
	s_add_i32 s2, s2, s7
	s_ashr_i32 s3, s2, 31
	s_lshl_b64 s[2:3], s[2:3], 2
	s_add_u32 s2, s0, s2
	s_addc_u32 s3, s1, s3
	s_and_saveexec_b32 s0, vcc_lo
; %bb.1:
	v_mov_b32_e32 v1, 0
	ds_write_b32 v5, v1
; %bb.2:
	s_or_b32 exec_lo, exec_lo, s0
	s_load_dwordx4 s[20:23], s[4:5], 0x68
	v_mov_b32_e32 v6, 0
	s_mov_b32 s9, exec_lo
	s_waitcnt lgkmcnt(0)
	s_barrier
	buffer_gl0_inv
	v_cmpx_gt_i32_e64 s12, v0
	s_cbranch_execz .LBB183_6
; %bb.3:
	s_load_dword s19, s[2:3], 0x0
	s_load_dwordx4 s[24:27], s[4:5], 0x0
	s_mul_hi_u32 s0, s13, s7
	s_mul_i32 s1, s8, s17
	s_add_i32 s0, s7, s0
	s_mul_i32 s2, s16, s6
	s_lshr_b32 s0, s0, s14
	v_lshlrev_b32_e32 v1, 3, v0
	s_mul_i32 s10, s0, s15
	s_lshl_b32 s0, s1, 1
	s_sub_i32 s10, s7, s10
	s_ashr_i32 s1, s0, 31
	s_mul_i32 s10, s10, s21
	s_ashr_i32 s3, s2, 31
	s_ashr_i32 s11, s10, 31
	s_lshl_b64 s[0:1], s[0:1], 2
	s_lshl_b64 s[10:11], s[10:11], 2
	v_lshlrev_b32_e32 v3, 2, v0
	v_mov_b32_e32 v6, 0
	v_mov_b32_e32 v7, v0
	s_waitcnt lgkmcnt(0)
	s_mul_i32 s14, s19, s20
	s_ashr_i32 s15, s14, 31
	s_add_u32 s10, s26, s10
	s_addc_u32 s11, s27, s11
	s_add_u32 s0, s10, s0
	s_addc_u32 s1, s11, s1
	v_add_co_u32 v1, s0, s0, v1
	v_add_co_ci_u32_e64 v2, null, s1, 0, s0
	s_lshl_b64 s[10:11], s[14:15], 1
	v_add_co_u32 v1, s0, v1, 4
	v_add_co_ci_u32_e64 v2, null, 0, v2, s0
	s_lshl_b64 s[0:1], s[2:3], 1
	s_add_u32 s2, s24, s10
	s_addc_u32 s3, s25, s11
	s_add_u32 s0, s2, s0
	s_addc_u32 s1, s3, s1
	v_add_co_u32 v3, s0, s0, v3
	v_add_co_ci_u32_e64 v4, null, s1, 0, s0
	s_mov_b32 s2, 0
	.p2align	6
.LBB183_4:                              ; =>This Inner Loop Header: Depth=1
	global_load_dword v10, v[3:4], off
	global_load_dwordx2 v[8:9], v[1:2], off offset:-4
	v_add_nc_u32_e32 v7, 0x80, v7
	v_add_co_u32 v1, s0, 0x400, v1
	v_add_co_ci_u32_e64 v2, null, 0, v2, s0
	v_add_co_u32 v3, s0, 0x200, v3
	v_cmp_le_i32_e64 s1, s12, v7
	v_add_co_ci_u32_e64 v4, null, 0, v4, s0
	s_or_b32 s2, s1, s2
	s_waitcnt vmcnt(0)
	v_fma_mix_f32 v6, v8, v10, v6 op_sel_hi:[0,1,0]
	v_fma_mix_f32 v6, v9, v10, v6 op_sel:[0,1,0] op_sel_hi:[0,1,0]
	s_andn2_b32 exec_lo, exec_lo, s2
	s_cbranch_execnz .LBB183_4
; %bb.5:
	s_or_b32 exec_lo, exec_lo, s2
.LBB183_6:
	s_or_b32 exec_lo, exec_lo, s9
	v_mbcnt_lo_u32_b32 v2, -1, 0
	v_xor_b32_e32 v1, 16, v2
	v_xor_b32_e32 v3, 8, v2
	v_cmp_gt_i32_e64 s0, 32, v1
	v_cndmask_b32_e64 v1, v2, v1, s0
	v_cmp_gt_i32_e64 s0, 32, v3
	v_lshlrev_b32_e32 v1, 2, v1
	v_cndmask_b32_e64 v3, v2, v3, s0
	ds_bpermute_b32 v4, v1, v6
	v_lshlrev_b32_e32 v3, 2, v3
	s_waitcnt lgkmcnt(0)
	v_add_f32_e32 v6, v6, v4
	v_xor_b32_e32 v4, 4, v2
	ds_bpermute_b32 v7, v3, v6
	v_cmp_gt_i32_e64 s0, 32, v4
	v_cndmask_b32_e64 v4, v2, v4, s0
	v_lshlrev_b32_e32 v4, 2, v4
	s_waitcnt lgkmcnt(0)
	v_add_f32_e32 v7, v6, v7
	v_xor_b32_e32 v6, 2, v2
	ds_bpermute_b32 v8, v4, v7
	v_cmp_gt_i32_e64 s0, 32, v6
	v_cndmask_b32_e64 v6, v2, v6, s0
	;; [unrolled: 7-line block ×3, first 2 shown]
	v_lshlrev_b32_e32 v7, 2, v2
	s_waitcnt lgkmcnt(0)
	v_add_f32_e32 v2, v8, v9
	v_lshrrev_b32_e32 v9, 3, v0
	ds_bpermute_b32 v8, v7, v2
	v_and_b32_e32 v9, 0x7c, v9
	v_add_nc_u32_e32 v9, 0, v9
	s_waitcnt lgkmcnt(0)
	v_add_f32_e32 v2, v2, v8
	ds_write_b32 v9, v2
	s_waitcnt lgkmcnt(0)
	s_barrier
	buffer_gl0_inv
	s_and_saveexec_b32 s0, vcc_lo
	s_cbranch_execz .LBB183_8
; %bb.7:
	ds_read_b32 v2, v5
	s_waitcnt lgkmcnt(0)
	ds_bpermute_b32 v1, v1, v2
	s_waitcnt lgkmcnt(0)
	v_add_f32_e32 v1, v2, v1
	ds_bpermute_b32 v2, v3, v1
	s_waitcnt lgkmcnt(0)
	v_add_f32_e32 v1, v1, v2
	;; [unrolled: 3-line block ×5, first 2 shown]
.LBB183_8:
	s_or_b32 exec_lo, exec_lo, s0
	s_barrier
	buffer_gl0_inv
	s_mov_b32 s0, exec_lo
	v_cmpx_eq_u32_e32 0, v0
	s_cbranch_execz .LBB183_10
; %bb.9:
	s_load_dwordx2 s[0:1], s[4:5], 0x38
	s_mul_i32 s2, s22, s7
	s_mul_i32 s4, s18, s8
	s_ashr_i32 s3, s2, 31
	v_mov_b32_e32 v0, 0
	s_lshl_b64 s[2:3], s[2:3], 2
	s_waitcnt lgkmcnt(0)
	s_add_u32 s2, s0, s2
	s_addc_u32 s3, s1, s3
	s_ashr_i32 s5, s4, 31
	s_lshl_b64 s[0:1], s[4:5], 2
	s_add_u32 s2, s2, s0
	s_addc_u32 s3, s3, s1
	s_ashr_i32 s7, s6, 31
	s_lshl_b64 s[0:1], s[6:7], 2
	s_add_u32 s0, s2, s0
	s_addc_u32 s1, s3, s1
	global_store_dword v0, v2, s[0:1]
.LBB183_10:
	s_endpgm
	.section	.rodata,"a",@progbits
	.p2align	6, 0x0
	.amdhsa_kernel _ZL13mul_mat_vec_fI6__halffLi1ELi128ELb0ELb1EEvPKT_PKfPKi31ggml_cuda_mm_fusion_args_devicePfi15HIP_vector_typeIjLj3EEiiiSB_iiiSB_iiii
		.amdhsa_group_segment_fixed_size 0
		.amdhsa_private_segment_fixed_size 0
		.amdhsa_kernarg_size 144
		.amdhsa_user_sgpr_count 6
		.amdhsa_user_sgpr_private_segment_buffer 1
		.amdhsa_user_sgpr_dispatch_ptr 0
		.amdhsa_user_sgpr_queue_ptr 0
		.amdhsa_user_sgpr_kernarg_segment_ptr 1
		.amdhsa_user_sgpr_dispatch_id 0
		.amdhsa_user_sgpr_flat_scratch_init 0
		.amdhsa_user_sgpr_private_segment_size 0
		.amdhsa_wavefront_size32 1
		.amdhsa_uses_dynamic_stack 0
		.amdhsa_system_sgpr_private_segment_wavefront_offset 0
		.amdhsa_system_sgpr_workgroup_id_x 1
		.amdhsa_system_sgpr_workgroup_id_y 1
		.amdhsa_system_sgpr_workgroup_id_z 1
		.amdhsa_system_sgpr_workgroup_info 0
		.amdhsa_system_vgpr_workitem_id 0
		.amdhsa_next_free_vgpr 11
		.amdhsa_next_free_sgpr 28
		.amdhsa_reserve_vcc 1
		.amdhsa_reserve_flat_scratch 0
		.amdhsa_float_round_mode_32 0
		.amdhsa_float_round_mode_16_64 0
		.amdhsa_float_denorm_mode_32 3
		.amdhsa_float_denorm_mode_16_64 3
		.amdhsa_dx10_clamp 1
		.amdhsa_ieee_mode 1
		.amdhsa_fp16_overflow 0
		.amdhsa_workgroup_processor_mode 1
		.amdhsa_memory_ordered 1
		.amdhsa_forward_progress 1
		.amdhsa_shared_vgpr_count 0
		.amdhsa_exception_fp_ieee_invalid_op 0
		.amdhsa_exception_fp_denorm_src 0
		.amdhsa_exception_fp_ieee_div_zero 0
		.amdhsa_exception_fp_ieee_overflow 0
		.amdhsa_exception_fp_ieee_underflow 0
		.amdhsa_exception_fp_ieee_inexact 0
		.amdhsa_exception_int_div_zero 0
	.end_amdhsa_kernel
	.section	.text._ZL13mul_mat_vec_fI6__halffLi1ELi128ELb0ELb1EEvPKT_PKfPKi31ggml_cuda_mm_fusion_args_devicePfi15HIP_vector_typeIjLj3EEiiiSB_iiiSB_iiii,"axG",@progbits,_ZL13mul_mat_vec_fI6__halffLi1ELi128ELb0ELb1EEvPKT_PKfPKi31ggml_cuda_mm_fusion_args_devicePfi15HIP_vector_typeIjLj3EEiiiSB_iiiSB_iiii,comdat
.Lfunc_end183:
	.size	_ZL13mul_mat_vec_fI6__halffLi1ELi128ELb0ELb1EEvPKT_PKfPKi31ggml_cuda_mm_fusion_args_devicePfi15HIP_vector_typeIjLj3EEiiiSB_iiiSB_iiii, .Lfunc_end183-_ZL13mul_mat_vec_fI6__halffLi1ELi128ELb0ELb1EEvPKT_PKfPKi31ggml_cuda_mm_fusion_args_devicePfi15HIP_vector_typeIjLj3EEiiiSB_iiiSB_iiii
                                        ; -- End function
	.set _ZL13mul_mat_vec_fI6__halffLi1ELi128ELb0ELb1EEvPKT_PKfPKi31ggml_cuda_mm_fusion_args_devicePfi15HIP_vector_typeIjLj3EEiiiSB_iiiSB_iiii.num_vgpr, 11
	.set _ZL13mul_mat_vec_fI6__halffLi1ELi128ELb0ELb1EEvPKT_PKfPKi31ggml_cuda_mm_fusion_args_devicePfi15HIP_vector_typeIjLj3EEiiiSB_iiiSB_iiii.num_agpr, 0
	.set _ZL13mul_mat_vec_fI6__halffLi1ELi128ELb0ELb1EEvPKT_PKfPKi31ggml_cuda_mm_fusion_args_devicePfi15HIP_vector_typeIjLj3EEiiiSB_iiiSB_iiii.numbered_sgpr, 28
	.set _ZL13mul_mat_vec_fI6__halffLi1ELi128ELb0ELb1EEvPKT_PKfPKi31ggml_cuda_mm_fusion_args_devicePfi15HIP_vector_typeIjLj3EEiiiSB_iiiSB_iiii.num_named_barrier, 0
	.set _ZL13mul_mat_vec_fI6__halffLi1ELi128ELb0ELb1EEvPKT_PKfPKi31ggml_cuda_mm_fusion_args_devicePfi15HIP_vector_typeIjLj3EEiiiSB_iiiSB_iiii.private_seg_size, 0
	.set _ZL13mul_mat_vec_fI6__halffLi1ELi128ELb0ELb1EEvPKT_PKfPKi31ggml_cuda_mm_fusion_args_devicePfi15HIP_vector_typeIjLj3EEiiiSB_iiiSB_iiii.uses_vcc, 1
	.set _ZL13mul_mat_vec_fI6__halffLi1ELi128ELb0ELb1EEvPKT_PKfPKi31ggml_cuda_mm_fusion_args_devicePfi15HIP_vector_typeIjLj3EEiiiSB_iiiSB_iiii.uses_flat_scratch, 0
	.set _ZL13mul_mat_vec_fI6__halffLi1ELi128ELb0ELb1EEvPKT_PKfPKi31ggml_cuda_mm_fusion_args_devicePfi15HIP_vector_typeIjLj3EEiiiSB_iiiSB_iiii.has_dyn_sized_stack, 0
	.set _ZL13mul_mat_vec_fI6__halffLi1ELi128ELb0ELb1EEvPKT_PKfPKi31ggml_cuda_mm_fusion_args_devicePfi15HIP_vector_typeIjLj3EEiiiSB_iiiSB_iiii.has_recursion, 0
	.set _ZL13mul_mat_vec_fI6__halffLi1ELi128ELb0ELb1EEvPKT_PKfPKi31ggml_cuda_mm_fusion_args_devicePfi15HIP_vector_typeIjLj3EEiiiSB_iiiSB_iiii.has_indirect_call, 0
	.section	.AMDGPU.csdata,"",@progbits
; Kernel info:
; codeLenInByte = 956
; TotalNumSgprs: 30
; NumVgprs: 11
; ScratchSize: 0
; MemoryBound: 0
; FloatMode: 240
; IeeeMode: 1
; LDSByteSize: 0 bytes/workgroup (compile time only)
; SGPRBlocks: 0
; VGPRBlocks: 1
; NumSGPRsForWavesPerEU: 30
; NumVGPRsForWavesPerEU: 11
; Occupancy: 16
; WaveLimiterHint : 1
; COMPUTE_PGM_RSRC2:SCRATCH_EN: 0
; COMPUTE_PGM_RSRC2:USER_SGPR: 6
; COMPUTE_PGM_RSRC2:TRAP_HANDLER: 0
; COMPUTE_PGM_RSRC2:TGID_X_EN: 1
; COMPUTE_PGM_RSRC2:TGID_Y_EN: 1
; COMPUTE_PGM_RSRC2:TGID_Z_EN: 1
; COMPUTE_PGM_RSRC2:TIDIG_COMP_CNT: 0
	.section	.text._ZL13mul_mat_vec_fI6__halffLi1ELi160ELb1ELb1EEvPKT_PKfPKi31ggml_cuda_mm_fusion_args_devicePfi15HIP_vector_typeIjLj3EEiiiSB_iiiSB_iiii,"axG",@progbits,_ZL13mul_mat_vec_fI6__halffLi1ELi160ELb1ELb1EEvPKT_PKfPKi31ggml_cuda_mm_fusion_args_devicePfi15HIP_vector_typeIjLj3EEiiiSB_iiiSB_iiii,comdat
	.globl	_ZL13mul_mat_vec_fI6__halffLi1ELi160ELb1ELb1EEvPKT_PKfPKi31ggml_cuda_mm_fusion_args_devicePfi15HIP_vector_typeIjLj3EEiiiSB_iiiSB_iiii ; -- Begin function _ZL13mul_mat_vec_fI6__halffLi1ELi160ELb1ELb1EEvPKT_PKfPKi31ggml_cuda_mm_fusion_args_devicePfi15HIP_vector_typeIjLj3EEiiiSB_iiiSB_iiii
	.p2align	8
	.type	_ZL13mul_mat_vec_fI6__halffLi1ELi160ELb1ELb1EEvPKT_PKfPKi31ggml_cuda_mm_fusion_args_devicePfi15HIP_vector_typeIjLj3EEiiiSB_iiiSB_iiii,@function
_ZL13mul_mat_vec_fI6__halffLi1ELi160ELb1ELb1EEvPKT_PKfPKi31ggml_cuda_mm_fusion_args_devicePfi15HIP_vector_typeIjLj3EEiiiSB_iiiSB_iiii: ; @_ZL13mul_mat_vec_fI6__halffLi1ELi160ELb1ELb1EEvPKT_PKfPKi31ggml_cuda_mm_fusion_args_devicePfi15HIP_vector_typeIjLj3EEiiiSB_iiiSB_iiii
; %bb.0:
	s_clause 0x3
	s_load_dword s1, s[4:5], 0x8c
	s_load_dwordx8 s[20:27], s[4:5], 0x0
	s_load_dwordx4 s[36:39], s[4:5], 0x20
	s_load_dwordx8 s[12:19], s[4:5], 0x40
	v_lshl_add_u32 v8, v0, 2, 0
	s_mov_b32 s0, s7
	s_waitcnt lgkmcnt(0)
	s_mul_i32 s1, s1, s8
	s_add_i32 s2, s1, s7
	s_ashr_i32 s3, s2, 31
	s_lshl_b64 s[2:3], s[2:3], 2
	s_add_u32 s10, s24, s2
	s_addc_u32 s11, s25, s3
	s_cmp_lg_u64 s[36:37], 0
	v_cmp_gt_u32_e64 s2, 32, v0
	s_cselect_b32 s1, -1, 0
	s_cmp_eq_u64 s[36:37], 0
	s_cselect_b32 s19, -1, 0
	s_and_saveexec_b32 s3, s2
	s_cbranch_execz .LBB184_3
; %bb.1:
	v_mov_b32_e32 v1, 0
	s_andn2_b32 vcc_lo, exec_lo, s1
	ds_write_b32 v8, v1
	s_cbranch_vccnz .LBB184_3
; %bb.2:
	ds_write_b32 v8, v1 offset:128
.LBB184_3:
	s_or_b32 exec_lo, exec_lo, s3
	s_load_dword s7, s[10:11], 0x0
	s_load_dwordx4 s[28:31], s[4:5], 0x68
	v_mov_b32_e32 v7, 0
	v_mov_b32_e32 v9, 0
	s_mov_b32 s9, exec_lo
	s_waitcnt lgkmcnt(0)
	s_barrier
	buffer_gl0_inv
	v_cmpx_gt_i32_e64 s12, v0
	s_cbranch_execz .LBB184_10
; %bb.4:
	s_mul_hi_u32 s3, s13, s0
	s_mul_i32 s10, s7, s28
	s_add_i32 s3, s0, s3
	s_mul_i32 s11, s16, s6
	s_lshr_b32 s3, s3, s14
	s_ashr_i32 s13, s10, 31
	s_mul_i32 s3, s3, s15
	s_ashr_i32 s14, s11, 31
	s_sub_i32 s3, s0, s3
	s_add_u32 s10, s10, s11
	s_addc_u32 s11, s13, s14
	s_mul_i32 s13, s8, s17
	s_mul_i32 s14, s3, s29
	s_lshl_b32 s16, s13, 1
	s_ashr_i32 s15, s14, 31
	s_ashr_i32 s17, s16, 31
	s_and_b32 s3, s1, exec_lo
	s_cselect_b32 s29, s11, 0
	s_cselect_b32 s28, s10, 0
	v_lshlrev_b32_e32 v5, 2, v0
	s_cselect_b32 s3, s37, 0
	s_cselect_b32 s13, s36, 0
	s_lshl_b64 s[28:29], s[28:29], 1
	v_lshlrev_b32_e32 v3, 3, v0
	s_add_u32 s13, s13, s28
	s_addc_u32 s3, s3, s29
	v_add_co_u32 v1, s13, s13, v5
	s_lshl_b64 s[14:15], s[14:15], 2
	s_lshl_b64 s[16:17], s[16:17], 2
	v_add_co_ci_u32_e64 v2, null, s3, 0, s13
	s_add_u32 s3, s22, s14
	s_addc_u32 s13, s23, s15
	s_add_u32 s3, s3, s16
	s_addc_u32 s13, s13, s17
	v_add_co_u32 v3, s3, s3, v3
	s_lshl_b64 s[10:11], s[10:11], 1
	v_add_co_ci_u32_e64 v4, null, s13, 0, s3
	s_add_u32 s3, s20, s10
	v_add_co_u32 v3, vcc_lo, v3, 4
	s_addc_u32 s10, s21, s11
	v_add_co_u32 v5, s3, s3, v5
	v_mov_b32_e32 v7, 0
	v_add_co_ci_u32_e64 v4, null, 0, v4, vcc_lo
	v_add_co_ci_u32_e64 v6, null, s10, 0, s3
	v_mov_b32_e32 v10, v0
	v_mov_b32_e32 v9, 0
	s_mov_b32 s10, 0
	s_inst_prefetch 0x1
	s_branch .LBB184_7
	.p2align	6
.LBB184_5:                              ;   in Loop: Header=BB184_7 Depth=1
	global_load_dword v12, v[1:2], off
	s_waitcnt vmcnt(0)
	v_cvt_f32_f16_e32 v13, v12
	v_cvt_f32_f16_sdwa v12, v12 dst_sel:DWORD dst_unused:UNUSED_PAD src0_sel:WORD_1
.LBB184_6:                              ;   in Loop: Header=BB184_7 Depth=1
	global_load_dwordx2 v[14:15], v[3:4], off offset:-4
	v_add_nc_u32_e32 v10, 0xa0, v10
	v_add_co_u32 v1, vcc_lo, 0x280, v1
	v_add_co_ci_u32_e64 v2, null, 0, v2, vcc_lo
	v_add_co_u32 v3, vcc_lo, 0x500, v3
	v_add_co_ci_u32_e64 v4, null, 0, v4, vcc_lo
	v_cmp_le_i32_e32 vcc_lo, s12, v10
	v_add_co_u32 v5, s3, 0x280, v5
	v_add_co_ci_u32_e64 v6, null, 0, v6, s3
	s_or_b32 s10, vcc_lo, s10
	s_waitcnt vmcnt(0)
	v_fma_f32 v13, v14, v13, v7
	v_fma_mix_f32 v9, v14, v11, v9 op_sel_hi:[0,1,0]
	v_fmac_f32_e32 v13, v15, v12
	v_fma_mix_f32 v9, v15, v11, v9 op_sel:[0,1,0] op_sel_hi:[0,1,0]
	v_cndmask_b32_e64 v7, v7, v13, s1
	s_andn2_b32 exec_lo, exec_lo, s10
	s_cbranch_execz .LBB184_9
.LBB184_7:                              ; =>This Inner Loop Header: Depth=1
	global_load_dword v11, v[5:6], off
	s_andn2_b32 vcc_lo, exec_lo, s1
	s_cbranch_vccz .LBB184_5
; %bb.8:                                ;   in Loop: Header=BB184_7 Depth=1
	v_mov_b32_e32 v12, 0
	v_mov_b32_e32 v13, 0
	s_branch .LBB184_6
.LBB184_9:
	s_inst_prefetch 0x2
	s_or_b32 exec_lo, exec_lo, s10
.LBB184_10:
	s_or_b32 exec_lo, exec_lo, s9
	v_mbcnt_lo_u32_b32 v1, -1, 0
	s_load_dword s9, s[4:5], 0x30
	s_mov_b32 s3, -1
	v_xor_b32_e32 v2, 16, v1
	v_xor_b32_e32 v3, 8, v1
	v_cmp_gt_i32_e32 vcc_lo, 32, v2
	v_cndmask_b32_e32 v2, v1, v2, vcc_lo
	v_cmp_gt_i32_e32 vcc_lo, 32, v3
	v_lshlrev_b32_e32 v2, 2, v2
	v_cndmask_b32_e32 v3, v1, v3, vcc_lo
	ds_bpermute_b32 v4, v2, v9
	v_lshlrev_b32_e32 v3, 2, v3
	s_waitcnt lgkmcnt(0)
	v_add_f32_e32 v5, v9, v4
	v_xor_b32_e32 v4, 4, v1
	ds_bpermute_b32 v6, v3, v5
	v_cmp_gt_i32_e32 vcc_lo, 32, v4
	v_cndmask_b32_e32 v4, v1, v4, vcc_lo
	v_lshlrev_b32_e32 v4, 2, v4
	s_waitcnt lgkmcnt(0)
	v_add_f32_e32 v6, v5, v6
	v_xor_b32_e32 v5, 2, v1
	ds_bpermute_b32 v9, v4, v6
	v_cmp_gt_i32_e32 vcc_lo, 32, v5
	v_cndmask_b32_e32 v5, v1, v5, vcc_lo
	;; [unrolled: 7-line block ×3, first 2 shown]
	s_and_b32 vcc_lo, exec_lo, s19
	v_lshlrev_b32_e32 v6, 2, v1
	s_waitcnt lgkmcnt(0)
	v_add_f32_e32 v1, v9, v10
	v_lshrrev_b32_e32 v10, 5, v0
	ds_bpermute_b32 v9, v6, v1
	s_waitcnt lgkmcnt(0)
	v_add_f32_e32 v1, v1, v9
	v_lshl_add_u32 v9, v10, 2, 0
	s_cbranch_vccz .LBB184_12
; %bb.11:
	s_mov_b32 s3, 0
	ds_write_b32 v9, v1
.LBB184_12:
	s_andn2_b32 vcc_lo, exec_lo, s3
	s_cbranch_vccnz .LBB184_14
; %bb.13:
	ds_bpermute_b32 v10, v2, v7
	s_waitcnt lgkmcnt(0)
	v_add_f32_e32 v7, v7, v10
	ds_bpermute_b32 v10, v3, v7
	s_waitcnt lgkmcnt(0)
	v_add_f32_e32 v7, v7, v10
	;; [unrolled: 3-line block ×5, first 2 shown]
	ds_write2_b32 v9, v1, v7 offset1:32
.LBB184_14:
	s_waitcnt lgkmcnt(0)
	s_barrier
	buffer_gl0_inv
	s_and_saveexec_b32 s3, s2
	s_cbranch_execz .LBB184_18
; %bb.15:
	ds_read_b32 v1, v8
	s_andn2_b32 vcc_lo, exec_lo, s1
	s_waitcnt lgkmcnt(0)
	ds_bpermute_b32 v9, v2, v1
	s_waitcnt lgkmcnt(0)
	v_add_f32_e32 v1, v1, v9
	ds_bpermute_b32 v9, v3, v1
	s_waitcnt lgkmcnt(0)
	v_add_f32_e32 v1, v1, v9
	;; [unrolled: 3-line block ×4, first 2 shown]
	ds_bpermute_b32 v9, v6, v1
	s_cbranch_vccnz .LBB184_17
; %bb.16:
	ds_read_b32 v7, v8 offset:128
	s_waitcnt lgkmcnt(0)
	ds_bpermute_b32 v2, v2, v7
	s_waitcnt lgkmcnt(0)
	v_add_f32_e32 v2, v7, v2
	ds_bpermute_b32 v3, v3, v2
	s_waitcnt lgkmcnt(0)
	v_add_f32_e32 v2, v2, v3
	;; [unrolled: 3-line block ×5, first 2 shown]
.LBB184_17:
	s_waitcnt lgkmcnt(0)
	v_add_f32_e32 v1, v1, v9
.LBB184_18:
	s_or_b32 exec_lo, exec_lo, s3
	s_barrier
	buffer_gl0_inv
	s_mov_b32 s2, exec_lo
	v_cmpx_eq_u32_e32 0, v0
	s_cbranch_execz .LBB184_42
; %bb.19:
	s_cmp_eq_u64 s[26:27], 0
	s_cselect_b32 s10, -1, 0
	s_cmp_eq_u64 s[24:25], 0
	s_cselect_b32 s2, s0, s7
	s_mul_i32 s2, s2, s30
	s_ashr_i32 s3, s2, 31
	s_and_b32 vcc_lo, exec_lo, s10
	s_cbranch_vccnz .LBB184_21
; %bb.20:
	s_cselect_b32 s7, 0, s27
	s_cselect_b32 s12, 0, s26
	s_lshl_b64 s[10:11], s[2:3], 2
	s_add_u32 s12, s12, s10
	s_addc_u32 s13, s7, s11
	s_ashr_i32 s7, s6, 31
	s_lshl_b64 s[10:11], s[6:7], 2
	s_add_u32 s10, s12, s10
	s_addc_u32 s11, s13, s11
	s_load_dword s7, s[10:11], 0x0
	s_waitcnt lgkmcnt(0)
	v_add_f32_e32 v1, s7, v1
.LBB184_21:
	s_andn2_b32 vcc_lo, exec_lo, s1
	s_cbranch_vccnz .LBB184_41
; %bb.22:
	s_cmp_lg_u64 s[38:39], 0
	s_cselect_b32 s7, -1, 0
	s_and_b32 s1, s7, s1
	s_andn2_b32 vcc_lo, exec_lo, s1
	s_cbranch_vccnz .LBB184_24
; %bb.23:
	s_and_b32 s7, s7, exec_lo
	s_cselect_b32 s7, s39, 0
	s_cselect_b32 s10, s38, 0
	s_and_b32 s1, s1, exec_lo
	s_cselect_b32 s3, s3, 0
	s_cselect_b32 s2, s2, 0
	s_lshl_b64 s[2:3], s[2:3], 2
	s_add_u32 s1, s10, s2
	s_addc_u32 s10, s7, s3
	s_ashr_i32 s7, s6, 31
	s_lshl_b64 s[2:3], s[6:7], 2
	s_add_u32 s2, s1, s2
	s_addc_u32 s3, s10, s3
	s_load_dword s1, s[2:3], 0x0
	s_waitcnt lgkmcnt(0)
	v_add_f32_e32 v7, s1, v7
.LBB184_24:
	s_cmp_lt_i32 s9, 2
	s_cbranch_scc1 .LBB184_29
; %bb.25:
	s_cmp_lt_i32 s9, 3
	s_cbranch_scc1 .LBB184_30
; %bb.26:
	v_mov_b32_e32 v0, v1
	s_cmp_eq_u32 s9, 3
	s_cbranch_scc0 .LBB184_28
; %bb.27:
	v_max_f32_e32 v0, v7, v7
	v_min_f32_e32 v0, 0x40e00000, v0
	v_mul_f32_e32 v2, 0xbfd9db23, v0
	v_mul_f32_e32 v3, 0x3fb8aa3b, v2
	v_cmp_ngt_f32_e32 vcc_lo, 0xc2ce8ed0, v2
	v_fma_f32 v4, 0x3fb8aa3b, v2, -v3
	v_rndne_f32_e32 v5, v3
	v_fmamk_f32 v4, v2, 0x32a5705f, v4
	v_sub_f32_e32 v3, v3, v5
	v_add_f32_e32 v3, v3, v4
	v_cvt_i32_f32_e32 v4, v5
	v_exp_f32_e32 v3, v3
	v_ldexp_f32 v3, v3, v4
	v_cndmask_b32_e32 v3, 0, v3, vcc_lo
	v_cmp_nlt_f32_e32 vcc_lo, 0x42b17218, v2
	v_cndmask_b32_e32 v2, 0x7f800000, v3, vcc_lo
	v_add_f32_e32 v2, 1.0, v2
	v_div_scale_f32 v3, null, v2, v2, v0
	v_div_scale_f32 v6, vcc_lo, v0, v2, v0
	v_rcp_f32_e32 v4, v3
	v_fma_f32 v5, -v3, v4, 1.0
	v_fmac_f32_e32 v4, v5, v4
	v_mul_f32_e32 v5, v6, v4
	v_fma_f32 v8, -v3, v5, v6
	v_fmac_f32_e32 v5, v8, v4
	v_max_f32_e32 v8, v1, v1
	v_fma_f32 v3, -v3, v5, v6
	v_min_f32_e32 v6, 0x40e00000, v8
	v_div_fmas_f32 v3, v3, v4, v5
	v_max_f32_e32 v4, 0xc0e00000, v6
	v_div_fixup_f32 v0, v3, v2, v0
	v_add_f32_e32 v2, 1.0, v4
	v_mul_f32_e32 v0, v2, v0
.LBB184_28:
	s_cbranch_execz .LBB184_31
	s_branch .LBB184_32
.LBB184_29:
                                        ; implicit-def: $vgpr0
	s_branch .LBB184_33
.LBB184_30:
                                        ; implicit-def: $vgpr0
.LBB184_31:
	v_mul_f32_e32 v0, 0xbfb8aa3b, v7
	v_cmp_nlt_f32_e32 vcc_lo, 0x42ce8ed0, v7
	v_rndne_f32_e32 v2, v0
	v_fma_f32 v3, 0xbfb8aa3b, v7, -v0
	v_sub_f32_e32 v0, v0, v2
	v_fmamk_f32 v3, v7, 0xb2a5705f, v3
	v_cvt_i32_f32_e32 v2, v2
	v_add_f32_e32 v0, v0, v3
	v_exp_f32_e32 v0, v0
	v_ldexp_f32 v0, v0, v2
	v_cndmask_b32_e32 v0, 0, v0, vcc_lo
	v_cmp_ngt_f32_e32 vcc_lo, 0xc2b17218, v7
	v_cndmask_b32_e32 v0, 0x7f800000, v0, vcc_lo
	v_add_f32_e32 v0, 1.0, v0
	v_div_scale_f32 v2, null, v0, v0, v7
	v_rcp_f32_e32 v3, v2
	v_fma_f32 v4, -v2, v3, 1.0
	v_fmac_f32_e32 v3, v4, v3
	v_div_scale_f32 v4, vcc_lo, v7, v0, v7
	v_mul_f32_e32 v5, v4, v3
	v_fma_f32 v6, -v2, v5, v4
	v_fmac_f32_e32 v5, v6, v3
	v_fma_f32 v2, -v2, v5, v4
	v_div_fmas_f32 v2, v2, v3, v5
	v_div_fixup_f32 v0, v2, v0, v7
	v_mul_f32_e32 v0, v1, v0
.LBB184_32:
	s_cbranch_execnz .LBB184_40
.LBB184_33:
	s_cmp_eq_u32 s9, 1
	s_cbranch_scc0 .LBB184_39
; %bb.34:
	v_mul_f32_e32 v0, 0x3d372713, v7
	v_mul_f32_e32 v2, 0x3f4c422a, v7
	v_fma_f32 v0, v7, v0, 1.0
	v_mul_f32_e32 v0, v2, v0
                                        ; implicit-def: $vgpr2
	v_cmp_ngt_f32_e64 s1, 0x3f200000, |v0|
	s_and_saveexec_b32 s2, s1
	s_xor_b32 s1, exec_lo, s2
	s_cbranch_execz .LBB184_36
; %bb.35:
	v_add_f32_e64 v2, |v0|, |v0|
	v_mul_f32_e32 v3, 0x3fb8aa3b, v2
	v_cmp_ngt_f32_e32 vcc_lo, 0xc2ce8ed0, v2
	v_rndne_f32_e32 v4, v3
	v_fma_f32 v5, 0x3fb8aa3b, v2, -v3
	v_sub_f32_e32 v3, v3, v4
	v_fmamk_f32 v5, v2, 0x32a5705f, v5
	v_cvt_i32_f32_e32 v4, v4
	v_add_f32_e32 v3, v3, v5
	v_exp_f32_e32 v3, v3
	v_ldexp_f32 v3, v3, v4
	v_cndmask_b32_e32 v3, 0, v3, vcc_lo
	v_cmp_nlt_f32_e32 vcc_lo, 0x42b17218, v2
	v_cndmask_b32_e32 v2, 0x7f800000, v3, vcc_lo
	v_add_f32_e32 v2, 1.0, v2
	v_rcp_f32_e32 v2, v2
	v_fma_f32 v2, v2, -2.0, 1.0
.LBB184_36:
	s_andn2_saveexec_b32 s1, s1
	s_cbranch_execz .LBB184_38
; %bb.37:
	v_mul_f32_e32 v2, v0, v0
	s_mov_b32 s2, 0xbbbac73d
	v_fmaak_f32 v3, s2, v2, 0x3ca908c9
	v_fmaak_f32 v3, v2, v3, 0xbd5c1c4e
	;; [unrolled: 1-line block ×4, first 2 shown]
	v_mul_f32_e64 v3, |v0|, v3
	v_fma_f32 v2, v2, v3, |v0|
.LBB184_38:
	s_or_b32 exec_lo, exec_lo, s1
	v_bfi_b32 v0, 0x7fffffff, v2, v0
	v_mul_f32_e32 v2, 0.5, v7
	v_add_f32_e32 v0, 1.0, v0
	v_mul_f32_e32 v0, v2, v0
	v_mul_f32_e32 v1, v1, v0
.LBB184_39:
	v_mov_b32_e32 v0, v1
.LBB184_40:
	v_mov_b32_e32 v1, v0
.LBB184_41:
	s_load_dwordx2 s[2:3], s[4:5], 0x38
	s_mul_i32 s0, s30, s0
	s_mul_i32 s4, s18, s8
	s_ashr_i32 s1, s0, 31
	v_mov_b32_e32 v0, 0
	s_lshl_b64 s[0:1], s[0:1], 2
	s_waitcnt lgkmcnt(0)
	s_add_u32 s2, s2, s0
	s_addc_u32 s3, s3, s1
	s_ashr_i32 s5, s4, 31
	s_lshl_b64 s[0:1], s[4:5], 2
	s_add_u32 s2, s2, s0
	s_addc_u32 s3, s3, s1
	s_ashr_i32 s7, s6, 31
	s_lshl_b64 s[0:1], s[6:7], 2
	s_add_u32 s0, s2, s0
	s_addc_u32 s1, s3, s1
	global_store_dword v0, v1, s[0:1]
.LBB184_42:
	s_endpgm
	.section	.rodata,"a",@progbits
	.p2align	6, 0x0
	.amdhsa_kernel _ZL13mul_mat_vec_fI6__halffLi1ELi160ELb1ELb1EEvPKT_PKfPKi31ggml_cuda_mm_fusion_args_devicePfi15HIP_vector_typeIjLj3EEiiiSB_iiiSB_iiii
		.amdhsa_group_segment_fixed_size 0
		.amdhsa_private_segment_fixed_size 0
		.amdhsa_kernarg_size 144
		.amdhsa_user_sgpr_count 6
		.amdhsa_user_sgpr_private_segment_buffer 1
		.amdhsa_user_sgpr_dispatch_ptr 0
		.amdhsa_user_sgpr_queue_ptr 0
		.amdhsa_user_sgpr_kernarg_segment_ptr 1
		.amdhsa_user_sgpr_dispatch_id 0
		.amdhsa_user_sgpr_flat_scratch_init 0
		.amdhsa_user_sgpr_private_segment_size 0
		.amdhsa_wavefront_size32 1
		.amdhsa_uses_dynamic_stack 0
		.amdhsa_system_sgpr_private_segment_wavefront_offset 0
		.amdhsa_system_sgpr_workgroup_id_x 1
		.amdhsa_system_sgpr_workgroup_id_y 1
		.amdhsa_system_sgpr_workgroup_id_z 1
		.amdhsa_system_sgpr_workgroup_info 0
		.amdhsa_system_vgpr_workitem_id 0
		.amdhsa_next_free_vgpr 16
		.amdhsa_next_free_sgpr 40
		.amdhsa_reserve_vcc 1
		.amdhsa_reserve_flat_scratch 0
		.amdhsa_float_round_mode_32 0
		.amdhsa_float_round_mode_16_64 0
		.amdhsa_float_denorm_mode_32 3
		.amdhsa_float_denorm_mode_16_64 3
		.amdhsa_dx10_clamp 1
		.amdhsa_ieee_mode 1
		.amdhsa_fp16_overflow 0
		.amdhsa_workgroup_processor_mode 1
		.amdhsa_memory_ordered 1
		.amdhsa_forward_progress 1
		.amdhsa_shared_vgpr_count 0
		.amdhsa_exception_fp_ieee_invalid_op 0
		.amdhsa_exception_fp_denorm_src 0
		.amdhsa_exception_fp_ieee_div_zero 0
		.amdhsa_exception_fp_ieee_overflow 0
		.amdhsa_exception_fp_ieee_underflow 0
		.amdhsa_exception_fp_ieee_inexact 0
		.amdhsa_exception_int_div_zero 0
	.end_amdhsa_kernel
	.section	.text._ZL13mul_mat_vec_fI6__halffLi1ELi160ELb1ELb1EEvPKT_PKfPKi31ggml_cuda_mm_fusion_args_devicePfi15HIP_vector_typeIjLj3EEiiiSB_iiiSB_iiii,"axG",@progbits,_ZL13mul_mat_vec_fI6__halffLi1ELi160ELb1ELb1EEvPKT_PKfPKi31ggml_cuda_mm_fusion_args_devicePfi15HIP_vector_typeIjLj3EEiiiSB_iiiSB_iiii,comdat
.Lfunc_end184:
	.size	_ZL13mul_mat_vec_fI6__halffLi1ELi160ELb1ELb1EEvPKT_PKfPKi31ggml_cuda_mm_fusion_args_devicePfi15HIP_vector_typeIjLj3EEiiiSB_iiiSB_iiii, .Lfunc_end184-_ZL13mul_mat_vec_fI6__halffLi1ELi160ELb1ELb1EEvPKT_PKfPKi31ggml_cuda_mm_fusion_args_devicePfi15HIP_vector_typeIjLj3EEiiiSB_iiiSB_iiii
                                        ; -- End function
	.set _ZL13mul_mat_vec_fI6__halffLi1ELi160ELb1ELb1EEvPKT_PKfPKi31ggml_cuda_mm_fusion_args_devicePfi15HIP_vector_typeIjLj3EEiiiSB_iiiSB_iiii.num_vgpr, 16
	.set _ZL13mul_mat_vec_fI6__halffLi1ELi160ELb1ELb1EEvPKT_PKfPKi31ggml_cuda_mm_fusion_args_devicePfi15HIP_vector_typeIjLj3EEiiiSB_iiiSB_iiii.num_agpr, 0
	.set _ZL13mul_mat_vec_fI6__halffLi1ELi160ELb1ELb1EEvPKT_PKfPKi31ggml_cuda_mm_fusion_args_devicePfi15HIP_vector_typeIjLj3EEiiiSB_iiiSB_iiii.numbered_sgpr, 40
	.set _ZL13mul_mat_vec_fI6__halffLi1ELi160ELb1ELb1EEvPKT_PKfPKi31ggml_cuda_mm_fusion_args_devicePfi15HIP_vector_typeIjLj3EEiiiSB_iiiSB_iiii.num_named_barrier, 0
	.set _ZL13mul_mat_vec_fI6__halffLi1ELi160ELb1ELb1EEvPKT_PKfPKi31ggml_cuda_mm_fusion_args_devicePfi15HIP_vector_typeIjLj3EEiiiSB_iiiSB_iiii.private_seg_size, 0
	.set _ZL13mul_mat_vec_fI6__halffLi1ELi160ELb1ELb1EEvPKT_PKfPKi31ggml_cuda_mm_fusion_args_devicePfi15HIP_vector_typeIjLj3EEiiiSB_iiiSB_iiii.uses_vcc, 1
	.set _ZL13mul_mat_vec_fI6__halffLi1ELi160ELb1ELb1EEvPKT_PKfPKi31ggml_cuda_mm_fusion_args_devicePfi15HIP_vector_typeIjLj3EEiiiSB_iiiSB_iiii.uses_flat_scratch, 0
	.set _ZL13mul_mat_vec_fI6__halffLi1ELi160ELb1ELb1EEvPKT_PKfPKi31ggml_cuda_mm_fusion_args_devicePfi15HIP_vector_typeIjLj3EEiiiSB_iiiSB_iiii.has_dyn_sized_stack, 0
	.set _ZL13mul_mat_vec_fI6__halffLi1ELi160ELb1ELb1EEvPKT_PKfPKi31ggml_cuda_mm_fusion_args_devicePfi15HIP_vector_typeIjLj3EEiiiSB_iiiSB_iiii.has_recursion, 0
	.set _ZL13mul_mat_vec_fI6__halffLi1ELi160ELb1ELb1EEvPKT_PKfPKi31ggml_cuda_mm_fusion_args_devicePfi15HIP_vector_typeIjLj3EEiiiSB_iiiSB_iiii.has_indirect_call, 0
	.section	.AMDGPU.csdata,"",@progbits
; Kernel info:
; codeLenInByte = 2152
; TotalNumSgprs: 42
; NumVgprs: 16
; ScratchSize: 0
; MemoryBound: 0
; FloatMode: 240
; IeeeMode: 1
; LDSByteSize: 0 bytes/workgroup (compile time only)
; SGPRBlocks: 0
; VGPRBlocks: 1
; NumSGPRsForWavesPerEU: 42
; NumVGPRsForWavesPerEU: 16
; Occupancy: 16
; WaveLimiterHint : 1
; COMPUTE_PGM_RSRC2:SCRATCH_EN: 0
; COMPUTE_PGM_RSRC2:USER_SGPR: 6
; COMPUTE_PGM_RSRC2:TRAP_HANDLER: 0
; COMPUTE_PGM_RSRC2:TGID_X_EN: 1
; COMPUTE_PGM_RSRC2:TGID_Y_EN: 1
; COMPUTE_PGM_RSRC2:TGID_Z_EN: 1
; COMPUTE_PGM_RSRC2:TIDIG_COMP_CNT: 0
	.section	.text._ZL13mul_mat_vec_fI6__halffLi1ELi160ELb0ELb1EEvPKT_PKfPKi31ggml_cuda_mm_fusion_args_devicePfi15HIP_vector_typeIjLj3EEiiiSB_iiiSB_iiii,"axG",@progbits,_ZL13mul_mat_vec_fI6__halffLi1ELi160ELb0ELb1EEvPKT_PKfPKi31ggml_cuda_mm_fusion_args_devicePfi15HIP_vector_typeIjLj3EEiiiSB_iiiSB_iiii,comdat
	.globl	_ZL13mul_mat_vec_fI6__halffLi1ELi160ELb0ELb1EEvPKT_PKfPKi31ggml_cuda_mm_fusion_args_devicePfi15HIP_vector_typeIjLj3EEiiiSB_iiiSB_iiii ; -- Begin function _ZL13mul_mat_vec_fI6__halffLi1ELi160ELb0ELb1EEvPKT_PKfPKi31ggml_cuda_mm_fusion_args_devicePfi15HIP_vector_typeIjLj3EEiiiSB_iiiSB_iiii
	.p2align	8
	.type	_ZL13mul_mat_vec_fI6__halffLi1ELi160ELb0ELb1EEvPKT_PKfPKi31ggml_cuda_mm_fusion_args_devicePfi15HIP_vector_typeIjLj3EEiiiSB_iiiSB_iiii,@function
_ZL13mul_mat_vec_fI6__halffLi1ELi160ELb0ELb1EEvPKT_PKfPKi31ggml_cuda_mm_fusion_args_devicePfi15HIP_vector_typeIjLj3EEiiiSB_iiiSB_iiii: ; @_ZL13mul_mat_vec_fI6__halffLi1ELi160ELb0ELb1EEvPKT_PKfPKi31ggml_cuda_mm_fusion_args_devicePfi15HIP_vector_typeIjLj3EEiiiSB_iiiSB_iiii
; %bb.0:
	s_clause 0x2
	s_load_dword s2, s[4:5], 0x8c
	s_load_dwordx2 s[0:1], s[4:5], 0x10
	s_load_dwordx8 s[12:19], s[4:5], 0x40
	v_cmp_gt_u32_e32 vcc_lo, 32, v0
	v_lshl_add_u32 v5, v0, 2, 0
	s_waitcnt lgkmcnt(0)
	s_mul_i32 s2, s2, s8
	s_add_i32 s2, s2, s7
	s_ashr_i32 s3, s2, 31
	s_lshl_b64 s[2:3], s[2:3], 2
	s_add_u32 s2, s0, s2
	s_addc_u32 s3, s1, s3
	s_and_saveexec_b32 s0, vcc_lo
; %bb.1:
	v_mov_b32_e32 v1, 0
	ds_write_b32 v5, v1
; %bb.2:
	s_or_b32 exec_lo, exec_lo, s0
	s_load_dwordx4 s[20:23], s[4:5], 0x68
	v_mov_b32_e32 v6, 0
	s_mov_b32 s9, exec_lo
	s_waitcnt lgkmcnt(0)
	s_barrier
	buffer_gl0_inv
	v_cmpx_gt_i32_e64 s12, v0
	s_cbranch_execz .LBB185_6
; %bb.3:
	s_load_dword s19, s[2:3], 0x0
	s_load_dwordx4 s[24:27], s[4:5], 0x0
	s_mul_hi_u32 s0, s13, s7
	s_mul_i32 s1, s8, s17
	s_add_i32 s0, s7, s0
	s_mul_i32 s2, s16, s6
	s_lshr_b32 s0, s0, s14
	v_lshlrev_b32_e32 v1, 3, v0
	s_mul_i32 s10, s0, s15
	s_lshl_b32 s0, s1, 1
	s_sub_i32 s10, s7, s10
	s_ashr_i32 s1, s0, 31
	s_mul_i32 s10, s10, s21
	s_ashr_i32 s3, s2, 31
	s_ashr_i32 s11, s10, 31
	s_lshl_b64 s[0:1], s[0:1], 2
	s_lshl_b64 s[10:11], s[10:11], 2
	v_lshlrev_b32_e32 v3, 2, v0
	v_mov_b32_e32 v6, 0
	v_mov_b32_e32 v7, v0
	s_waitcnt lgkmcnt(0)
	s_mul_i32 s14, s19, s20
	s_ashr_i32 s15, s14, 31
	s_add_u32 s10, s26, s10
	s_addc_u32 s11, s27, s11
	s_add_u32 s0, s10, s0
	s_addc_u32 s1, s11, s1
	v_add_co_u32 v1, s0, s0, v1
	v_add_co_ci_u32_e64 v2, null, s1, 0, s0
	s_lshl_b64 s[10:11], s[14:15], 1
	v_add_co_u32 v1, s0, v1, 4
	v_add_co_ci_u32_e64 v2, null, 0, v2, s0
	s_lshl_b64 s[0:1], s[2:3], 1
	s_add_u32 s2, s24, s10
	s_addc_u32 s3, s25, s11
	s_add_u32 s0, s2, s0
	s_addc_u32 s1, s3, s1
	v_add_co_u32 v3, s0, s0, v3
	v_add_co_ci_u32_e64 v4, null, s1, 0, s0
	s_mov_b32 s2, 0
	.p2align	6
.LBB185_4:                              ; =>This Inner Loop Header: Depth=1
	global_load_dword v10, v[3:4], off
	global_load_dwordx2 v[8:9], v[1:2], off offset:-4
	v_add_nc_u32_e32 v7, 0xa0, v7
	v_add_co_u32 v1, s0, 0x500, v1
	v_add_co_ci_u32_e64 v2, null, 0, v2, s0
	v_add_co_u32 v3, s0, 0x280, v3
	v_cmp_le_i32_e64 s1, s12, v7
	v_add_co_ci_u32_e64 v4, null, 0, v4, s0
	s_or_b32 s2, s1, s2
	s_waitcnt vmcnt(0)
	v_fma_mix_f32 v6, v8, v10, v6 op_sel_hi:[0,1,0]
	v_fma_mix_f32 v6, v9, v10, v6 op_sel:[0,1,0] op_sel_hi:[0,1,0]
	s_andn2_b32 exec_lo, exec_lo, s2
	s_cbranch_execnz .LBB185_4
; %bb.5:
	s_or_b32 exec_lo, exec_lo, s2
.LBB185_6:
	s_or_b32 exec_lo, exec_lo, s9
	v_mbcnt_lo_u32_b32 v2, -1, 0
	v_xor_b32_e32 v1, 16, v2
	v_xor_b32_e32 v3, 8, v2
	v_cmp_gt_i32_e64 s0, 32, v1
	v_cndmask_b32_e64 v1, v2, v1, s0
	v_cmp_gt_i32_e64 s0, 32, v3
	v_lshlrev_b32_e32 v1, 2, v1
	v_cndmask_b32_e64 v3, v2, v3, s0
	ds_bpermute_b32 v4, v1, v6
	v_lshlrev_b32_e32 v3, 2, v3
	s_waitcnt lgkmcnt(0)
	v_add_f32_e32 v6, v6, v4
	v_xor_b32_e32 v4, 4, v2
	ds_bpermute_b32 v7, v3, v6
	v_cmp_gt_i32_e64 s0, 32, v4
	v_cndmask_b32_e64 v4, v2, v4, s0
	v_lshlrev_b32_e32 v4, 2, v4
	s_waitcnt lgkmcnt(0)
	v_add_f32_e32 v7, v6, v7
	v_xor_b32_e32 v6, 2, v2
	ds_bpermute_b32 v8, v4, v7
	v_cmp_gt_i32_e64 s0, 32, v6
	v_cndmask_b32_e64 v6, v2, v6, s0
	;; [unrolled: 7-line block ×3, first 2 shown]
	v_lshlrev_b32_e32 v7, 2, v2
	s_waitcnt lgkmcnt(0)
	v_add_f32_e32 v2, v8, v9
	v_lshrrev_b32_e32 v9, 3, v0
	ds_bpermute_b32 v8, v7, v2
	v_and_b32_e32 v9, 0x7c, v9
	v_add_nc_u32_e32 v9, 0, v9
	s_waitcnt lgkmcnt(0)
	v_add_f32_e32 v2, v2, v8
	ds_write_b32 v9, v2
	s_waitcnt lgkmcnt(0)
	s_barrier
	buffer_gl0_inv
	s_and_saveexec_b32 s0, vcc_lo
	s_cbranch_execz .LBB185_8
; %bb.7:
	ds_read_b32 v2, v5
	s_waitcnt lgkmcnt(0)
	ds_bpermute_b32 v1, v1, v2
	s_waitcnt lgkmcnt(0)
	v_add_f32_e32 v1, v2, v1
	ds_bpermute_b32 v2, v3, v1
	s_waitcnt lgkmcnt(0)
	v_add_f32_e32 v1, v1, v2
	;; [unrolled: 3-line block ×5, first 2 shown]
.LBB185_8:
	s_or_b32 exec_lo, exec_lo, s0
	s_barrier
	buffer_gl0_inv
	s_mov_b32 s0, exec_lo
	v_cmpx_eq_u32_e32 0, v0
	s_cbranch_execz .LBB185_10
; %bb.9:
	s_load_dwordx2 s[0:1], s[4:5], 0x38
	s_mul_i32 s2, s22, s7
	s_mul_i32 s4, s18, s8
	s_ashr_i32 s3, s2, 31
	v_mov_b32_e32 v0, 0
	s_lshl_b64 s[2:3], s[2:3], 2
	s_waitcnt lgkmcnt(0)
	s_add_u32 s2, s0, s2
	s_addc_u32 s3, s1, s3
	s_ashr_i32 s5, s4, 31
	s_lshl_b64 s[0:1], s[4:5], 2
	s_add_u32 s2, s2, s0
	s_addc_u32 s3, s3, s1
	s_ashr_i32 s7, s6, 31
	s_lshl_b64 s[0:1], s[6:7], 2
	s_add_u32 s0, s2, s0
	s_addc_u32 s1, s3, s1
	global_store_dword v0, v2, s[0:1]
.LBB185_10:
	s_endpgm
	.section	.rodata,"a",@progbits
	.p2align	6, 0x0
	.amdhsa_kernel _ZL13mul_mat_vec_fI6__halffLi1ELi160ELb0ELb1EEvPKT_PKfPKi31ggml_cuda_mm_fusion_args_devicePfi15HIP_vector_typeIjLj3EEiiiSB_iiiSB_iiii
		.amdhsa_group_segment_fixed_size 0
		.amdhsa_private_segment_fixed_size 0
		.amdhsa_kernarg_size 144
		.amdhsa_user_sgpr_count 6
		.amdhsa_user_sgpr_private_segment_buffer 1
		.amdhsa_user_sgpr_dispatch_ptr 0
		.amdhsa_user_sgpr_queue_ptr 0
		.amdhsa_user_sgpr_kernarg_segment_ptr 1
		.amdhsa_user_sgpr_dispatch_id 0
		.amdhsa_user_sgpr_flat_scratch_init 0
		.amdhsa_user_sgpr_private_segment_size 0
		.amdhsa_wavefront_size32 1
		.amdhsa_uses_dynamic_stack 0
		.amdhsa_system_sgpr_private_segment_wavefront_offset 0
		.amdhsa_system_sgpr_workgroup_id_x 1
		.amdhsa_system_sgpr_workgroup_id_y 1
		.amdhsa_system_sgpr_workgroup_id_z 1
		.amdhsa_system_sgpr_workgroup_info 0
		.amdhsa_system_vgpr_workitem_id 0
		.amdhsa_next_free_vgpr 11
		.amdhsa_next_free_sgpr 28
		.amdhsa_reserve_vcc 1
		.amdhsa_reserve_flat_scratch 0
		.amdhsa_float_round_mode_32 0
		.amdhsa_float_round_mode_16_64 0
		.amdhsa_float_denorm_mode_32 3
		.amdhsa_float_denorm_mode_16_64 3
		.amdhsa_dx10_clamp 1
		.amdhsa_ieee_mode 1
		.amdhsa_fp16_overflow 0
		.amdhsa_workgroup_processor_mode 1
		.amdhsa_memory_ordered 1
		.amdhsa_forward_progress 1
		.amdhsa_shared_vgpr_count 0
		.amdhsa_exception_fp_ieee_invalid_op 0
		.amdhsa_exception_fp_denorm_src 0
		.amdhsa_exception_fp_ieee_div_zero 0
		.amdhsa_exception_fp_ieee_overflow 0
		.amdhsa_exception_fp_ieee_underflow 0
		.amdhsa_exception_fp_ieee_inexact 0
		.amdhsa_exception_int_div_zero 0
	.end_amdhsa_kernel
	.section	.text._ZL13mul_mat_vec_fI6__halffLi1ELi160ELb0ELb1EEvPKT_PKfPKi31ggml_cuda_mm_fusion_args_devicePfi15HIP_vector_typeIjLj3EEiiiSB_iiiSB_iiii,"axG",@progbits,_ZL13mul_mat_vec_fI6__halffLi1ELi160ELb0ELb1EEvPKT_PKfPKi31ggml_cuda_mm_fusion_args_devicePfi15HIP_vector_typeIjLj3EEiiiSB_iiiSB_iiii,comdat
.Lfunc_end185:
	.size	_ZL13mul_mat_vec_fI6__halffLi1ELi160ELb0ELb1EEvPKT_PKfPKi31ggml_cuda_mm_fusion_args_devicePfi15HIP_vector_typeIjLj3EEiiiSB_iiiSB_iiii, .Lfunc_end185-_ZL13mul_mat_vec_fI6__halffLi1ELi160ELb0ELb1EEvPKT_PKfPKi31ggml_cuda_mm_fusion_args_devicePfi15HIP_vector_typeIjLj3EEiiiSB_iiiSB_iiii
                                        ; -- End function
	.set _ZL13mul_mat_vec_fI6__halffLi1ELi160ELb0ELb1EEvPKT_PKfPKi31ggml_cuda_mm_fusion_args_devicePfi15HIP_vector_typeIjLj3EEiiiSB_iiiSB_iiii.num_vgpr, 11
	.set _ZL13mul_mat_vec_fI6__halffLi1ELi160ELb0ELb1EEvPKT_PKfPKi31ggml_cuda_mm_fusion_args_devicePfi15HIP_vector_typeIjLj3EEiiiSB_iiiSB_iiii.num_agpr, 0
	.set _ZL13mul_mat_vec_fI6__halffLi1ELi160ELb0ELb1EEvPKT_PKfPKi31ggml_cuda_mm_fusion_args_devicePfi15HIP_vector_typeIjLj3EEiiiSB_iiiSB_iiii.numbered_sgpr, 28
	.set _ZL13mul_mat_vec_fI6__halffLi1ELi160ELb0ELb1EEvPKT_PKfPKi31ggml_cuda_mm_fusion_args_devicePfi15HIP_vector_typeIjLj3EEiiiSB_iiiSB_iiii.num_named_barrier, 0
	.set _ZL13mul_mat_vec_fI6__halffLi1ELi160ELb0ELb1EEvPKT_PKfPKi31ggml_cuda_mm_fusion_args_devicePfi15HIP_vector_typeIjLj3EEiiiSB_iiiSB_iiii.private_seg_size, 0
	.set _ZL13mul_mat_vec_fI6__halffLi1ELi160ELb0ELb1EEvPKT_PKfPKi31ggml_cuda_mm_fusion_args_devicePfi15HIP_vector_typeIjLj3EEiiiSB_iiiSB_iiii.uses_vcc, 1
	.set _ZL13mul_mat_vec_fI6__halffLi1ELi160ELb0ELb1EEvPKT_PKfPKi31ggml_cuda_mm_fusion_args_devicePfi15HIP_vector_typeIjLj3EEiiiSB_iiiSB_iiii.uses_flat_scratch, 0
	.set _ZL13mul_mat_vec_fI6__halffLi1ELi160ELb0ELb1EEvPKT_PKfPKi31ggml_cuda_mm_fusion_args_devicePfi15HIP_vector_typeIjLj3EEiiiSB_iiiSB_iiii.has_dyn_sized_stack, 0
	.set _ZL13mul_mat_vec_fI6__halffLi1ELi160ELb0ELb1EEvPKT_PKfPKi31ggml_cuda_mm_fusion_args_devicePfi15HIP_vector_typeIjLj3EEiiiSB_iiiSB_iiii.has_recursion, 0
	.set _ZL13mul_mat_vec_fI6__halffLi1ELi160ELb0ELb1EEvPKT_PKfPKi31ggml_cuda_mm_fusion_args_devicePfi15HIP_vector_typeIjLj3EEiiiSB_iiiSB_iiii.has_indirect_call, 0
	.section	.AMDGPU.csdata,"",@progbits
; Kernel info:
; codeLenInByte = 956
; TotalNumSgprs: 30
; NumVgprs: 11
; ScratchSize: 0
; MemoryBound: 0
; FloatMode: 240
; IeeeMode: 1
; LDSByteSize: 0 bytes/workgroup (compile time only)
; SGPRBlocks: 0
; VGPRBlocks: 1
; NumSGPRsForWavesPerEU: 30
; NumVGPRsForWavesPerEU: 11
; Occupancy: 16
; WaveLimiterHint : 1
; COMPUTE_PGM_RSRC2:SCRATCH_EN: 0
; COMPUTE_PGM_RSRC2:USER_SGPR: 6
; COMPUTE_PGM_RSRC2:TRAP_HANDLER: 0
; COMPUTE_PGM_RSRC2:TGID_X_EN: 1
; COMPUTE_PGM_RSRC2:TGID_Y_EN: 1
; COMPUTE_PGM_RSRC2:TGID_Z_EN: 1
; COMPUTE_PGM_RSRC2:TIDIG_COMP_CNT: 0
	.section	.text._ZL13mul_mat_vec_fI6__halffLi1ELi192ELb1ELb1EEvPKT_PKfPKi31ggml_cuda_mm_fusion_args_devicePfi15HIP_vector_typeIjLj3EEiiiSB_iiiSB_iiii,"axG",@progbits,_ZL13mul_mat_vec_fI6__halffLi1ELi192ELb1ELb1EEvPKT_PKfPKi31ggml_cuda_mm_fusion_args_devicePfi15HIP_vector_typeIjLj3EEiiiSB_iiiSB_iiii,comdat
	.globl	_ZL13mul_mat_vec_fI6__halffLi1ELi192ELb1ELb1EEvPKT_PKfPKi31ggml_cuda_mm_fusion_args_devicePfi15HIP_vector_typeIjLj3EEiiiSB_iiiSB_iiii ; -- Begin function _ZL13mul_mat_vec_fI6__halffLi1ELi192ELb1ELb1EEvPKT_PKfPKi31ggml_cuda_mm_fusion_args_devicePfi15HIP_vector_typeIjLj3EEiiiSB_iiiSB_iiii
	.p2align	8
	.type	_ZL13mul_mat_vec_fI6__halffLi1ELi192ELb1ELb1EEvPKT_PKfPKi31ggml_cuda_mm_fusion_args_devicePfi15HIP_vector_typeIjLj3EEiiiSB_iiiSB_iiii,@function
_ZL13mul_mat_vec_fI6__halffLi1ELi192ELb1ELb1EEvPKT_PKfPKi31ggml_cuda_mm_fusion_args_devicePfi15HIP_vector_typeIjLj3EEiiiSB_iiiSB_iiii: ; @_ZL13mul_mat_vec_fI6__halffLi1ELi192ELb1ELb1EEvPKT_PKfPKi31ggml_cuda_mm_fusion_args_devicePfi15HIP_vector_typeIjLj3EEiiiSB_iiiSB_iiii
; %bb.0:
	s_clause 0x3
	s_load_dword s1, s[4:5], 0x8c
	s_load_dwordx8 s[20:27], s[4:5], 0x0
	s_load_dwordx4 s[36:39], s[4:5], 0x20
	s_load_dwordx8 s[12:19], s[4:5], 0x40
	v_lshl_add_u32 v8, v0, 2, 0
	s_mov_b32 s0, s7
	s_waitcnt lgkmcnt(0)
	s_mul_i32 s1, s1, s8
	s_add_i32 s2, s1, s7
	s_ashr_i32 s3, s2, 31
	s_lshl_b64 s[2:3], s[2:3], 2
	s_add_u32 s10, s24, s2
	s_addc_u32 s11, s25, s3
	s_cmp_lg_u64 s[36:37], 0
	v_cmp_gt_u32_e64 s2, 32, v0
	s_cselect_b32 s1, -1, 0
	s_cmp_eq_u64 s[36:37], 0
	s_cselect_b32 s19, -1, 0
	s_and_saveexec_b32 s3, s2
	s_cbranch_execz .LBB186_3
; %bb.1:
	v_mov_b32_e32 v1, 0
	s_andn2_b32 vcc_lo, exec_lo, s1
	ds_write_b32 v8, v1
	s_cbranch_vccnz .LBB186_3
; %bb.2:
	ds_write_b32 v8, v1 offset:128
.LBB186_3:
	s_or_b32 exec_lo, exec_lo, s3
	s_load_dword s7, s[10:11], 0x0
	s_load_dwordx4 s[28:31], s[4:5], 0x68
	v_mov_b32_e32 v7, 0
	v_mov_b32_e32 v9, 0
	s_mov_b32 s9, exec_lo
	s_waitcnt lgkmcnt(0)
	s_barrier
	buffer_gl0_inv
	v_cmpx_gt_i32_e64 s12, v0
	s_cbranch_execz .LBB186_10
; %bb.4:
	s_mul_hi_u32 s3, s13, s0
	s_mul_i32 s10, s7, s28
	s_add_i32 s3, s0, s3
	s_mul_i32 s11, s16, s6
	s_lshr_b32 s3, s3, s14
	s_ashr_i32 s13, s10, 31
	s_mul_i32 s3, s3, s15
	s_ashr_i32 s14, s11, 31
	s_sub_i32 s3, s0, s3
	s_add_u32 s10, s10, s11
	s_addc_u32 s11, s13, s14
	s_mul_i32 s13, s8, s17
	s_mul_i32 s14, s3, s29
	s_lshl_b32 s16, s13, 1
	s_ashr_i32 s15, s14, 31
	s_ashr_i32 s17, s16, 31
	s_and_b32 s3, s1, exec_lo
	s_cselect_b32 s29, s11, 0
	s_cselect_b32 s28, s10, 0
	v_lshlrev_b32_e32 v5, 2, v0
	s_cselect_b32 s3, s37, 0
	s_cselect_b32 s13, s36, 0
	s_lshl_b64 s[28:29], s[28:29], 1
	v_lshlrev_b32_e32 v3, 3, v0
	s_add_u32 s13, s13, s28
	s_addc_u32 s3, s3, s29
	v_add_co_u32 v1, s13, s13, v5
	s_lshl_b64 s[14:15], s[14:15], 2
	s_lshl_b64 s[16:17], s[16:17], 2
	v_add_co_ci_u32_e64 v2, null, s3, 0, s13
	s_add_u32 s3, s22, s14
	s_addc_u32 s13, s23, s15
	s_add_u32 s3, s3, s16
	s_addc_u32 s13, s13, s17
	v_add_co_u32 v3, s3, s3, v3
	s_lshl_b64 s[10:11], s[10:11], 1
	v_add_co_ci_u32_e64 v4, null, s13, 0, s3
	s_add_u32 s3, s20, s10
	v_add_co_u32 v3, vcc_lo, v3, 4
	s_addc_u32 s10, s21, s11
	v_add_co_u32 v5, s3, s3, v5
	v_mov_b32_e32 v7, 0
	v_add_co_ci_u32_e64 v4, null, 0, v4, vcc_lo
	v_add_co_ci_u32_e64 v6, null, s10, 0, s3
	v_mov_b32_e32 v10, v0
	v_mov_b32_e32 v9, 0
	s_mov_b32 s10, 0
	s_inst_prefetch 0x1
	s_branch .LBB186_7
	.p2align	6
.LBB186_5:                              ;   in Loop: Header=BB186_7 Depth=1
	global_load_dword v12, v[1:2], off
	s_waitcnt vmcnt(0)
	v_cvt_f32_f16_e32 v13, v12
	v_cvt_f32_f16_sdwa v12, v12 dst_sel:DWORD dst_unused:UNUSED_PAD src0_sel:WORD_1
.LBB186_6:                              ;   in Loop: Header=BB186_7 Depth=1
	global_load_dwordx2 v[14:15], v[3:4], off offset:-4
	v_add_nc_u32_e32 v10, 0xc0, v10
	v_add_co_u32 v1, vcc_lo, 0x300, v1
	v_add_co_ci_u32_e64 v2, null, 0, v2, vcc_lo
	v_add_co_u32 v3, vcc_lo, 0x600, v3
	v_add_co_ci_u32_e64 v4, null, 0, v4, vcc_lo
	v_cmp_le_i32_e32 vcc_lo, s12, v10
	v_add_co_u32 v5, s3, 0x300, v5
	v_add_co_ci_u32_e64 v6, null, 0, v6, s3
	s_or_b32 s10, vcc_lo, s10
	s_waitcnt vmcnt(0)
	v_fma_f32 v13, v14, v13, v7
	v_fma_mix_f32 v9, v14, v11, v9 op_sel_hi:[0,1,0]
	v_fmac_f32_e32 v13, v15, v12
	v_fma_mix_f32 v9, v15, v11, v9 op_sel:[0,1,0] op_sel_hi:[0,1,0]
	v_cndmask_b32_e64 v7, v7, v13, s1
	s_andn2_b32 exec_lo, exec_lo, s10
	s_cbranch_execz .LBB186_9
.LBB186_7:                              ; =>This Inner Loop Header: Depth=1
	global_load_dword v11, v[5:6], off
	s_andn2_b32 vcc_lo, exec_lo, s1
	s_cbranch_vccz .LBB186_5
; %bb.8:                                ;   in Loop: Header=BB186_7 Depth=1
	v_mov_b32_e32 v12, 0
	v_mov_b32_e32 v13, 0
	s_branch .LBB186_6
.LBB186_9:
	s_inst_prefetch 0x2
	s_or_b32 exec_lo, exec_lo, s10
.LBB186_10:
	s_or_b32 exec_lo, exec_lo, s9
	v_mbcnt_lo_u32_b32 v1, -1, 0
	s_load_dword s9, s[4:5], 0x30
	s_mov_b32 s3, -1
	v_xor_b32_e32 v2, 16, v1
	v_xor_b32_e32 v3, 8, v1
	v_cmp_gt_i32_e32 vcc_lo, 32, v2
	v_cndmask_b32_e32 v2, v1, v2, vcc_lo
	v_cmp_gt_i32_e32 vcc_lo, 32, v3
	v_lshlrev_b32_e32 v2, 2, v2
	v_cndmask_b32_e32 v3, v1, v3, vcc_lo
	ds_bpermute_b32 v4, v2, v9
	v_lshlrev_b32_e32 v3, 2, v3
	s_waitcnt lgkmcnt(0)
	v_add_f32_e32 v5, v9, v4
	v_xor_b32_e32 v4, 4, v1
	ds_bpermute_b32 v6, v3, v5
	v_cmp_gt_i32_e32 vcc_lo, 32, v4
	v_cndmask_b32_e32 v4, v1, v4, vcc_lo
	v_lshlrev_b32_e32 v4, 2, v4
	s_waitcnt lgkmcnt(0)
	v_add_f32_e32 v6, v5, v6
	v_xor_b32_e32 v5, 2, v1
	ds_bpermute_b32 v9, v4, v6
	v_cmp_gt_i32_e32 vcc_lo, 32, v5
	v_cndmask_b32_e32 v5, v1, v5, vcc_lo
	;; [unrolled: 7-line block ×3, first 2 shown]
	s_and_b32 vcc_lo, exec_lo, s19
	v_lshlrev_b32_e32 v6, 2, v1
	s_waitcnt lgkmcnt(0)
	v_add_f32_e32 v1, v9, v10
	v_lshrrev_b32_e32 v10, 5, v0
	ds_bpermute_b32 v9, v6, v1
	s_waitcnt lgkmcnt(0)
	v_add_f32_e32 v1, v1, v9
	v_lshl_add_u32 v9, v10, 2, 0
	s_cbranch_vccz .LBB186_12
; %bb.11:
	s_mov_b32 s3, 0
	ds_write_b32 v9, v1
.LBB186_12:
	s_andn2_b32 vcc_lo, exec_lo, s3
	s_cbranch_vccnz .LBB186_14
; %bb.13:
	ds_bpermute_b32 v10, v2, v7
	s_waitcnt lgkmcnt(0)
	v_add_f32_e32 v7, v7, v10
	ds_bpermute_b32 v10, v3, v7
	s_waitcnt lgkmcnt(0)
	v_add_f32_e32 v7, v7, v10
	;; [unrolled: 3-line block ×5, first 2 shown]
	ds_write2_b32 v9, v1, v7 offset1:32
.LBB186_14:
	s_waitcnt lgkmcnt(0)
	s_barrier
	buffer_gl0_inv
	s_and_saveexec_b32 s3, s2
	s_cbranch_execz .LBB186_18
; %bb.15:
	ds_read_b32 v1, v8
	s_andn2_b32 vcc_lo, exec_lo, s1
	s_waitcnt lgkmcnt(0)
	ds_bpermute_b32 v9, v2, v1
	s_waitcnt lgkmcnt(0)
	v_add_f32_e32 v1, v1, v9
	ds_bpermute_b32 v9, v3, v1
	s_waitcnt lgkmcnt(0)
	v_add_f32_e32 v1, v1, v9
	ds_bpermute_b32 v9, v4, v1
	s_waitcnt lgkmcnt(0)
	v_add_f32_e32 v1, v1, v9
	ds_bpermute_b32 v9, v5, v1
	s_waitcnt lgkmcnt(0)
	v_add_f32_e32 v1, v1, v9
	ds_bpermute_b32 v9, v6, v1
	s_cbranch_vccnz .LBB186_17
; %bb.16:
	ds_read_b32 v7, v8 offset:128
	s_waitcnt lgkmcnt(0)
	ds_bpermute_b32 v2, v2, v7
	s_waitcnt lgkmcnt(0)
	v_add_f32_e32 v2, v7, v2
	ds_bpermute_b32 v3, v3, v2
	s_waitcnt lgkmcnt(0)
	v_add_f32_e32 v2, v2, v3
	;; [unrolled: 3-line block ×5, first 2 shown]
.LBB186_17:
	s_waitcnt lgkmcnt(0)
	v_add_f32_e32 v1, v1, v9
.LBB186_18:
	s_or_b32 exec_lo, exec_lo, s3
	s_barrier
	buffer_gl0_inv
	s_mov_b32 s2, exec_lo
	v_cmpx_eq_u32_e32 0, v0
	s_cbranch_execz .LBB186_42
; %bb.19:
	s_cmp_eq_u64 s[26:27], 0
	s_cselect_b32 s10, -1, 0
	s_cmp_eq_u64 s[24:25], 0
	s_cselect_b32 s2, s0, s7
	s_mul_i32 s2, s2, s30
	s_ashr_i32 s3, s2, 31
	s_and_b32 vcc_lo, exec_lo, s10
	s_cbranch_vccnz .LBB186_21
; %bb.20:
	s_cselect_b32 s7, 0, s27
	s_cselect_b32 s12, 0, s26
	s_lshl_b64 s[10:11], s[2:3], 2
	s_add_u32 s12, s12, s10
	s_addc_u32 s13, s7, s11
	s_ashr_i32 s7, s6, 31
	s_lshl_b64 s[10:11], s[6:7], 2
	s_add_u32 s10, s12, s10
	s_addc_u32 s11, s13, s11
	s_load_dword s7, s[10:11], 0x0
	s_waitcnt lgkmcnt(0)
	v_add_f32_e32 v1, s7, v1
.LBB186_21:
	s_andn2_b32 vcc_lo, exec_lo, s1
	s_cbranch_vccnz .LBB186_41
; %bb.22:
	s_cmp_lg_u64 s[38:39], 0
	s_cselect_b32 s7, -1, 0
	s_and_b32 s1, s7, s1
	s_andn2_b32 vcc_lo, exec_lo, s1
	s_cbranch_vccnz .LBB186_24
; %bb.23:
	s_and_b32 s7, s7, exec_lo
	s_cselect_b32 s7, s39, 0
	s_cselect_b32 s10, s38, 0
	s_and_b32 s1, s1, exec_lo
	s_cselect_b32 s3, s3, 0
	s_cselect_b32 s2, s2, 0
	s_lshl_b64 s[2:3], s[2:3], 2
	s_add_u32 s1, s10, s2
	s_addc_u32 s10, s7, s3
	s_ashr_i32 s7, s6, 31
	s_lshl_b64 s[2:3], s[6:7], 2
	s_add_u32 s2, s1, s2
	s_addc_u32 s3, s10, s3
	s_load_dword s1, s[2:3], 0x0
	s_waitcnt lgkmcnt(0)
	v_add_f32_e32 v7, s1, v7
.LBB186_24:
	s_cmp_lt_i32 s9, 2
	s_cbranch_scc1 .LBB186_29
; %bb.25:
	s_cmp_lt_i32 s9, 3
	s_cbranch_scc1 .LBB186_30
; %bb.26:
	v_mov_b32_e32 v0, v1
	s_cmp_eq_u32 s9, 3
	s_cbranch_scc0 .LBB186_28
; %bb.27:
	v_max_f32_e32 v0, v7, v7
	v_min_f32_e32 v0, 0x40e00000, v0
	v_mul_f32_e32 v2, 0xbfd9db23, v0
	v_mul_f32_e32 v3, 0x3fb8aa3b, v2
	v_cmp_ngt_f32_e32 vcc_lo, 0xc2ce8ed0, v2
	v_fma_f32 v4, 0x3fb8aa3b, v2, -v3
	v_rndne_f32_e32 v5, v3
	v_fmamk_f32 v4, v2, 0x32a5705f, v4
	v_sub_f32_e32 v3, v3, v5
	v_add_f32_e32 v3, v3, v4
	v_cvt_i32_f32_e32 v4, v5
	v_exp_f32_e32 v3, v3
	v_ldexp_f32 v3, v3, v4
	v_cndmask_b32_e32 v3, 0, v3, vcc_lo
	v_cmp_nlt_f32_e32 vcc_lo, 0x42b17218, v2
	v_cndmask_b32_e32 v2, 0x7f800000, v3, vcc_lo
	v_add_f32_e32 v2, 1.0, v2
	v_div_scale_f32 v3, null, v2, v2, v0
	v_div_scale_f32 v6, vcc_lo, v0, v2, v0
	v_rcp_f32_e32 v4, v3
	v_fma_f32 v5, -v3, v4, 1.0
	v_fmac_f32_e32 v4, v5, v4
	v_mul_f32_e32 v5, v6, v4
	v_fma_f32 v8, -v3, v5, v6
	v_fmac_f32_e32 v5, v8, v4
	v_max_f32_e32 v8, v1, v1
	v_fma_f32 v3, -v3, v5, v6
	v_min_f32_e32 v6, 0x40e00000, v8
	v_div_fmas_f32 v3, v3, v4, v5
	v_max_f32_e32 v4, 0xc0e00000, v6
	v_div_fixup_f32 v0, v3, v2, v0
	v_add_f32_e32 v2, 1.0, v4
	v_mul_f32_e32 v0, v2, v0
.LBB186_28:
	s_cbranch_execz .LBB186_31
	s_branch .LBB186_32
.LBB186_29:
                                        ; implicit-def: $vgpr0
	s_branch .LBB186_33
.LBB186_30:
                                        ; implicit-def: $vgpr0
.LBB186_31:
	v_mul_f32_e32 v0, 0xbfb8aa3b, v7
	v_cmp_nlt_f32_e32 vcc_lo, 0x42ce8ed0, v7
	v_rndne_f32_e32 v2, v0
	v_fma_f32 v3, 0xbfb8aa3b, v7, -v0
	v_sub_f32_e32 v0, v0, v2
	v_fmamk_f32 v3, v7, 0xb2a5705f, v3
	v_cvt_i32_f32_e32 v2, v2
	v_add_f32_e32 v0, v0, v3
	v_exp_f32_e32 v0, v0
	v_ldexp_f32 v0, v0, v2
	v_cndmask_b32_e32 v0, 0, v0, vcc_lo
	v_cmp_ngt_f32_e32 vcc_lo, 0xc2b17218, v7
	v_cndmask_b32_e32 v0, 0x7f800000, v0, vcc_lo
	v_add_f32_e32 v0, 1.0, v0
	v_div_scale_f32 v2, null, v0, v0, v7
	v_rcp_f32_e32 v3, v2
	v_fma_f32 v4, -v2, v3, 1.0
	v_fmac_f32_e32 v3, v4, v3
	v_div_scale_f32 v4, vcc_lo, v7, v0, v7
	v_mul_f32_e32 v5, v4, v3
	v_fma_f32 v6, -v2, v5, v4
	v_fmac_f32_e32 v5, v6, v3
	v_fma_f32 v2, -v2, v5, v4
	v_div_fmas_f32 v2, v2, v3, v5
	v_div_fixup_f32 v0, v2, v0, v7
	v_mul_f32_e32 v0, v1, v0
.LBB186_32:
	s_cbranch_execnz .LBB186_40
.LBB186_33:
	s_cmp_eq_u32 s9, 1
	s_cbranch_scc0 .LBB186_39
; %bb.34:
	v_mul_f32_e32 v0, 0x3d372713, v7
	v_mul_f32_e32 v2, 0x3f4c422a, v7
	v_fma_f32 v0, v7, v0, 1.0
	v_mul_f32_e32 v0, v2, v0
                                        ; implicit-def: $vgpr2
	v_cmp_ngt_f32_e64 s1, 0x3f200000, |v0|
	s_and_saveexec_b32 s2, s1
	s_xor_b32 s1, exec_lo, s2
	s_cbranch_execz .LBB186_36
; %bb.35:
	v_add_f32_e64 v2, |v0|, |v0|
	v_mul_f32_e32 v3, 0x3fb8aa3b, v2
	v_cmp_ngt_f32_e32 vcc_lo, 0xc2ce8ed0, v2
	v_rndne_f32_e32 v4, v3
	v_fma_f32 v5, 0x3fb8aa3b, v2, -v3
	v_sub_f32_e32 v3, v3, v4
	v_fmamk_f32 v5, v2, 0x32a5705f, v5
	v_cvt_i32_f32_e32 v4, v4
	v_add_f32_e32 v3, v3, v5
	v_exp_f32_e32 v3, v3
	v_ldexp_f32 v3, v3, v4
	v_cndmask_b32_e32 v3, 0, v3, vcc_lo
	v_cmp_nlt_f32_e32 vcc_lo, 0x42b17218, v2
	v_cndmask_b32_e32 v2, 0x7f800000, v3, vcc_lo
	v_add_f32_e32 v2, 1.0, v2
	v_rcp_f32_e32 v2, v2
	v_fma_f32 v2, v2, -2.0, 1.0
.LBB186_36:
	s_andn2_saveexec_b32 s1, s1
	s_cbranch_execz .LBB186_38
; %bb.37:
	v_mul_f32_e32 v2, v0, v0
	s_mov_b32 s2, 0xbbbac73d
	v_fmaak_f32 v3, s2, v2, 0x3ca908c9
	v_fmaak_f32 v3, v2, v3, 0xbd5c1c4e
	;; [unrolled: 1-line block ×4, first 2 shown]
	v_mul_f32_e64 v3, |v0|, v3
	v_fma_f32 v2, v2, v3, |v0|
.LBB186_38:
	s_or_b32 exec_lo, exec_lo, s1
	v_bfi_b32 v0, 0x7fffffff, v2, v0
	v_mul_f32_e32 v2, 0.5, v7
	v_add_f32_e32 v0, 1.0, v0
	v_mul_f32_e32 v0, v2, v0
	v_mul_f32_e32 v1, v1, v0
.LBB186_39:
	v_mov_b32_e32 v0, v1
.LBB186_40:
	v_mov_b32_e32 v1, v0
.LBB186_41:
	s_load_dwordx2 s[2:3], s[4:5], 0x38
	s_mul_i32 s0, s30, s0
	s_mul_i32 s4, s18, s8
	s_ashr_i32 s1, s0, 31
	v_mov_b32_e32 v0, 0
	s_lshl_b64 s[0:1], s[0:1], 2
	s_waitcnt lgkmcnt(0)
	s_add_u32 s2, s2, s0
	s_addc_u32 s3, s3, s1
	s_ashr_i32 s5, s4, 31
	s_lshl_b64 s[0:1], s[4:5], 2
	s_add_u32 s2, s2, s0
	s_addc_u32 s3, s3, s1
	s_ashr_i32 s7, s6, 31
	s_lshl_b64 s[0:1], s[6:7], 2
	s_add_u32 s0, s2, s0
	s_addc_u32 s1, s3, s1
	global_store_dword v0, v1, s[0:1]
.LBB186_42:
	s_endpgm
	.section	.rodata,"a",@progbits
	.p2align	6, 0x0
	.amdhsa_kernel _ZL13mul_mat_vec_fI6__halffLi1ELi192ELb1ELb1EEvPKT_PKfPKi31ggml_cuda_mm_fusion_args_devicePfi15HIP_vector_typeIjLj3EEiiiSB_iiiSB_iiii
		.amdhsa_group_segment_fixed_size 0
		.amdhsa_private_segment_fixed_size 0
		.amdhsa_kernarg_size 144
		.amdhsa_user_sgpr_count 6
		.amdhsa_user_sgpr_private_segment_buffer 1
		.amdhsa_user_sgpr_dispatch_ptr 0
		.amdhsa_user_sgpr_queue_ptr 0
		.amdhsa_user_sgpr_kernarg_segment_ptr 1
		.amdhsa_user_sgpr_dispatch_id 0
		.amdhsa_user_sgpr_flat_scratch_init 0
		.amdhsa_user_sgpr_private_segment_size 0
		.amdhsa_wavefront_size32 1
		.amdhsa_uses_dynamic_stack 0
		.amdhsa_system_sgpr_private_segment_wavefront_offset 0
		.amdhsa_system_sgpr_workgroup_id_x 1
		.amdhsa_system_sgpr_workgroup_id_y 1
		.amdhsa_system_sgpr_workgroup_id_z 1
		.amdhsa_system_sgpr_workgroup_info 0
		.amdhsa_system_vgpr_workitem_id 0
		.amdhsa_next_free_vgpr 16
		.amdhsa_next_free_sgpr 40
		.amdhsa_reserve_vcc 1
		.amdhsa_reserve_flat_scratch 0
		.amdhsa_float_round_mode_32 0
		.amdhsa_float_round_mode_16_64 0
		.amdhsa_float_denorm_mode_32 3
		.amdhsa_float_denorm_mode_16_64 3
		.amdhsa_dx10_clamp 1
		.amdhsa_ieee_mode 1
		.amdhsa_fp16_overflow 0
		.amdhsa_workgroup_processor_mode 1
		.amdhsa_memory_ordered 1
		.amdhsa_forward_progress 1
		.amdhsa_shared_vgpr_count 0
		.amdhsa_exception_fp_ieee_invalid_op 0
		.amdhsa_exception_fp_denorm_src 0
		.amdhsa_exception_fp_ieee_div_zero 0
		.amdhsa_exception_fp_ieee_overflow 0
		.amdhsa_exception_fp_ieee_underflow 0
		.amdhsa_exception_fp_ieee_inexact 0
		.amdhsa_exception_int_div_zero 0
	.end_amdhsa_kernel
	.section	.text._ZL13mul_mat_vec_fI6__halffLi1ELi192ELb1ELb1EEvPKT_PKfPKi31ggml_cuda_mm_fusion_args_devicePfi15HIP_vector_typeIjLj3EEiiiSB_iiiSB_iiii,"axG",@progbits,_ZL13mul_mat_vec_fI6__halffLi1ELi192ELb1ELb1EEvPKT_PKfPKi31ggml_cuda_mm_fusion_args_devicePfi15HIP_vector_typeIjLj3EEiiiSB_iiiSB_iiii,comdat
.Lfunc_end186:
	.size	_ZL13mul_mat_vec_fI6__halffLi1ELi192ELb1ELb1EEvPKT_PKfPKi31ggml_cuda_mm_fusion_args_devicePfi15HIP_vector_typeIjLj3EEiiiSB_iiiSB_iiii, .Lfunc_end186-_ZL13mul_mat_vec_fI6__halffLi1ELi192ELb1ELb1EEvPKT_PKfPKi31ggml_cuda_mm_fusion_args_devicePfi15HIP_vector_typeIjLj3EEiiiSB_iiiSB_iiii
                                        ; -- End function
	.set _ZL13mul_mat_vec_fI6__halffLi1ELi192ELb1ELb1EEvPKT_PKfPKi31ggml_cuda_mm_fusion_args_devicePfi15HIP_vector_typeIjLj3EEiiiSB_iiiSB_iiii.num_vgpr, 16
	.set _ZL13mul_mat_vec_fI6__halffLi1ELi192ELb1ELb1EEvPKT_PKfPKi31ggml_cuda_mm_fusion_args_devicePfi15HIP_vector_typeIjLj3EEiiiSB_iiiSB_iiii.num_agpr, 0
	.set _ZL13mul_mat_vec_fI6__halffLi1ELi192ELb1ELb1EEvPKT_PKfPKi31ggml_cuda_mm_fusion_args_devicePfi15HIP_vector_typeIjLj3EEiiiSB_iiiSB_iiii.numbered_sgpr, 40
	.set _ZL13mul_mat_vec_fI6__halffLi1ELi192ELb1ELb1EEvPKT_PKfPKi31ggml_cuda_mm_fusion_args_devicePfi15HIP_vector_typeIjLj3EEiiiSB_iiiSB_iiii.num_named_barrier, 0
	.set _ZL13mul_mat_vec_fI6__halffLi1ELi192ELb1ELb1EEvPKT_PKfPKi31ggml_cuda_mm_fusion_args_devicePfi15HIP_vector_typeIjLj3EEiiiSB_iiiSB_iiii.private_seg_size, 0
	.set _ZL13mul_mat_vec_fI6__halffLi1ELi192ELb1ELb1EEvPKT_PKfPKi31ggml_cuda_mm_fusion_args_devicePfi15HIP_vector_typeIjLj3EEiiiSB_iiiSB_iiii.uses_vcc, 1
	.set _ZL13mul_mat_vec_fI6__halffLi1ELi192ELb1ELb1EEvPKT_PKfPKi31ggml_cuda_mm_fusion_args_devicePfi15HIP_vector_typeIjLj3EEiiiSB_iiiSB_iiii.uses_flat_scratch, 0
	.set _ZL13mul_mat_vec_fI6__halffLi1ELi192ELb1ELb1EEvPKT_PKfPKi31ggml_cuda_mm_fusion_args_devicePfi15HIP_vector_typeIjLj3EEiiiSB_iiiSB_iiii.has_dyn_sized_stack, 0
	.set _ZL13mul_mat_vec_fI6__halffLi1ELi192ELb1ELb1EEvPKT_PKfPKi31ggml_cuda_mm_fusion_args_devicePfi15HIP_vector_typeIjLj3EEiiiSB_iiiSB_iiii.has_recursion, 0
	.set _ZL13mul_mat_vec_fI6__halffLi1ELi192ELb1ELb1EEvPKT_PKfPKi31ggml_cuda_mm_fusion_args_devicePfi15HIP_vector_typeIjLj3EEiiiSB_iiiSB_iiii.has_indirect_call, 0
	.section	.AMDGPU.csdata,"",@progbits
; Kernel info:
; codeLenInByte = 2152
; TotalNumSgprs: 42
; NumVgprs: 16
; ScratchSize: 0
; MemoryBound: 0
; FloatMode: 240
; IeeeMode: 1
; LDSByteSize: 0 bytes/workgroup (compile time only)
; SGPRBlocks: 0
; VGPRBlocks: 1
; NumSGPRsForWavesPerEU: 42
; NumVGPRsForWavesPerEU: 16
; Occupancy: 16
; WaveLimiterHint : 1
; COMPUTE_PGM_RSRC2:SCRATCH_EN: 0
; COMPUTE_PGM_RSRC2:USER_SGPR: 6
; COMPUTE_PGM_RSRC2:TRAP_HANDLER: 0
; COMPUTE_PGM_RSRC2:TGID_X_EN: 1
; COMPUTE_PGM_RSRC2:TGID_Y_EN: 1
; COMPUTE_PGM_RSRC2:TGID_Z_EN: 1
; COMPUTE_PGM_RSRC2:TIDIG_COMP_CNT: 0
	.section	.text._ZL13mul_mat_vec_fI6__halffLi1ELi192ELb0ELb1EEvPKT_PKfPKi31ggml_cuda_mm_fusion_args_devicePfi15HIP_vector_typeIjLj3EEiiiSB_iiiSB_iiii,"axG",@progbits,_ZL13mul_mat_vec_fI6__halffLi1ELi192ELb0ELb1EEvPKT_PKfPKi31ggml_cuda_mm_fusion_args_devicePfi15HIP_vector_typeIjLj3EEiiiSB_iiiSB_iiii,comdat
	.globl	_ZL13mul_mat_vec_fI6__halffLi1ELi192ELb0ELb1EEvPKT_PKfPKi31ggml_cuda_mm_fusion_args_devicePfi15HIP_vector_typeIjLj3EEiiiSB_iiiSB_iiii ; -- Begin function _ZL13mul_mat_vec_fI6__halffLi1ELi192ELb0ELb1EEvPKT_PKfPKi31ggml_cuda_mm_fusion_args_devicePfi15HIP_vector_typeIjLj3EEiiiSB_iiiSB_iiii
	.p2align	8
	.type	_ZL13mul_mat_vec_fI6__halffLi1ELi192ELb0ELb1EEvPKT_PKfPKi31ggml_cuda_mm_fusion_args_devicePfi15HIP_vector_typeIjLj3EEiiiSB_iiiSB_iiii,@function
_ZL13mul_mat_vec_fI6__halffLi1ELi192ELb0ELb1EEvPKT_PKfPKi31ggml_cuda_mm_fusion_args_devicePfi15HIP_vector_typeIjLj3EEiiiSB_iiiSB_iiii: ; @_ZL13mul_mat_vec_fI6__halffLi1ELi192ELb0ELb1EEvPKT_PKfPKi31ggml_cuda_mm_fusion_args_devicePfi15HIP_vector_typeIjLj3EEiiiSB_iiiSB_iiii
; %bb.0:
	s_clause 0x2
	s_load_dword s2, s[4:5], 0x8c
	s_load_dwordx2 s[0:1], s[4:5], 0x10
	s_load_dwordx8 s[12:19], s[4:5], 0x40
	v_cmp_gt_u32_e32 vcc_lo, 32, v0
	v_lshl_add_u32 v5, v0, 2, 0
	s_waitcnt lgkmcnt(0)
	s_mul_i32 s2, s2, s8
	s_add_i32 s2, s2, s7
	s_ashr_i32 s3, s2, 31
	s_lshl_b64 s[2:3], s[2:3], 2
	s_add_u32 s2, s0, s2
	s_addc_u32 s3, s1, s3
	s_and_saveexec_b32 s0, vcc_lo
; %bb.1:
	v_mov_b32_e32 v1, 0
	ds_write_b32 v5, v1
; %bb.2:
	s_or_b32 exec_lo, exec_lo, s0
	s_load_dwordx4 s[20:23], s[4:5], 0x68
	v_mov_b32_e32 v6, 0
	s_mov_b32 s9, exec_lo
	s_waitcnt lgkmcnt(0)
	s_barrier
	buffer_gl0_inv
	v_cmpx_gt_i32_e64 s12, v0
	s_cbranch_execz .LBB187_6
; %bb.3:
	s_load_dword s19, s[2:3], 0x0
	s_load_dwordx4 s[24:27], s[4:5], 0x0
	s_mul_hi_u32 s0, s13, s7
	s_mul_i32 s1, s8, s17
	s_add_i32 s0, s7, s0
	s_mul_i32 s2, s16, s6
	s_lshr_b32 s0, s0, s14
	v_lshlrev_b32_e32 v1, 3, v0
	s_mul_i32 s10, s0, s15
	s_lshl_b32 s0, s1, 1
	s_sub_i32 s10, s7, s10
	s_ashr_i32 s1, s0, 31
	s_mul_i32 s10, s10, s21
	s_ashr_i32 s3, s2, 31
	s_ashr_i32 s11, s10, 31
	s_lshl_b64 s[0:1], s[0:1], 2
	s_lshl_b64 s[10:11], s[10:11], 2
	v_lshlrev_b32_e32 v3, 2, v0
	v_mov_b32_e32 v6, 0
	v_mov_b32_e32 v7, v0
	s_waitcnt lgkmcnt(0)
	s_mul_i32 s14, s19, s20
	s_ashr_i32 s15, s14, 31
	s_add_u32 s10, s26, s10
	s_addc_u32 s11, s27, s11
	s_add_u32 s0, s10, s0
	s_addc_u32 s1, s11, s1
	v_add_co_u32 v1, s0, s0, v1
	v_add_co_ci_u32_e64 v2, null, s1, 0, s0
	s_lshl_b64 s[10:11], s[14:15], 1
	v_add_co_u32 v1, s0, v1, 4
	v_add_co_ci_u32_e64 v2, null, 0, v2, s0
	s_lshl_b64 s[0:1], s[2:3], 1
	s_add_u32 s2, s24, s10
	s_addc_u32 s3, s25, s11
	s_add_u32 s0, s2, s0
	s_addc_u32 s1, s3, s1
	v_add_co_u32 v3, s0, s0, v3
	v_add_co_ci_u32_e64 v4, null, s1, 0, s0
	s_mov_b32 s2, 0
	.p2align	6
.LBB187_4:                              ; =>This Inner Loop Header: Depth=1
	global_load_dword v10, v[3:4], off
	global_load_dwordx2 v[8:9], v[1:2], off offset:-4
	v_add_nc_u32_e32 v7, 0xc0, v7
	v_add_co_u32 v1, s0, 0x600, v1
	v_add_co_ci_u32_e64 v2, null, 0, v2, s0
	v_add_co_u32 v3, s0, 0x300, v3
	v_cmp_le_i32_e64 s1, s12, v7
	v_add_co_ci_u32_e64 v4, null, 0, v4, s0
	s_or_b32 s2, s1, s2
	s_waitcnt vmcnt(0)
	v_fma_mix_f32 v6, v8, v10, v6 op_sel_hi:[0,1,0]
	v_fma_mix_f32 v6, v9, v10, v6 op_sel:[0,1,0] op_sel_hi:[0,1,0]
	s_andn2_b32 exec_lo, exec_lo, s2
	s_cbranch_execnz .LBB187_4
; %bb.5:
	s_or_b32 exec_lo, exec_lo, s2
.LBB187_6:
	s_or_b32 exec_lo, exec_lo, s9
	v_mbcnt_lo_u32_b32 v2, -1, 0
	v_xor_b32_e32 v1, 16, v2
	v_xor_b32_e32 v3, 8, v2
	v_cmp_gt_i32_e64 s0, 32, v1
	v_cndmask_b32_e64 v1, v2, v1, s0
	v_cmp_gt_i32_e64 s0, 32, v3
	v_lshlrev_b32_e32 v1, 2, v1
	v_cndmask_b32_e64 v3, v2, v3, s0
	ds_bpermute_b32 v4, v1, v6
	v_lshlrev_b32_e32 v3, 2, v3
	s_waitcnt lgkmcnt(0)
	v_add_f32_e32 v6, v6, v4
	v_xor_b32_e32 v4, 4, v2
	ds_bpermute_b32 v7, v3, v6
	v_cmp_gt_i32_e64 s0, 32, v4
	v_cndmask_b32_e64 v4, v2, v4, s0
	v_lshlrev_b32_e32 v4, 2, v4
	s_waitcnt lgkmcnt(0)
	v_add_f32_e32 v7, v6, v7
	v_xor_b32_e32 v6, 2, v2
	ds_bpermute_b32 v8, v4, v7
	v_cmp_gt_i32_e64 s0, 32, v6
	v_cndmask_b32_e64 v6, v2, v6, s0
	v_lshlrev_b32_e32 v6, 2, v6
	s_waitcnt lgkmcnt(0)
	v_add_f32_e32 v8, v7, v8
	v_xor_b32_e32 v7, 1, v2
	ds_bpermute_b32 v9, v6, v8
	v_cmp_gt_i32_e64 s0, 32, v7
	v_cndmask_b32_e64 v2, v2, v7, s0
	v_lshlrev_b32_e32 v7, 2, v2
	s_waitcnt lgkmcnt(0)
	v_add_f32_e32 v2, v8, v9
	v_lshrrev_b32_e32 v9, 3, v0
	ds_bpermute_b32 v8, v7, v2
	v_and_b32_e32 v9, 0x7c, v9
	v_add_nc_u32_e32 v9, 0, v9
	s_waitcnt lgkmcnt(0)
	v_add_f32_e32 v2, v2, v8
	ds_write_b32 v9, v2
	s_waitcnt lgkmcnt(0)
	s_barrier
	buffer_gl0_inv
	s_and_saveexec_b32 s0, vcc_lo
	s_cbranch_execz .LBB187_8
; %bb.7:
	ds_read_b32 v2, v5
	s_waitcnt lgkmcnt(0)
	ds_bpermute_b32 v1, v1, v2
	s_waitcnt lgkmcnt(0)
	v_add_f32_e32 v1, v2, v1
	ds_bpermute_b32 v2, v3, v1
	s_waitcnt lgkmcnt(0)
	v_add_f32_e32 v1, v1, v2
	ds_bpermute_b32 v2, v4, v1
	s_waitcnt lgkmcnt(0)
	v_add_f32_e32 v1, v1, v2
	ds_bpermute_b32 v2, v6, v1
	s_waitcnt lgkmcnt(0)
	v_add_f32_e32 v1, v1, v2
	ds_bpermute_b32 v2, v7, v1
	s_waitcnt lgkmcnt(0)
	v_add_f32_e32 v2, v1, v2
.LBB187_8:
	s_or_b32 exec_lo, exec_lo, s0
	s_barrier
	buffer_gl0_inv
	s_mov_b32 s0, exec_lo
	v_cmpx_eq_u32_e32 0, v0
	s_cbranch_execz .LBB187_10
; %bb.9:
	s_load_dwordx2 s[0:1], s[4:5], 0x38
	s_mul_i32 s2, s22, s7
	s_mul_i32 s4, s18, s8
	s_ashr_i32 s3, s2, 31
	v_mov_b32_e32 v0, 0
	s_lshl_b64 s[2:3], s[2:3], 2
	s_waitcnt lgkmcnt(0)
	s_add_u32 s2, s0, s2
	s_addc_u32 s3, s1, s3
	s_ashr_i32 s5, s4, 31
	s_lshl_b64 s[0:1], s[4:5], 2
	s_add_u32 s2, s2, s0
	s_addc_u32 s3, s3, s1
	s_ashr_i32 s7, s6, 31
	s_lshl_b64 s[0:1], s[6:7], 2
	s_add_u32 s0, s2, s0
	s_addc_u32 s1, s3, s1
	global_store_dword v0, v2, s[0:1]
.LBB187_10:
	s_endpgm
	.section	.rodata,"a",@progbits
	.p2align	6, 0x0
	.amdhsa_kernel _ZL13mul_mat_vec_fI6__halffLi1ELi192ELb0ELb1EEvPKT_PKfPKi31ggml_cuda_mm_fusion_args_devicePfi15HIP_vector_typeIjLj3EEiiiSB_iiiSB_iiii
		.amdhsa_group_segment_fixed_size 0
		.amdhsa_private_segment_fixed_size 0
		.amdhsa_kernarg_size 144
		.amdhsa_user_sgpr_count 6
		.amdhsa_user_sgpr_private_segment_buffer 1
		.amdhsa_user_sgpr_dispatch_ptr 0
		.amdhsa_user_sgpr_queue_ptr 0
		.amdhsa_user_sgpr_kernarg_segment_ptr 1
		.amdhsa_user_sgpr_dispatch_id 0
		.amdhsa_user_sgpr_flat_scratch_init 0
		.amdhsa_user_sgpr_private_segment_size 0
		.amdhsa_wavefront_size32 1
		.amdhsa_uses_dynamic_stack 0
		.amdhsa_system_sgpr_private_segment_wavefront_offset 0
		.amdhsa_system_sgpr_workgroup_id_x 1
		.amdhsa_system_sgpr_workgroup_id_y 1
		.amdhsa_system_sgpr_workgroup_id_z 1
		.amdhsa_system_sgpr_workgroup_info 0
		.amdhsa_system_vgpr_workitem_id 0
		.amdhsa_next_free_vgpr 11
		.amdhsa_next_free_sgpr 28
		.amdhsa_reserve_vcc 1
		.amdhsa_reserve_flat_scratch 0
		.amdhsa_float_round_mode_32 0
		.amdhsa_float_round_mode_16_64 0
		.amdhsa_float_denorm_mode_32 3
		.amdhsa_float_denorm_mode_16_64 3
		.amdhsa_dx10_clamp 1
		.amdhsa_ieee_mode 1
		.amdhsa_fp16_overflow 0
		.amdhsa_workgroup_processor_mode 1
		.amdhsa_memory_ordered 1
		.amdhsa_forward_progress 1
		.amdhsa_shared_vgpr_count 0
		.amdhsa_exception_fp_ieee_invalid_op 0
		.amdhsa_exception_fp_denorm_src 0
		.amdhsa_exception_fp_ieee_div_zero 0
		.amdhsa_exception_fp_ieee_overflow 0
		.amdhsa_exception_fp_ieee_underflow 0
		.amdhsa_exception_fp_ieee_inexact 0
		.amdhsa_exception_int_div_zero 0
	.end_amdhsa_kernel
	.section	.text._ZL13mul_mat_vec_fI6__halffLi1ELi192ELb0ELb1EEvPKT_PKfPKi31ggml_cuda_mm_fusion_args_devicePfi15HIP_vector_typeIjLj3EEiiiSB_iiiSB_iiii,"axG",@progbits,_ZL13mul_mat_vec_fI6__halffLi1ELi192ELb0ELb1EEvPKT_PKfPKi31ggml_cuda_mm_fusion_args_devicePfi15HIP_vector_typeIjLj3EEiiiSB_iiiSB_iiii,comdat
.Lfunc_end187:
	.size	_ZL13mul_mat_vec_fI6__halffLi1ELi192ELb0ELb1EEvPKT_PKfPKi31ggml_cuda_mm_fusion_args_devicePfi15HIP_vector_typeIjLj3EEiiiSB_iiiSB_iiii, .Lfunc_end187-_ZL13mul_mat_vec_fI6__halffLi1ELi192ELb0ELb1EEvPKT_PKfPKi31ggml_cuda_mm_fusion_args_devicePfi15HIP_vector_typeIjLj3EEiiiSB_iiiSB_iiii
                                        ; -- End function
	.set _ZL13mul_mat_vec_fI6__halffLi1ELi192ELb0ELb1EEvPKT_PKfPKi31ggml_cuda_mm_fusion_args_devicePfi15HIP_vector_typeIjLj3EEiiiSB_iiiSB_iiii.num_vgpr, 11
	.set _ZL13mul_mat_vec_fI6__halffLi1ELi192ELb0ELb1EEvPKT_PKfPKi31ggml_cuda_mm_fusion_args_devicePfi15HIP_vector_typeIjLj3EEiiiSB_iiiSB_iiii.num_agpr, 0
	.set _ZL13mul_mat_vec_fI6__halffLi1ELi192ELb0ELb1EEvPKT_PKfPKi31ggml_cuda_mm_fusion_args_devicePfi15HIP_vector_typeIjLj3EEiiiSB_iiiSB_iiii.numbered_sgpr, 28
	.set _ZL13mul_mat_vec_fI6__halffLi1ELi192ELb0ELb1EEvPKT_PKfPKi31ggml_cuda_mm_fusion_args_devicePfi15HIP_vector_typeIjLj3EEiiiSB_iiiSB_iiii.num_named_barrier, 0
	.set _ZL13mul_mat_vec_fI6__halffLi1ELi192ELb0ELb1EEvPKT_PKfPKi31ggml_cuda_mm_fusion_args_devicePfi15HIP_vector_typeIjLj3EEiiiSB_iiiSB_iiii.private_seg_size, 0
	.set _ZL13mul_mat_vec_fI6__halffLi1ELi192ELb0ELb1EEvPKT_PKfPKi31ggml_cuda_mm_fusion_args_devicePfi15HIP_vector_typeIjLj3EEiiiSB_iiiSB_iiii.uses_vcc, 1
	.set _ZL13mul_mat_vec_fI6__halffLi1ELi192ELb0ELb1EEvPKT_PKfPKi31ggml_cuda_mm_fusion_args_devicePfi15HIP_vector_typeIjLj3EEiiiSB_iiiSB_iiii.uses_flat_scratch, 0
	.set _ZL13mul_mat_vec_fI6__halffLi1ELi192ELb0ELb1EEvPKT_PKfPKi31ggml_cuda_mm_fusion_args_devicePfi15HIP_vector_typeIjLj3EEiiiSB_iiiSB_iiii.has_dyn_sized_stack, 0
	.set _ZL13mul_mat_vec_fI6__halffLi1ELi192ELb0ELb1EEvPKT_PKfPKi31ggml_cuda_mm_fusion_args_devicePfi15HIP_vector_typeIjLj3EEiiiSB_iiiSB_iiii.has_recursion, 0
	.set _ZL13mul_mat_vec_fI6__halffLi1ELi192ELb0ELb1EEvPKT_PKfPKi31ggml_cuda_mm_fusion_args_devicePfi15HIP_vector_typeIjLj3EEiiiSB_iiiSB_iiii.has_indirect_call, 0
	.section	.AMDGPU.csdata,"",@progbits
; Kernel info:
; codeLenInByte = 956
; TotalNumSgprs: 30
; NumVgprs: 11
; ScratchSize: 0
; MemoryBound: 0
; FloatMode: 240
; IeeeMode: 1
; LDSByteSize: 0 bytes/workgroup (compile time only)
; SGPRBlocks: 0
; VGPRBlocks: 1
; NumSGPRsForWavesPerEU: 30
; NumVGPRsForWavesPerEU: 11
; Occupancy: 16
; WaveLimiterHint : 1
; COMPUTE_PGM_RSRC2:SCRATCH_EN: 0
; COMPUTE_PGM_RSRC2:USER_SGPR: 6
; COMPUTE_PGM_RSRC2:TRAP_HANDLER: 0
; COMPUTE_PGM_RSRC2:TGID_X_EN: 1
; COMPUTE_PGM_RSRC2:TGID_Y_EN: 1
; COMPUTE_PGM_RSRC2:TGID_Z_EN: 1
; COMPUTE_PGM_RSRC2:TIDIG_COMP_CNT: 0
	.section	.text._ZL13mul_mat_vec_fI6__halffLi1ELi224ELb1ELb1EEvPKT_PKfPKi31ggml_cuda_mm_fusion_args_devicePfi15HIP_vector_typeIjLj3EEiiiSB_iiiSB_iiii,"axG",@progbits,_ZL13mul_mat_vec_fI6__halffLi1ELi224ELb1ELb1EEvPKT_PKfPKi31ggml_cuda_mm_fusion_args_devicePfi15HIP_vector_typeIjLj3EEiiiSB_iiiSB_iiii,comdat
	.globl	_ZL13mul_mat_vec_fI6__halffLi1ELi224ELb1ELb1EEvPKT_PKfPKi31ggml_cuda_mm_fusion_args_devicePfi15HIP_vector_typeIjLj3EEiiiSB_iiiSB_iiii ; -- Begin function _ZL13mul_mat_vec_fI6__halffLi1ELi224ELb1ELb1EEvPKT_PKfPKi31ggml_cuda_mm_fusion_args_devicePfi15HIP_vector_typeIjLj3EEiiiSB_iiiSB_iiii
	.p2align	8
	.type	_ZL13mul_mat_vec_fI6__halffLi1ELi224ELb1ELb1EEvPKT_PKfPKi31ggml_cuda_mm_fusion_args_devicePfi15HIP_vector_typeIjLj3EEiiiSB_iiiSB_iiii,@function
_ZL13mul_mat_vec_fI6__halffLi1ELi224ELb1ELb1EEvPKT_PKfPKi31ggml_cuda_mm_fusion_args_devicePfi15HIP_vector_typeIjLj3EEiiiSB_iiiSB_iiii: ; @_ZL13mul_mat_vec_fI6__halffLi1ELi224ELb1ELb1EEvPKT_PKfPKi31ggml_cuda_mm_fusion_args_devicePfi15HIP_vector_typeIjLj3EEiiiSB_iiiSB_iiii
; %bb.0:
	s_clause 0x3
	s_load_dword s1, s[4:5], 0x8c
	s_load_dwordx8 s[20:27], s[4:5], 0x0
	s_load_dwordx4 s[36:39], s[4:5], 0x20
	s_load_dwordx8 s[12:19], s[4:5], 0x40
	v_lshl_add_u32 v8, v0, 2, 0
	s_mov_b32 s0, s7
	s_waitcnt lgkmcnt(0)
	s_mul_i32 s1, s1, s8
	s_add_i32 s2, s1, s7
	s_ashr_i32 s3, s2, 31
	s_lshl_b64 s[2:3], s[2:3], 2
	s_add_u32 s10, s24, s2
	s_addc_u32 s11, s25, s3
	s_cmp_lg_u64 s[36:37], 0
	v_cmp_gt_u32_e64 s2, 32, v0
	s_cselect_b32 s1, -1, 0
	s_cmp_eq_u64 s[36:37], 0
	s_cselect_b32 s19, -1, 0
	s_and_saveexec_b32 s3, s2
	s_cbranch_execz .LBB188_3
; %bb.1:
	v_mov_b32_e32 v1, 0
	s_andn2_b32 vcc_lo, exec_lo, s1
	ds_write_b32 v8, v1
	s_cbranch_vccnz .LBB188_3
; %bb.2:
	ds_write_b32 v8, v1 offset:128
.LBB188_3:
	s_or_b32 exec_lo, exec_lo, s3
	s_load_dword s7, s[10:11], 0x0
	s_load_dwordx4 s[28:31], s[4:5], 0x68
	v_mov_b32_e32 v7, 0
	v_mov_b32_e32 v9, 0
	s_mov_b32 s9, exec_lo
	s_waitcnt lgkmcnt(0)
	s_barrier
	buffer_gl0_inv
	v_cmpx_gt_i32_e64 s12, v0
	s_cbranch_execz .LBB188_10
; %bb.4:
	s_mul_hi_u32 s3, s13, s0
	s_mul_i32 s10, s7, s28
	s_add_i32 s3, s0, s3
	s_mul_i32 s11, s16, s6
	s_lshr_b32 s3, s3, s14
	s_ashr_i32 s13, s10, 31
	s_mul_i32 s3, s3, s15
	s_ashr_i32 s14, s11, 31
	s_sub_i32 s3, s0, s3
	s_add_u32 s10, s10, s11
	s_addc_u32 s11, s13, s14
	s_mul_i32 s13, s8, s17
	s_mul_i32 s14, s3, s29
	s_lshl_b32 s16, s13, 1
	s_ashr_i32 s15, s14, 31
	s_ashr_i32 s17, s16, 31
	s_and_b32 s3, s1, exec_lo
	s_cselect_b32 s29, s11, 0
	s_cselect_b32 s28, s10, 0
	v_lshlrev_b32_e32 v5, 2, v0
	s_cselect_b32 s3, s37, 0
	s_cselect_b32 s13, s36, 0
	s_lshl_b64 s[28:29], s[28:29], 1
	v_lshlrev_b32_e32 v3, 3, v0
	s_add_u32 s13, s13, s28
	s_addc_u32 s3, s3, s29
	v_add_co_u32 v1, s13, s13, v5
	s_lshl_b64 s[14:15], s[14:15], 2
	s_lshl_b64 s[16:17], s[16:17], 2
	v_add_co_ci_u32_e64 v2, null, s3, 0, s13
	s_add_u32 s3, s22, s14
	s_addc_u32 s13, s23, s15
	s_add_u32 s3, s3, s16
	s_addc_u32 s13, s13, s17
	v_add_co_u32 v3, s3, s3, v3
	s_lshl_b64 s[10:11], s[10:11], 1
	v_add_co_ci_u32_e64 v4, null, s13, 0, s3
	s_add_u32 s3, s20, s10
	v_add_co_u32 v3, vcc_lo, v3, 4
	s_addc_u32 s10, s21, s11
	v_add_co_u32 v5, s3, s3, v5
	v_mov_b32_e32 v7, 0
	v_add_co_ci_u32_e64 v4, null, 0, v4, vcc_lo
	v_add_co_ci_u32_e64 v6, null, s10, 0, s3
	v_mov_b32_e32 v10, v0
	v_mov_b32_e32 v9, 0
	s_mov_b32 s10, 0
	s_inst_prefetch 0x1
	s_branch .LBB188_7
	.p2align	6
.LBB188_5:                              ;   in Loop: Header=BB188_7 Depth=1
	global_load_dword v12, v[1:2], off
	s_waitcnt vmcnt(0)
	v_cvt_f32_f16_e32 v13, v12
	v_cvt_f32_f16_sdwa v12, v12 dst_sel:DWORD dst_unused:UNUSED_PAD src0_sel:WORD_1
.LBB188_6:                              ;   in Loop: Header=BB188_7 Depth=1
	global_load_dwordx2 v[14:15], v[3:4], off offset:-4
	v_add_nc_u32_e32 v10, 0xe0, v10
	v_add_co_u32 v1, vcc_lo, 0x380, v1
	v_add_co_ci_u32_e64 v2, null, 0, v2, vcc_lo
	v_add_co_u32 v3, vcc_lo, 0x700, v3
	v_add_co_ci_u32_e64 v4, null, 0, v4, vcc_lo
	v_cmp_le_i32_e32 vcc_lo, s12, v10
	v_add_co_u32 v5, s3, 0x380, v5
	v_add_co_ci_u32_e64 v6, null, 0, v6, s3
	s_or_b32 s10, vcc_lo, s10
	s_waitcnt vmcnt(0)
	v_fma_f32 v13, v14, v13, v7
	v_fma_mix_f32 v9, v14, v11, v9 op_sel_hi:[0,1,0]
	v_fmac_f32_e32 v13, v15, v12
	v_fma_mix_f32 v9, v15, v11, v9 op_sel:[0,1,0] op_sel_hi:[0,1,0]
	v_cndmask_b32_e64 v7, v7, v13, s1
	s_andn2_b32 exec_lo, exec_lo, s10
	s_cbranch_execz .LBB188_9
.LBB188_7:                              ; =>This Inner Loop Header: Depth=1
	global_load_dword v11, v[5:6], off
	s_andn2_b32 vcc_lo, exec_lo, s1
	s_cbranch_vccz .LBB188_5
; %bb.8:                                ;   in Loop: Header=BB188_7 Depth=1
	v_mov_b32_e32 v12, 0
	v_mov_b32_e32 v13, 0
	s_branch .LBB188_6
.LBB188_9:
	s_inst_prefetch 0x2
	s_or_b32 exec_lo, exec_lo, s10
.LBB188_10:
	s_or_b32 exec_lo, exec_lo, s9
	v_mbcnt_lo_u32_b32 v1, -1, 0
	s_load_dword s9, s[4:5], 0x30
	s_mov_b32 s3, -1
	v_xor_b32_e32 v2, 16, v1
	v_xor_b32_e32 v3, 8, v1
	v_cmp_gt_i32_e32 vcc_lo, 32, v2
	v_cndmask_b32_e32 v2, v1, v2, vcc_lo
	v_cmp_gt_i32_e32 vcc_lo, 32, v3
	v_lshlrev_b32_e32 v2, 2, v2
	v_cndmask_b32_e32 v3, v1, v3, vcc_lo
	ds_bpermute_b32 v4, v2, v9
	v_lshlrev_b32_e32 v3, 2, v3
	s_waitcnt lgkmcnt(0)
	v_add_f32_e32 v5, v9, v4
	v_xor_b32_e32 v4, 4, v1
	ds_bpermute_b32 v6, v3, v5
	v_cmp_gt_i32_e32 vcc_lo, 32, v4
	v_cndmask_b32_e32 v4, v1, v4, vcc_lo
	v_lshlrev_b32_e32 v4, 2, v4
	s_waitcnt lgkmcnt(0)
	v_add_f32_e32 v6, v5, v6
	v_xor_b32_e32 v5, 2, v1
	ds_bpermute_b32 v9, v4, v6
	v_cmp_gt_i32_e32 vcc_lo, 32, v5
	v_cndmask_b32_e32 v5, v1, v5, vcc_lo
	;; [unrolled: 7-line block ×3, first 2 shown]
	s_and_b32 vcc_lo, exec_lo, s19
	v_lshlrev_b32_e32 v6, 2, v1
	s_waitcnt lgkmcnt(0)
	v_add_f32_e32 v1, v9, v10
	v_lshrrev_b32_e32 v10, 5, v0
	ds_bpermute_b32 v9, v6, v1
	s_waitcnt lgkmcnt(0)
	v_add_f32_e32 v1, v1, v9
	v_lshl_add_u32 v9, v10, 2, 0
	s_cbranch_vccz .LBB188_12
; %bb.11:
	s_mov_b32 s3, 0
	ds_write_b32 v9, v1
.LBB188_12:
	s_andn2_b32 vcc_lo, exec_lo, s3
	s_cbranch_vccnz .LBB188_14
; %bb.13:
	ds_bpermute_b32 v10, v2, v7
	s_waitcnt lgkmcnt(0)
	v_add_f32_e32 v7, v7, v10
	ds_bpermute_b32 v10, v3, v7
	s_waitcnt lgkmcnt(0)
	v_add_f32_e32 v7, v7, v10
	;; [unrolled: 3-line block ×5, first 2 shown]
	ds_write2_b32 v9, v1, v7 offset1:32
.LBB188_14:
	s_waitcnt lgkmcnt(0)
	s_barrier
	buffer_gl0_inv
	s_and_saveexec_b32 s3, s2
	s_cbranch_execz .LBB188_18
; %bb.15:
	ds_read_b32 v1, v8
	s_andn2_b32 vcc_lo, exec_lo, s1
	s_waitcnt lgkmcnt(0)
	ds_bpermute_b32 v9, v2, v1
	s_waitcnt lgkmcnt(0)
	v_add_f32_e32 v1, v1, v9
	ds_bpermute_b32 v9, v3, v1
	s_waitcnt lgkmcnt(0)
	v_add_f32_e32 v1, v1, v9
	;; [unrolled: 3-line block ×4, first 2 shown]
	ds_bpermute_b32 v9, v6, v1
	s_cbranch_vccnz .LBB188_17
; %bb.16:
	ds_read_b32 v7, v8 offset:128
	s_waitcnt lgkmcnt(0)
	ds_bpermute_b32 v2, v2, v7
	s_waitcnt lgkmcnt(0)
	v_add_f32_e32 v2, v7, v2
	ds_bpermute_b32 v3, v3, v2
	s_waitcnt lgkmcnt(0)
	v_add_f32_e32 v2, v2, v3
	;; [unrolled: 3-line block ×5, first 2 shown]
.LBB188_17:
	s_waitcnt lgkmcnt(0)
	v_add_f32_e32 v1, v1, v9
.LBB188_18:
	s_or_b32 exec_lo, exec_lo, s3
	s_barrier
	buffer_gl0_inv
	s_mov_b32 s2, exec_lo
	v_cmpx_eq_u32_e32 0, v0
	s_cbranch_execz .LBB188_42
; %bb.19:
	s_cmp_eq_u64 s[26:27], 0
	s_cselect_b32 s10, -1, 0
	s_cmp_eq_u64 s[24:25], 0
	s_cselect_b32 s2, s0, s7
	s_mul_i32 s2, s2, s30
	s_ashr_i32 s3, s2, 31
	s_and_b32 vcc_lo, exec_lo, s10
	s_cbranch_vccnz .LBB188_21
; %bb.20:
	s_cselect_b32 s7, 0, s27
	s_cselect_b32 s12, 0, s26
	s_lshl_b64 s[10:11], s[2:3], 2
	s_add_u32 s12, s12, s10
	s_addc_u32 s13, s7, s11
	s_ashr_i32 s7, s6, 31
	s_lshl_b64 s[10:11], s[6:7], 2
	s_add_u32 s10, s12, s10
	s_addc_u32 s11, s13, s11
	s_load_dword s7, s[10:11], 0x0
	s_waitcnt lgkmcnt(0)
	v_add_f32_e32 v1, s7, v1
.LBB188_21:
	s_andn2_b32 vcc_lo, exec_lo, s1
	s_cbranch_vccnz .LBB188_41
; %bb.22:
	s_cmp_lg_u64 s[38:39], 0
	s_cselect_b32 s7, -1, 0
	s_and_b32 s1, s7, s1
	s_andn2_b32 vcc_lo, exec_lo, s1
	s_cbranch_vccnz .LBB188_24
; %bb.23:
	s_and_b32 s7, s7, exec_lo
	s_cselect_b32 s7, s39, 0
	s_cselect_b32 s10, s38, 0
	s_and_b32 s1, s1, exec_lo
	s_cselect_b32 s3, s3, 0
	s_cselect_b32 s2, s2, 0
	s_lshl_b64 s[2:3], s[2:3], 2
	s_add_u32 s1, s10, s2
	s_addc_u32 s10, s7, s3
	s_ashr_i32 s7, s6, 31
	s_lshl_b64 s[2:3], s[6:7], 2
	s_add_u32 s2, s1, s2
	s_addc_u32 s3, s10, s3
	s_load_dword s1, s[2:3], 0x0
	s_waitcnt lgkmcnt(0)
	v_add_f32_e32 v7, s1, v7
.LBB188_24:
	s_cmp_lt_i32 s9, 2
	s_cbranch_scc1 .LBB188_29
; %bb.25:
	s_cmp_lt_i32 s9, 3
	s_cbranch_scc1 .LBB188_30
; %bb.26:
	v_mov_b32_e32 v0, v1
	s_cmp_eq_u32 s9, 3
	s_cbranch_scc0 .LBB188_28
; %bb.27:
	v_max_f32_e32 v0, v7, v7
	v_min_f32_e32 v0, 0x40e00000, v0
	v_mul_f32_e32 v2, 0xbfd9db23, v0
	v_mul_f32_e32 v3, 0x3fb8aa3b, v2
	v_cmp_ngt_f32_e32 vcc_lo, 0xc2ce8ed0, v2
	v_fma_f32 v4, 0x3fb8aa3b, v2, -v3
	v_rndne_f32_e32 v5, v3
	v_fmamk_f32 v4, v2, 0x32a5705f, v4
	v_sub_f32_e32 v3, v3, v5
	v_add_f32_e32 v3, v3, v4
	v_cvt_i32_f32_e32 v4, v5
	v_exp_f32_e32 v3, v3
	v_ldexp_f32 v3, v3, v4
	v_cndmask_b32_e32 v3, 0, v3, vcc_lo
	v_cmp_nlt_f32_e32 vcc_lo, 0x42b17218, v2
	v_cndmask_b32_e32 v2, 0x7f800000, v3, vcc_lo
	v_add_f32_e32 v2, 1.0, v2
	v_div_scale_f32 v3, null, v2, v2, v0
	v_div_scale_f32 v6, vcc_lo, v0, v2, v0
	v_rcp_f32_e32 v4, v3
	v_fma_f32 v5, -v3, v4, 1.0
	v_fmac_f32_e32 v4, v5, v4
	v_mul_f32_e32 v5, v6, v4
	v_fma_f32 v8, -v3, v5, v6
	v_fmac_f32_e32 v5, v8, v4
	v_max_f32_e32 v8, v1, v1
	v_fma_f32 v3, -v3, v5, v6
	v_min_f32_e32 v6, 0x40e00000, v8
	v_div_fmas_f32 v3, v3, v4, v5
	v_max_f32_e32 v4, 0xc0e00000, v6
	v_div_fixup_f32 v0, v3, v2, v0
	v_add_f32_e32 v2, 1.0, v4
	v_mul_f32_e32 v0, v2, v0
.LBB188_28:
	s_cbranch_execz .LBB188_31
	s_branch .LBB188_32
.LBB188_29:
                                        ; implicit-def: $vgpr0
	s_branch .LBB188_33
.LBB188_30:
                                        ; implicit-def: $vgpr0
.LBB188_31:
	v_mul_f32_e32 v0, 0xbfb8aa3b, v7
	v_cmp_nlt_f32_e32 vcc_lo, 0x42ce8ed0, v7
	v_rndne_f32_e32 v2, v0
	v_fma_f32 v3, 0xbfb8aa3b, v7, -v0
	v_sub_f32_e32 v0, v0, v2
	v_fmamk_f32 v3, v7, 0xb2a5705f, v3
	v_cvt_i32_f32_e32 v2, v2
	v_add_f32_e32 v0, v0, v3
	v_exp_f32_e32 v0, v0
	v_ldexp_f32 v0, v0, v2
	v_cndmask_b32_e32 v0, 0, v0, vcc_lo
	v_cmp_ngt_f32_e32 vcc_lo, 0xc2b17218, v7
	v_cndmask_b32_e32 v0, 0x7f800000, v0, vcc_lo
	v_add_f32_e32 v0, 1.0, v0
	v_div_scale_f32 v2, null, v0, v0, v7
	v_rcp_f32_e32 v3, v2
	v_fma_f32 v4, -v2, v3, 1.0
	v_fmac_f32_e32 v3, v4, v3
	v_div_scale_f32 v4, vcc_lo, v7, v0, v7
	v_mul_f32_e32 v5, v4, v3
	v_fma_f32 v6, -v2, v5, v4
	v_fmac_f32_e32 v5, v6, v3
	v_fma_f32 v2, -v2, v5, v4
	v_div_fmas_f32 v2, v2, v3, v5
	v_div_fixup_f32 v0, v2, v0, v7
	v_mul_f32_e32 v0, v1, v0
.LBB188_32:
	s_cbranch_execnz .LBB188_40
.LBB188_33:
	s_cmp_eq_u32 s9, 1
	s_cbranch_scc0 .LBB188_39
; %bb.34:
	v_mul_f32_e32 v0, 0x3d372713, v7
	v_mul_f32_e32 v2, 0x3f4c422a, v7
	v_fma_f32 v0, v7, v0, 1.0
	v_mul_f32_e32 v0, v2, v0
                                        ; implicit-def: $vgpr2
	v_cmp_ngt_f32_e64 s1, 0x3f200000, |v0|
	s_and_saveexec_b32 s2, s1
	s_xor_b32 s1, exec_lo, s2
	s_cbranch_execz .LBB188_36
; %bb.35:
	v_add_f32_e64 v2, |v0|, |v0|
	v_mul_f32_e32 v3, 0x3fb8aa3b, v2
	v_cmp_ngt_f32_e32 vcc_lo, 0xc2ce8ed0, v2
	v_rndne_f32_e32 v4, v3
	v_fma_f32 v5, 0x3fb8aa3b, v2, -v3
	v_sub_f32_e32 v3, v3, v4
	v_fmamk_f32 v5, v2, 0x32a5705f, v5
	v_cvt_i32_f32_e32 v4, v4
	v_add_f32_e32 v3, v3, v5
	v_exp_f32_e32 v3, v3
	v_ldexp_f32 v3, v3, v4
	v_cndmask_b32_e32 v3, 0, v3, vcc_lo
	v_cmp_nlt_f32_e32 vcc_lo, 0x42b17218, v2
	v_cndmask_b32_e32 v2, 0x7f800000, v3, vcc_lo
	v_add_f32_e32 v2, 1.0, v2
	v_rcp_f32_e32 v2, v2
	v_fma_f32 v2, v2, -2.0, 1.0
.LBB188_36:
	s_andn2_saveexec_b32 s1, s1
	s_cbranch_execz .LBB188_38
; %bb.37:
	v_mul_f32_e32 v2, v0, v0
	s_mov_b32 s2, 0xbbbac73d
	v_fmaak_f32 v3, s2, v2, 0x3ca908c9
	v_fmaak_f32 v3, v2, v3, 0xbd5c1c4e
	v_fmaak_f32 v3, v2, v3, 0x3e088382
	v_fmaak_f32 v3, v2, v3, 0xbeaaaa99
	v_mul_f32_e64 v3, |v0|, v3
	v_fma_f32 v2, v2, v3, |v0|
.LBB188_38:
	s_or_b32 exec_lo, exec_lo, s1
	v_bfi_b32 v0, 0x7fffffff, v2, v0
	v_mul_f32_e32 v2, 0.5, v7
	v_add_f32_e32 v0, 1.0, v0
	v_mul_f32_e32 v0, v2, v0
	v_mul_f32_e32 v1, v1, v0
.LBB188_39:
	v_mov_b32_e32 v0, v1
.LBB188_40:
	v_mov_b32_e32 v1, v0
.LBB188_41:
	s_load_dwordx2 s[2:3], s[4:5], 0x38
	s_mul_i32 s0, s30, s0
	s_mul_i32 s4, s18, s8
	s_ashr_i32 s1, s0, 31
	v_mov_b32_e32 v0, 0
	s_lshl_b64 s[0:1], s[0:1], 2
	s_waitcnt lgkmcnt(0)
	s_add_u32 s2, s2, s0
	s_addc_u32 s3, s3, s1
	s_ashr_i32 s5, s4, 31
	s_lshl_b64 s[0:1], s[4:5], 2
	s_add_u32 s2, s2, s0
	s_addc_u32 s3, s3, s1
	s_ashr_i32 s7, s6, 31
	s_lshl_b64 s[0:1], s[6:7], 2
	s_add_u32 s0, s2, s0
	s_addc_u32 s1, s3, s1
	global_store_dword v0, v1, s[0:1]
.LBB188_42:
	s_endpgm
	.section	.rodata,"a",@progbits
	.p2align	6, 0x0
	.amdhsa_kernel _ZL13mul_mat_vec_fI6__halffLi1ELi224ELb1ELb1EEvPKT_PKfPKi31ggml_cuda_mm_fusion_args_devicePfi15HIP_vector_typeIjLj3EEiiiSB_iiiSB_iiii
		.amdhsa_group_segment_fixed_size 0
		.amdhsa_private_segment_fixed_size 0
		.amdhsa_kernarg_size 144
		.amdhsa_user_sgpr_count 6
		.amdhsa_user_sgpr_private_segment_buffer 1
		.amdhsa_user_sgpr_dispatch_ptr 0
		.amdhsa_user_sgpr_queue_ptr 0
		.amdhsa_user_sgpr_kernarg_segment_ptr 1
		.amdhsa_user_sgpr_dispatch_id 0
		.amdhsa_user_sgpr_flat_scratch_init 0
		.amdhsa_user_sgpr_private_segment_size 0
		.amdhsa_wavefront_size32 1
		.amdhsa_uses_dynamic_stack 0
		.amdhsa_system_sgpr_private_segment_wavefront_offset 0
		.amdhsa_system_sgpr_workgroup_id_x 1
		.amdhsa_system_sgpr_workgroup_id_y 1
		.amdhsa_system_sgpr_workgroup_id_z 1
		.amdhsa_system_sgpr_workgroup_info 0
		.amdhsa_system_vgpr_workitem_id 0
		.amdhsa_next_free_vgpr 16
		.amdhsa_next_free_sgpr 40
		.amdhsa_reserve_vcc 1
		.amdhsa_reserve_flat_scratch 0
		.amdhsa_float_round_mode_32 0
		.amdhsa_float_round_mode_16_64 0
		.amdhsa_float_denorm_mode_32 3
		.amdhsa_float_denorm_mode_16_64 3
		.amdhsa_dx10_clamp 1
		.amdhsa_ieee_mode 1
		.amdhsa_fp16_overflow 0
		.amdhsa_workgroup_processor_mode 1
		.amdhsa_memory_ordered 1
		.amdhsa_forward_progress 1
		.amdhsa_shared_vgpr_count 0
		.amdhsa_exception_fp_ieee_invalid_op 0
		.amdhsa_exception_fp_denorm_src 0
		.amdhsa_exception_fp_ieee_div_zero 0
		.amdhsa_exception_fp_ieee_overflow 0
		.amdhsa_exception_fp_ieee_underflow 0
		.amdhsa_exception_fp_ieee_inexact 0
		.amdhsa_exception_int_div_zero 0
	.end_amdhsa_kernel
	.section	.text._ZL13mul_mat_vec_fI6__halffLi1ELi224ELb1ELb1EEvPKT_PKfPKi31ggml_cuda_mm_fusion_args_devicePfi15HIP_vector_typeIjLj3EEiiiSB_iiiSB_iiii,"axG",@progbits,_ZL13mul_mat_vec_fI6__halffLi1ELi224ELb1ELb1EEvPKT_PKfPKi31ggml_cuda_mm_fusion_args_devicePfi15HIP_vector_typeIjLj3EEiiiSB_iiiSB_iiii,comdat
.Lfunc_end188:
	.size	_ZL13mul_mat_vec_fI6__halffLi1ELi224ELb1ELb1EEvPKT_PKfPKi31ggml_cuda_mm_fusion_args_devicePfi15HIP_vector_typeIjLj3EEiiiSB_iiiSB_iiii, .Lfunc_end188-_ZL13mul_mat_vec_fI6__halffLi1ELi224ELb1ELb1EEvPKT_PKfPKi31ggml_cuda_mm_fusion_args_devicePfi15HIP_vector_typeIjLj3EEiiiSB_iiiSB_iiii
                                        ; -- End function
	.set _ZL13mul_mat_vec_fI6__halffLi1ELi224ELb1ELb1EEvPKT_PKfPKi31ggml_cuda_mm_fusion_args_devicePfi15HIP_vector_typeIjLj3EEiiiSB_iiiSB_iiii.num_vgpr, 16
	.set _ZL13mul_mat_vec_fI6__halffLi1ELi224ELb1ELb1EEvPKT_PKfPKi31ggml_cuda_mm_fusion_args_devicePfi15HIP_vector_typeIjLj3EEiiiSB_iiiSB_iiii.num_agpr, 0
	.set _ZL13mul_mat_vec_fI6__halffLi1ELi224ELb1ELb1EEvPKT_PKfPKi31ggml_cuda_mm_fusion_args_devicePfi15HIP_vector_typeIjLj3EEiiiSB_iiiSB_iiii.numbered_sgpr, 40
	.set _ZL13mul_mat_vec_fI6__halffLi1ELi224ELb1ELb1EEvPKT_PKfPKi31ggml_cuda_mm_fusion_args_devicePfi15HIP_vector_typeIjLj3EEiiiSB_iiiSB_iiii.num_named_barrier, 0
	.set _ZL13mul_mat_vec_fI6__halffLi1ELi224ELb1ELb1EEvPKT_PKfPKi31ggml_cuda_mm_fusion_args_devicePfi15HIP_vector_typeIjLj3EEiiiSB_iiiSB_iiii.private_seg_size, 0
	.set _ZL13mul_mat_vec_fI6__halffLi1ELi224ELb1ELb1EEvPKT_PKfPKi31ggml_cuda_mm_fusion_args_devicePfi15HIP_vector_typeIjLj3EEiiiSB_iiiSB_iiii.uses_vcc, 1
	.set _ZL13mul_mat_vec_fI6__halffLi1ELi224ELb1ELb1EEvPKT_PKfPKi31ggml_cuda_mm_fusion_args_devicePfi15HIP_vector_typeIjLj3EEiiiSB_iiiSB_iiii.uses_flat_scratch, 0
	.set _ZL13mul_mat_vec_fI6__halffLi1ELi224ELb1ELb1EEvPKT_PKfPKi31ggml_cuda_mm_fusion_args_devicePfi15HIP_vector_typeIjLj3EEiiiSB_iiiSB_iiii.has_dyn_sized_stack, 0
	.set _ZL13mul_mat_vec_fI6__halffLi1ELi224ELb1ELb1EEvPKT_PKfPKi31ggml_cuda_mm_fusion_args_devicePfi15HIP_vector_typeIjLj3EEiiiSB_iiiSB_iiii.has_recursion, 0
	.set _ZL13mul_mat_vec_fI6__halffLi1ELi224ELb1ELb1EEvPKT_PKfPKi31ggml_cuda_mm_fusion_args_devicePfi15HIP_vector_typeIjLj3EEiiiSB_iiiSB_iiii.has_indirect_call, 0
	.section	.AMDGPU.csdata,"",@progbits
; Kernel info:
; codeLenInByte = 2152
; TotalNumSgprs: 42
; NumVgprs: 16
; ScratchSize: 0
; MemoryBound: 0
; FloatMode: 240
; IeeeMode: 1
; LDSByteSize: 0 bytes/workgroup (compile time only)
; SGPRBlocks: 0
; VGPRBlocks: 1
; NumSGPRsForWavesPerEU: 42
; NumVGPRsForWavesPerEU: 16
; Occupancy: 16
; WaveLimiterHint : 1
; COMPUTE_PGM_RSRC2:SCRATCH_EN: 0
; COMPUTE_PGM_RSRC2:USER_SGPR: 6
; COMPUTE_PGM_RSRC2:TRAP_HANDLER: 0
; COMPUTE_PGM_RSRC2:TGID_X_EN: 1
; COMPUTE_PGM_RSRC2:TGID_Y_EN: 1
; COMPUTE_PGM_RSRC2:TGID_Z_EN: 1
; COMPUTE_PGM_RSRC2:TIDIG_COMP_CNT: 0
	.section	.text._ZL13mul_mat_vec_fI6__halffLi1ELi224ELb0ELb1EEvPKT_PKfPKi31ggml_cuda_mm_fusion_args_devicePfi15HIP_vector_typeIjLj3EEiiiSB_iiiSB_iiii,"axG",@progbits,_ZL13mul_mat_vec_fI6__halffLi1ELi224ELb0ELb1EEvPKT_PKfPKi31ggml_cuda_mm_fusion_args_devicePfi15HIP_vector_typeIjLj3EEiiiSB_iiiSB_iiii,comdat
	.globl	_ZL13mul_mat_vec_fI6__halffLi1ELi224ELb0ELb1EEvPKT_PKfPKi31ggml_cuda_mm_fusion_args_devicePfi15HIP_vector_typeIjLj3EEiiiSB_iiiSB_iiii ; -- Begin function _ZL13mul_mat_vec_fI6__halffLi1ELi224ELb0ELb1EEvPKT_PKfPKi31ggml_cuda_mm_fusion_args_devicePfi15HIP_vector_typeIjLj3EEiiiSB_iiiSB_iiii
	.p2align	8
	.type	_ZL13mul_mat_vec_fI6__halffLi1ELi224ELb0ELb1EEvPKT_PKfPKi31ggml_cuda_mm_fusion_args_devicePfi15HIP_vector_typeIjLj3EEiiiSB_iiiSB_iiii,@function
_ZL13mul_mat_vec_fI6__halffLi1ELi224ELb0ELb1EEvPKT_PKfPKi31ggml_cuda_mm_fusion_args_devicePfi15HIP_vector_typeIjLj3EEiiiSB_iiiSB_iiii: ; @_ZL13mul_mat_vec_fI6__halffLi1ELi224ELb0ELb1EEvPKT_PKfPKi31ggml_cuda_mm_fusion_args_devicePfi15HIP_vector_typeIjLj3EEiiiSB_iiiSB_iiii
; %bb.0:
	s_clause 0x2
	s_load_dword s2, s[4:5], 0x8c
	s_load_dwordx2 s[0:1], s[4:5], 0x10
	s_load_dwordx8 s[12:19], s[4:5], 0x40
	v_cmp_gt_u32_e32 vcc_lo, 32, v0
	v_lshl_add_u32 v5, v0, 2, 0
	s_waitcnt lgkmcnt(0)
	s_mul_i32 s2, s2, s8
	s_add_i32 s2, s2, s7
	s_ashr_i32 s3, s2, 31
	s_lshl_b64 s[2:3], s[2:3], 2
	s_add_u32 s2, s0, s2
	s_addc_u32 s3, s1, s3
	s_and_saveexec_b32 s0, vcc_lo
; %bb.1:
	v_mov_b32_e32 v1, 0
	ds_write_b32 v5, v1
; %bb.2:
	s_or_b32 exec_lo, exec_lo, s0
	s_load_dwordx4 s[20:23], s[4:5], 0x68
	v_mov_b32_e32 v6, 0
	s_mov_b32 s9, exec_lo
	s_waitcnt lgkmcnt(0)
	s_barrier
	buffer_gl0_inv
	v_cmpx_gt_i32_e64 s12, v0
	s_cbranch_execz .LBB189_6
; %bb.3:
	s_load_dword s19, s[2:3], 0x0
	s_load_dwordx4 s[24:27], s[4:5], 0x0
	s_mul_hi_u32 s0, s13, s7
	s_mul_i32 s1, s8, s17
	s_add_i32 s0, s7, s0
	s_mul_i32 s2, s16, s6
	s_lshr_b32 s0, s0, s14
	v_lshlrev_b32_e32 v1, 3, v0
	s_mul_i32 s10, s0, s15
	s_lshl_b32 s0, s1, 1
	s_sub_i32 s10, s7, s10
	s_ashr_i32 s1, s0, 31
	s_mul_i32 s10, s10, s21
	s_ashr_i32 s3, s2, 31
	s_ashr_i32 s11, s10, 31
	s_lshl_b64 s[0:1], s[0:1], 2
	s_lshl_b64 s[10:11], s[10:11], 2
	v_lshlrev_b32_e32 v3, 2, v0
	v_mov_b32_e32 v6, 0
	v_mov_b32_e32 v7, v0
	s_waitcnt lgkmcnt(0)
	s_mul_i32 s14, s19, s20
	s_ashr_i32 s15, s14, 31
	s_add_u32 s10, s26, s10
	s_addc_u32 s11, s27, s11
	s_add_u32 s0, s10, s0
	s_addc_u32 s1, s11, s1
	v_add_co_u32 v1, s0, s0, v1
	v_add_co_ci_u32_e64 v2, null, s1, 0, s0
	s_lshl_b64 s[10:11], s[14:15], 1
	v_add_co_u32 v1, s0, v1, 4
	v_add_co_ci_u32_e64 v2, null, 0, v2, s0
	s_lshl_b64 s[0:1], s[2:3], 1
	s_add_u32 s2, s24, s10
	s_addc_u32 s3, s25, s11
	s_add_u32 s0, s2, s0
	s_addc_u32 s1, s3, s1
	v_add_co_u32 v3, s0, s0, v3
	v_add_co_ci_u32_e64 v4, null, s1, 0, s0
	s_mov_b32 s2, 0
	.p2align	6
.LBB189_4:                              ; =>This Inner Loop Header: Depth=1
	global_load_dword v10, v[3:4], off
	global_load_dwordx2 v[8:9], v[1:2], off offset:-4
	v_add_nc_u32_e32 v7, 0xe0, v7
	v_add_co_u32 v1, s0, 0x700, v1
	v_add_co_ci_u32_e64 v2, null, 0, v2, s0
	v_add_co_u32 v3, s0, 0x380, v3
	v_cmp_le_i32_e64 s1, s12, v7
	v_add_co_ci_u32_e64 v4, null, 0, v4, s0
	s_or_b32 s2, s1, s2
	s_waitcnt vmcnt(0)
	v_fma_mix_f32 v6, v8, v10, v6 op_sel_hi:[0,1,0]
	v_fma_mix_f32 v6, v9, v10, v6 op_sel:[0,1,0] op_sel_hi:[0,1,0]
	s_andn2_b32 exec_lo, exec_lo, s2
	s_cbranch_execnz .LBB189_4
; %bb.5:
	s_or_b32 exec_lo, exec_lo, s2
.LBB189_6:
	s_or_b32 exec_lo, exec_lo, s9
	v_mbcnt_lo_u32_b32 v2, -1, 0
	v_xor_b32_e32 v1, 16, v2
	v_xor_b32_e32 v3, 8, v2
	v_cmp_gt_i32_e64 s0, 32, v1
	v_cndmask_b32_e64 v1, v2, v1, s0
	v_cmp_gt_i32_e64 s0, 32, v3
	v_lshlrev_b32_e32 v1, 2, v1
	v_cndmask_b32_e64 v3, v2, v3, s0
	ds_bpermute_b32 v4, v1, v6
	v_lshlrev_b32_e32 v3, 2, v3
	s_waitcnt lgkmcnt(0)
	v_add_f32_e32 v6, v6, v4
	v_xor_b32_e32 v4, 4, v2
	ds_bpermute_b32 v7, v3, v6
	v_cmp_gt_i32_e64 s0, 32, v4
	v_cndmask_b32_e64 v4, v2, v4, s0
	v_lshlrev_b32_e32 v4, 2, v4
	s_waitcnt lgkmcnt(0)
	v_add_f32_e32 v7, v6, v7
	v_xor_b32_e32 v6, 2, v2
	ds_bpermute_b32 v8, v4, v7
	v_cmp_gt_i32_e64 s0, 32, v6
	v_cndmask_b32_e64 v6, v2, v6, s0
	;; [unrolled: 7-line block ×3, first 2 shown]
	v_lshlrev_b32_e32 v7, 2, v2
	s_waitcnt lgkmcnt(0)
	v_add_f32_e32 v2, v8, v9
	v_lshrrev_b32_e32 v9, 3, v0
	ds_bpermute_b32 v8, v7, v2
	v_and_b32_e32 v9, 0x7c, v9
	v_add_nc_u32_e32 v9, 0, v9
	s_waitcnt lgkmcnt(0)
	v_add_f32_e32 v2, v2, v8
	ds_write_b32 v9, v2
	s_waitcnt lgkmcnt(0)
	s_barrier
	buffer_gl0_inv
	s_and_saveexec_b32 s0, vcc_lo
	s_cbranch_execz .LBB189_8
; %bb.7:
	ds_read_b32 v2, v5
	s_waitcnt lgkmcnt(0)
	ds_bpermute_b32 v1, v1, v2
	s_waitcnt lgkmcnt(0)
	v_add_f32_e32 v1, v2, v1
	ds_bpermute_b32 v2, v3, v1
	s_waitcnt lgkmcnt(0)
	v_add_f32_e32 v1, v1, v2
	;; [unrolled: 3-line block ×5, first 2 shown]
.LBB189_8:
	s_or_b32 exec_lo, exec_lo, s0
	s_barrier
	buffer_gl0_inv
	s_mov_b32 s0, exec_lo
	v_cmpx_eq_u32_e32 0, v0
	s_cbranch_execz .LBB189_10
; %bb.9:
	s_load_dwordx2 s[0:1], s[4:5], 0x38
	s_mul_i32 s2, s22, s7
	s_mul_i32 s4, s18, s8
	s_ashr_i32 s3, s2, 31
	v_mov_b32_e32 v0, 0
	s_lshl_b64 s[2:3], s[2:3], 2
	s_waitcnt lgkmcnt(0)
	s_add_u32 s2, s0, s2
	s_addc_u32 s3, s1, s3
	s_ashr_i32 s5, s4, 31
	s_lshl_b64 s[0:1], s[4:5], 2
	s_add_u32 s2, s2, s0
	s_addc_u32 s3, s3, s1
	s_ashr_i32 s7, s6, 31
	s_lshl_b64 s[0:1], s[6:7], 2
	s_add_u32 s0, s2, s0
	s_addc_u32 s1, s3, s1
	global_store_dword v0, v2, s[0:1]
.LBB189_10:
	s_endpgm
	.section	.rodata,"a",@progbits
	.p2align	6, 0x0
	.amdhsa_kernel _ZL13mul_mat_vec_fI6__halffLi1ELi224ELb0ELb1EEvPKT_PKfPKi31ggml_cuda_mm_fusion_args_devicePfi15HIP_vector_typeIjLj3EEiiiSB_iiiSB_iiii
		.amdhsa_group_segment_fixed_size 0
		.amdhsa_private_segment_fixed_size 0
		.amdhsa_kernarg_size 144
		.amdhsa_user_sgpr_count 6
		.amdhsa_user_sgpr_private_segment_buffer 1
		.amdhsa_user_sgpr_dispatch_ptr 0
		.amdhsa_user_sgpr_queue_ptr 0
		.amdhsa_user_sgpr_kernarg_segment_ptr 1
		.amdhsa_user_sgpr_dispatch_id 0
		.amdhsa_user_sgpr_flat_scratch_init 0
		.amdhsa_user_sgpr_private_segment_size 0
		.amdhsa_wavefront_size32 1
		.amdhsa_uses_dynamic_stack 0
		.amdhsa_system_sgpr_private_segment_wavefront_offset 0
		.amdhsa_system_sgpr_workgroup_id_x 1
		.amdhsa_system_sgpr_workgroup_id_y 1
		.amdhsa_system_sgpr_workgroup_id_z 1
		.amdhsa_system_sgpr_workgroup_info 0
		.amdhsa_system_vgpr_workitem_id 0
		.amdhsa_next_free_vgpr 11
		.amdhsa_next_free_sgpr 28
		.amdhsa_reserve_vcc 1
		.amdhsa_reserve_flat_scratch 0
		.amdhsa_float_round_mode_32 0
		.amdhsa_float_round_mode_16_64 0
		.amdhsa_float_denorm_mode_32 3
		.amdhsa_float_denorm_mode_16_64 3
		.amdhsa_dx10_clamp 1
		.amdhsa_ieee_mode 1
		.amdhsa_fp16_overflow 0
		.amdhsa_workgroup_processor_mode 1
		.amdhsa_memory_ordered 1
		.amdhsa_forward_progress 1
		.amdhsa_shared_vgpr_count 0
		.amdhsa_exception_fp_ieee_invalid_op 0
		.amdhsa_exception_fp_denorm_src 0
		.amdhsa_exception_fp_ieee_div_zero 0
		.amdhsa_exception_fp_ieee_overflow 0
		.amdhsa_exception_fp_ieee_underflow 0
		.amdhsa_exception_fp_ieee_inexact 0
		.amdhsa_exception_int_div_zero 0
	.end_amdhsa_kernel
	.section	.text._ZL13mul_mat_vec_fI6__halffLi1ELi224ELb0ELb1EEvPKT_PKfPKi31ggml_cuda_mm_fusion_args_devicePfi15HIP_vector_typeIjLj3EEiiiSB_iiiSB_iiii,"axG",@progbits,_ZL13mul_mat_vec_fI6__halffLi1ELi224ELb0ELb1EEvPKT_PKfPKi31ggml_cuda_mm_fusion_args_devicePfi15HIP_vector_typeIjLj3EEiiiSB_iiiSB_iiii,comdat
.Lfunc_end189:
	.size	_ZL13mul_mat_vec_fI6__halffLi1ELi224ELb0ELb1EEvPKT_PKfPKi31ggml_cuda_mm_fusion_args_devicePfi15HIP_vector_typeIjLj3EEiiiSB_iiiSB_iiii, .Lfunc_end189-_ZL13mul_mat_vec_fI6__halffLi1ELi224ELb0ELb1EEvPKT_PKfPKi31ggml_cuda_mm_fusion_args_devicePfi15HIP_vector_typeIjLj3EEiiiSB_iiiSB_iiii
                                        ; -- End function
	.set _ZL13mul_mat_vec_fI6__halffLi1ELi224ELb0ELb1EEvPKT_PKfPKi31ggml_cuda_mm_fusion_args_devicePfi15HIP_vector_typeIjLj3EEiiiSB_iiiSB_iiii.num_vgpr, 11
	.set _ZL13mul_mat_vec_fI6__halffLi1ELi224ELb0ELb1EEvPKT_PKfPKi31ggml_cuda_mm_fusion_args_devicePfi15HIP_vector_typeIjLj3EEiiiSB_iiiSB_iiii.num_agpr, 0
	.set _ZL13mul_mat_vec_fI6__halffLi1ELi224ELb0ELb1EEvPKT_PKfPKi31ggml_cuda_mm_fusion_args_devicePfi15HIP_vector_typeIjLj3EEiiiSB_iiiSB_iiii.numbered_sgpr, 28
	.set _ZL13mul_mat_vec_fI6__halffLi1ELi224ELb0ELb1EEvPKT_PKfPKi31ggml_cuda_mm_fusion_args_devicePfi15HIP_vector_typeIjLj3EEiiiSB_iiiSB_iiii.num_named_barrier, 0
	.set _ZL13mul_mat_vec_fI6__halffLi1ELi224ELb0ELb1EEvPKT_PKfPKi31ggml_cuda_mm_fusion_args_devicePfi15HIP_vector_typeIjLj3EEiiiSB_iiiSB_iiii.private_seg_size, 0
	.set _ZL13mul_mat_vec_fI6__halffLi1ELi224ELb0ELb1EEvPKT_PKfPKi31ggml_cuda_mm_fusion_args_devicePfi15HIP_vector_typeIjLj3EEiiiSB_iiiSB_iiii.uses_vcc, 1
	.set _ZL13mul_mat_vec_fI6__halffLi1ELi224ELb0ELb1EEvPKT_PKfPKi31ggml_cuda_mm_fusion_args_devicePfi15HIP_vector_typeIjLj3EEiiiSB_iiiSB_iiii.uses_flat_scratch, 0
	.set _ZL13mul_mat_vec_fI6__halffLi1ELi224ELb0ELb1EEvPKT_PKfPKi31ggml_cuda_mm_fusion_args_devicePfi15HIP_vector_typeIjLj3EEiiiSB_iiiSB_iiii.has_dyn_sized_stack, 0
	.set _ZL13mul_mat_vec_fI6__halffLi1ELi224ELb0ELb1EEvPKT_PKfPKi31ggml_cuda_mm_fusion_args_devicePfi15HIP_vector_typeIjLj3EEiiiSB_iiiSB_iiii.has_recursion, 0
	.set _ZL13mul_mat_vec_fI6__halffLi1ELi224ELb0ELb1EEvPKT_PKfPKi31ggml_cuda_mm_fusion_args_devicePfi15HIP_vector_typeIjLj3EEiiiSB_iiiSB_iiii.has_indirect_call, 0
	.section	.AMDGPU.csdata,"",@progbits
; Kernel info:
; codeLenInByte = 956
; TotalNumSgprs: 30
; NumVgprs: 11
; ScratchSize: 0
; MemoryBound: 0
; FloatMode: 240
; IeeeMode: 1
; LDSByteSize: 0 bytes/workgroup (compile time only)
; SGPRBlocks: 0
; VGPRBlocks: 1
; NumSGPRsForWavesPerEU: 30
; NumVGPRsForWavesPerEU: 11
; Occupancy: 16
; WaveLimiterHint : 1
; COMPUTE_PGM_RSRC2:SCRATCH_EN: 0
; COMPUTE_PGM_RSRC2:USER_SGPR: 6
; COMPUTE_PGM_RSRC2:TRAP_HANDLER: 0
; COMPUTE_PGM_RSRC2:TGID_X_EN: 1
; COMPUTE_PGM_RSRC2:TGID_Y_EN: 1
; COMPUTE_PGM_RSRC2:TGID_Z_EN: 1
; COMPUTE_PGM_RSRC2:TIDIG_COMP_CNT: 0
	.section	.text._ZL13mul_mat_vec_fI6__halffLi1ELi256ELb1ELb1EEvPKT_PKfPKi31ggml_cuda_mm_fusion_args_devicePfi15HIP_vector_typeIjLj3EEiiiSB_iiiSB_iiii,"axG",@progbits,_ZL13mul_mat_vec_fI6__halffLi1ELi256ELb1ELb1EEvPKT_PKfPKi31ggml_cuda_mm_fusion_args_devicePfi15HIP_vector_typeIjLj3EEiiiSB_iiiSB_iiii,comdat
	.globl	_ZL13mul_mat_vec_fI6__halffLi1ELi256ELb1ELb1EEvPKT_PKfPKi31ggml_cuda_mm_fusion_args_devicePfi15HIP_vector_typeIjLj3EEiiiSB_iiiSB_iiii ; -- Begin function _ZL13mul_mat_vec_fI6__halffLi1ELi256ELb1ELb1EEvPKT_PKfPKi31ggml_cuda_mm_fusion_args_devicePfi15HIP_vector_typeIjLj3EEiiiSB_iiiSB_iiii
	.p2align	8
	.type	_ZL13mul_mat_vec_fI6__halffLi1ELi256ELb1ELb1EEvPKT_PKfPKi31ggml_cuda_mm_fusion_args_devicePfi15HIP_vector_typeIjLj3EEiiiSB_iiiSB_iiii,@function
_ZL13mul_mat_vec_fI6__halffLi1ELi256ELb1ELb1EEvPKT_PKfPKi31ggml_cuda_mm_fusion_args_devicePfi15HIP_vector_typeIjLj3EEiiiSB_iiiSB_iiii: ; @_ZL13mul_mat_vec_fI6__halffLi1ELi256ELb1ELb1EEvPKT_PKfPKi31ggml_cuda_mm_fusion_args_devicePfi15HIP_vector_typeIjLj3EEiiiSB_iiiSB_iiii
; %bb.0:
	s_clause 0x3
	s_load_dword s1, s[4:5], 0x8c
	s_load_dwordx8 s[20:27], s[4:5], 0x0
	s_load_dwordx4 s[36:39], s[4:5], 0x20
	s_load_dwordx8 s[12:19], s[4:5], 0x40
	v_lshl_add_u32 v8, v0, 2, 0
	s_mov_b32 s0, s7
	s_waitcnt lgkmcnt(0)
	s_mul_i32 s1, s1, s8
	s_add_i32 s2, s1, s7
	s_ashr_i32 s3, s2, 31
	s_lshl_b64 s[2:3], s[2:3], 2
	s_add_u32 s10, s24, s2
	s_addc_u32 s11, s25, s3
	s_cmp_lg_u64 s[36:37], 0
	v_cmp_gt_u32_e64 s2, 32, v0
	s_cselect_b32 s1, -1, 0
	s_cmp_eq_u64 s[36:37], 0
	s_cselect_b32 s19, -1, 0
	s_and_saveexec_b32 s3, s2
	s_cbranch_execz .LBB190_3
; %bb.1:
	v_mov_b32_e32 v1, 0
	s_andn2_b32 vcc_lo, exec_lo, s1
	ds_write_b32 v8, v1
	s_cbranch_vccnz .LBB190_3
; %bb.2:
	ds_write_b32 v8, v1 offset:128
.LBB190_3:
	s_or_b32 exec_lo, exec_lo, s3
	s_load_dword s7, s[10:11], 0x0
	s_load_dwordx4 s[28:31], s[4:5], 0x68
	v_mov_b32_e32 v7, 0
	v_mov_b32_e32 v9, 0
	s_mov_b32 s9, exec_lo
	s_waitcnt lgkmcnt(0)
	s_barrier
	buffer_gl0_inv
	v_cmpx_gt_i32_e64 s12, v0
	s_cbranch_execz .LBB190_10
; %bb.4:
	s_mul_hi_u32 s3, s13, s0
	s_mul_i32 s10, s7, s28
	s_add_i32 s3, s0, s3
	s_mul_i32 s11, s16, s6
	s_lshr_b32 s3, s3, s14
	s_ashr_i32 s13, s10, 31
	s_mul_i32 s3, s3, s15
	s_ashr_i32 s14, s11, 31
	s_sub_i32 s3, s0, s3
	s_add_u32 s10, s10, s11
	s_addc_u32 s11, s13, s14
	s_mul_i32 s13, s8, s17
	s_mul_i32 s14, s3, s29
	s_lshl_b32 s16, s13, 1
	s_ashr_i32 s15, s14, 31
	s_ashr_i32 s17, s16, 31
	s_and_b32 s3, s1, exec_lo
	s_cselect_b32 s29, s11, 0
	s_cselect_b32 s28, s10, 0
	v_lshlrev_b32_e32 v5, 2, v0
	s_cselect_b32 s3, s37, 0
	s_cselect_b32 s13, s36, 0
	s_lshl_b64 s[28:29], s[28:29], 1
	v_lshlrev_b32_e32 v3, 3, v0
	s_add_u32 s13, s13, s28
	s_addc_u32 s3, s3, s29
	v_add_co_u32 v1, s13, s13, v5
	s_lshl_b64 s[14:15], s[14:15], 2
	s_lshl_b64 s[16:17], s[16:17], 2
	v_add_co_ci_u32_e64 v2, null, s3, 0, s13
	s_add_u32 s3, s22, s14
	s_addc_u32 s13, s23, s15
	s_add_u32 s3, s3, s16
	s_addc_u32 s13, s13, s17
	v_add_co_u32 v3, s3, s3, v3
	s_lshl_b64 s[10:11], s[10:11], 1
	v_add_co_ci_u32_e64 v4, null, s13, 0, s3
	s_add_u32 s3, s20, s10
	v_add_co_u32 v3, vcc_lo, v3, 4
	s_addc_u32 s10, s21, s11
	v_add_co_u32 v5, s3, s3, v5
	v_mov_b32_e32 v7, 0
	v_add_co_ci_u32_e64 v4, null, 0, v4, vcc_lo
	v_add_co_ci_u32_e64 v6, null, s10, 0, s3
	v_mov_b32_e32 v10, v0
	v_mov_b32_e32 v9, 0
	s_mov_b32 s10, 0
	s_inst_prefetch 0x1
	s_branch .LBB190_7
	.p2align	6
.LBB190_5:                              ;   in Loop: Header=BB190_7 Depth=1
	global_load_dword v12, v[1:2], off
	s_waitcnt vmcnt(0)
	v_cvt_f32_f16_e32 v13, v12
	v_cvt_f32_f16_sdwa v12, v12 dst_sel:DWORD dst_unused:UNUSED_PAD src0_sel:WORD_1
.LBB190_6:                              ;   in Loop: Header=BB190_7 Depth=1
	global_load_dwordx2 v[14:15], v[3:4], off offset:-4
	v_add_nc_u32_e32 v10, 0x100, v10
	v_add_co_u32 v1, vcc_lo, 0x400, v1
	v_add_co_ci_u32_e64 v2, null, 0, v2, vcc_lo
	v_add_co_u32 v3, vcc_lo, 0x800, v3
	v_add_co_ci_u32_e64 v4, null, 0, v4, vcc_lo
	v_cmp_le_i32_e32 vcc_lo, s12, v10
	v_add_co_u32 v5, s3, 0x400, v5
	v_add_co_ci_u32_e64 v6, null, 0, v6, s3
	s_or_b32 s10, vcc_lo, s10
	s_waitcnt vmcnt(0)
	v_fma_f32 v13, v14, v13, v7
	v_fma_mix_f32 v9, v14, v11, v9 op_sel_hi:[0,1,0]
	v_fmac_f32_e32 v13, v15, v12
	v_fma_mix_f32 v9, v15, v11, v9 op_sel:[0,1,0] op_sel_hi:[0,1,0]
	v_cndmask_b32_e64 v7, v7, v13, s1
	s_andn2_b32 exec_lo, exec_lo, s10
	s_cbranch_execz .LBB190_9
.LBB190_7:                              ; =>This Inner Loop Header: Depth=1
	global_load_dword v11, v[5:6], off
	s_andn2_b32 vcc_lo, exec_lo, s1
	s_cbranch_vccz .LBB190_5
; %bb.8:                                ;   in Loop: Header=BB190_7 Depth=1
	v_mov_b32_e32 v12, 0
	v_mov_b32_e32 v13, 0
	s_branch .LBB190_6
.LBB190_9:
	s_inst_prefetch 0x2
	s_or_b32 exec_lo, exec_lo, s10
.LBB190_10:
	s_or_b32 exec_lo, exec_lo, s9
	v_mbcnt_lo_u32_b32 v1, -1, 0
	s_load_dword s9, s[4:5], 0x30
	s_mov_b32 s3, -1
	v_xor_b32_e32 v2, 16, v1
	v_xor_b32_e32 v3, 8, v1
	v_cmp_gt_i32_e32 vcc_lo, 32, v2
	v_cndmask_b32_e32 v2, v1, v2, vcc_lo
	v_cmp_gt_i32_e32 vcc_lo, 32, v3
	v_lshlrev_b32_e32 v2, 2, v2
	v_cndmask_b32_e32 v3, v1, v3, vcc_lo
	ds_bpermute_b32 v4, v2, v9
	v_lshlrev_b32_e32 v3, 2, v3
	s_waitcnt lgkmcnt(0)
	v_add_f32_e32 v5, v9, v4
	v_xor_b32_e32 v4, 4, v1
	ds_bpermute_b32 v6, v3, v5
	v_cmp_gt_i32_e32 vcc_lo, 32, v4
	v_cndmask_b32_e32 v4, v1, v4, vcc_lo
	v_lshlrev_b32_e32 v4, 2, v4
	s_waitcnt lgkmcnt(0)
	v_add_f32_e32 v6, v5, v6
	v_xor_b32_e32 v5, 2, v1
	ds_bpermute_b32 v9, v4, v6
	v_cmp_gt_i32_e32 vcc_lo, 32, v5
	v_cndmask_b32_e32 v5, v1, v5, vcc_lo
	;; [unrolled: 7-line block ×3, first 2 shown]
	s_and_b32 vcc_lo, exec_lo, s19
	v_lshlrev_b32_e32 v6, 2, v1
	s_waitcnt lgkmcnt(0)
	v_add_f32_e32 v1, v9, v10
	v_lshrrev_b32_e32 v10, 5, v0
	ds_bpermute_b32 v9, v6, v1
	s_waitcnt lgkmcnt(0)
	v_add_f32_e32 v1, v1, v9
	v_lshl_add_u32 v9, v10, 2, 0
	s_cbranch_vccz .LBB190_12
; %bb.11:
	s_mov_b32 s3, 0
	ds_write_b32 v9, v1
.LBB190_12:
	s_andn2_b32 vcc_lo, exec_lo, s3
	s_cbranch_vccnz .LBB190_14
; %bb.13:
	ds_bpermute_b32 v10, v2, v7
	s_waitcnt lgkmcnt(0)
	v_add_f32_e32 v7, v7, v10
	ds_bpermute_b32 v10, v3, v7
	s_waitcnt lgkmcnt(0)
	v_add_f32_e32 v7, v7, v10
	;; [unrolled: 3-line block ×5, first 2 shown]
	ds_write2_b32 v9, v1, v7 offset1:32
.LBB190_14:
	s_waitcnt lgkmcnt(0)
	s_barrier
	buffer_gl0_inv
	s_and_saveexec_b32 s3, s2
	s_cbranch_execz .LBB190_18
; %bb.15:
	ds_read_b32 v1, v8
	s_andn2_b32 vcc_lo, exec_lo, s1
	s_waitcnt lgkmcnt(0)
	ds_bpermute_b32 v9, v2, v1
	s_waitcnt lgkmcnt(0)
	v_add_f32_e32 v1, v1, v9
	ds_bpermute_b32 v9, v3, v1
	s_waitcnt lgkmcnt(0)
	v_add_f32_e32 v1, v1, v9
	;; [unrolled: 3-line block ×4, first 2 shown]
	ds_bpermute_b32 v9, v6, v1
	s_cbranch_vccnz .LBB190_17
; %bb.16:
	ds_read_b32 v7, v8 offset:128
	s_waitcnt lgkmcnt(0)
	ds_bpermute_b32 v2, v2, v7
	s_waitcnt lgkmcnt(0)
	v_add_f32_e32 v2, v7, v2
	ds_bpermute_b32 v3, v3, v2
	s_waitcnt lgkmcnt(0)
	v_add_f32_e32 v2, v2, v3
	;; [unrolled: 3-line block ×5, first 2 shown]
.LBB190_17:
	s_waitcnt lgkmcnt(0)
	v_add_f32_e32 v1, v1, v9
.LBB190_18:
	s_or_b32 exec_lo, exec_lo, s3
	s_barrier
	buffer_gl0_inv
	s_mov_b32 s2, exec_lo
	v_cmpx_eq_u32_e32 0, v0
	s_cbranch_execz .LBB190_42
; %bb.19:
	s_cmp_eq_u64 s[26:27], 0
	s_cselect_b32 s10, -1, 0
	s_cmp_eq_u64 s[24:25], 0
	s_cselect_b32 s2, s0, s7
	s_mul_i32 s2, s2, s30
	s_ashr_i32 s3, s2, 31
	s_and_b32 vcc_lo, exec_lo, s10
	s_cbranch_vccnz .LBB190_21
; %bb.20:
	s_cselect_b32 s7, 0, s27
	s_cselect_b32 s12, 0, s26
	s_lshl_b64 s[10:11], s[2:3], 2
	s_add_u32 s12, s12, s10
	s_addc_u32 s13, s7, s11
	s_ashr_i32 s7, s6, 31
	s_lshl_b64 s[10:11], s[6:7], 2
	s_add_u32 s10, s12, s10
	s_addc_u32 s11, s13, s11
	s_load_dword s7, s[10:11], 0x0
	s_waitcnt lgkmcnt(0)
	v_add_f32_e32 v1, s7, v1
.LBB190_21:
	s_andn2_b32 vcc_lo, exec_lo, s1
	s_cbranch_vccnz .LBB190_41
; %bb.22:
	s_cmp_lg_u64 s[38:39], 0
	s_cselect_b32 s7, -1, 0
	s_and_b32 s1, s7, s1
	s_andn2_b32 vcc_lo, exec_lo, s1
	s_cbranch_vccnz .LBB190_24
; %bb.23:
	s_and_b32 s7, s7, exec_lo
	s_cselect_b32 s7, s39, 0
	s_cselect_b32 s10, s38, 0
	s_and_b32 s1, s1, exec_lo
	s_cselect_b32 s3, s3, 0
	s_cselect_b32 s2, s2, 0
	s_lshl_b64 s[2:3], s[2:3], 2
	s_add_u32 s1, s10, s2
	s_addc_u32 s10, s7, s3
	s_ashr_i32 s7, s6, 31
	s_lshl_b64 s[2:3], s[6:7], 2
	s_add_u32 s2, s1, s2
	s_addc_u32 s3, s10, s3
	s_load_dword s1, s[2:3], 0x0
	s_waitcnt lgkmcnt(0)
	v_add_f32_e32 v7, s1, v7
.LBB190_24:
	s_cmp_lt_i32 s9, 2
	s_cbranch_scc1 .LBB190_29
; %bb.25:
	s_cmp_lt_i32 s9, 3
	s_cbranch_scc1 .LBB190_30
; %bb.26:
	v_mov_b32_e32 v0, v1
	s_cmp_eq_u32 s9, 3
	s_cbranch_scc0 .LBB190_28
; %bb.27:
	v_max_f32_e32 v0, v7, v7
	v_min_f32_e32 v0, 0x40e00000, v0
	v_mul_f32_e32 v2, 0xbfd9db23, v0
	v_mul_f32_e32 v3, 0x3fb8aa3b, v2
	v_cmp_ngt_f32_e32 vcc_lo, 0xc2ce8ed0, v2
	v_fma_f32 v4, 0x3fb8aa3b, v2, -v3
	v_rndne_f32_e32 v5, v3
	v_fmamk_f32 v4, v2, 0x32a5705f, v4
	v_sub_f32_e32 v3, v3, v5
	v_add_f32_e32 v3, v3, v4
	v_cvt_i32_f32_e32 v4, v5
	v_exp_f32_e32 v3, v3
	v_ldexp_f32 v3, v3, v4
	v_cndmask_b32_e32 v3, 0, v3, vcc_lo
	v_cmp_nlt_f32_e32 vcc_lo, 0x42b17218, v2
	v_cndmask_b32_e32 v2, 0x7f800000, v3, vcc_lo
	v_add_f32_e32 v2, 1.0, v2
	v_div_scale_f32 v3, null, v2, v2, v0
	v_div_scale_f32 v6, vcc_lo, v0, v2, v0
	v_rcp_f32_e32 v4, v3
	v_fma_f32 v5, -v3, v4, 1.0
	v_fmac_f32_e32 v4, v5, v4
	v_mul_f32_e32 v5, v6, v4
	v_fma_f32 v8, -v3, v5, v6
	v_fmac_f32_e32 v5, v8, v4
	v_max_f32_e32 v8, v1, v1
	v_fma_f32 v3, -v3, v5, v6
	v_min_f32_e32 v6, 0x40e00000, v8
	v_div_fmas_f32 v3, v3, v4, v5
	v_max_f32_e32 v4, 0xc0e00000, v6
	v_div_fixup_f32 v0, v3, v2, v0
	v_add_f32_e32 v2, 1.0, v4
	v_mul_f32_e32 v0, v2, v0
.LBB190_28:
	s_cbranch_execz .LBB190_31
	s_branch .LBB190_32
.LBB190_29:
                                        ; implicit-def: $vgpr0
	s_branch .LBB190_33
.LBB190_30:
                                        ; implicit-def: $vgpr0
.LBB190_31:
	v_mul_f32_e32 v0, 0xbfb8aa3b, v7
	v_cmp_nlt_f32_e32 vcc_lo, 0x42ce8ed0, v7
	v_rndne_f32_e32 v2, v0
	v_fma_f32 v3, 0xbfb8aa3b, v7, -v0
	v_sub_f32_e32 v0, v0, v2
	v_fmamk_f32 v3, v7, 0xb2a5705f, v3
	v_cvt_i32_f32_e32 v2, v2
	v_add_f32_e32 v0, v0, v3
	v_exp_f32_e32 v0, v0
	v_ldexp_f32 v0, v0, v2
	v_cndmask_b32_e32 v0, 0, v0, vcc_lo
	v_cmp_ngt_f32_e32 vcc_lo, 0xc2b17218, v7
	v_cndmask_b32_e32 v0, 0x7f800000, v0, vcc_lo
	v_add_f32_e32 v0, 1.0, v0
	v_div_scale_f32 v2, null, v0, v0, v7
	v_rcp_f32_e32 v3, v2
	v_fma_f32 v4, -v2, v3, 1.0
	v_fmac_f32_e32 v3, v4, v3
	v_div_scale_f32 v4, vcc_lo, v7, v0, v7
	v_mul_f32_e32 v5, v4, v3
	v_fma_f32 v6, -v2, v5, v4
	v_fmac_f32_e32 v5, v6, v3
	v_fma_f32 v2, -v2, v5, v4
	v_div_fmas_f32 v2, v2, v3, v5
	v_div_fixup_f32 v0, v2, v0, v7
	v_mul_f32_e32 v0, v1, v0
.LBB190_32:
	s_cbranch_execnz .LBB190_40
.LBB190_33:
	s_cmp_eq_u32 s9, 1
	s_cbranch_scc0 .LBB190_39
; %bb.34:
	v_mul_f32_e32 v0, 0x3d372713, v7
	v_mul_f32_e32 v2, 0x3f4c422a, v7
	v_fma_f32 v0, v7, v0, 1.0
	v_mul_f32_e32 v0, v2, v0
                                        ; implicit-def: $vgpr2
	v_cmp_ngt_f32_e64 s1, 0x3f200000, |v0|
	s_and_saveexec_b32 s2, s1
	s_xor_b32 s1, exec_lo, s2
	s_cbranch_execz .LBB190_36
; %bb.35:
	v_add_f32_e64 v2, |v0|, |v0|
	v_mul_f32_e32 v3, 0x3fb8aa3b, v2
	v_cmp_ngt_f32_e32 vcc_lo, 0xc2ce8ed0, v2
	v_rndne_f32_e32 v4, v3
	v_fma_f32 v5, 0x3fb8aa3b, v2, -v3
	v_sub_f32_e32 v3, v3, v4
	v_fmamk_f32 v5, v2, 0x32a5705f, v5
	v_cvt_i32_f32_e32 v4, v4
	v_add_f32_e32 v3, v3, v5
	v_exp_f32_e32 v3, v3
	v_ldexp_f32 v3, v3, v4
	v_cndmask_b32_e32 v3, 0, v3, vcc_lo
	v_cmp_nlt_f32_e32 vcc_lo, 0x42b17218, v2
	v_cndmask_b32_e32 v2, 0x7f800000, v3, vcc_lo
	v_add_f32_e32 v2, 1.0, v2
	v_rcp_f32_e32 v2, v2
	v_fma_f32 v2, v2, -2.0, 1.0
.LBB190_36:
	s_andn2_saveexec_b32 s1, s1
	s_cbranch_execz .LBB190_38
; %bb.37:
	v_mul_f32_e32 v2, v0, v0
	s_mov_b32 s2, 0xbbbac73d
	v_fmaak_f32 v3, s2, v2, 0x3ca908c9
	v_fmaak_f32 v3, v2, v3, 0xbd5c1c4e
	;; [unrolled: 1-line block ×4, first 2 shown]
	v_mul_f32_e64 v3, |v0|, v3
	v_fma_f32 v2, v2, v3, |v0|
.LBB190_38:
	s_or_b32 exec_lo, exec_lo, s1
	v_bfi_b32 v0, 0x7fffffff, v2, v0
	v_mul_f32_e32 v2, 0.5, v7
	v_add_f32_e32 v0, 1.0, v0
	v_mul_f32_e32 v0, v2, v0
	v_mul_f32_e32 v1, v1, v0
.LBB190_39:
	v_mov_b32_e32 v0, v1
.LBB190_40:
	v_mov_b32_e32 v1, v0
.LBB190_41:
	s_load_dwordx2 s[2:3], s[4:5], 0x38
	s_mul_i32 s0, s30, s0
	s_mul_i32 s4, s18, s8
	s_ashr_i32 s1, s0, 31
	v_mov_b32_e32 v0, 0
	s_lshl_b64 s[0:1], s[0:1], 2
	s_waitcnt lgkmcnt(0)
	s_add_u32 s2, s2, s0
	s_addc_u32 s3, s3, s1
	s_ashr_i32 s5, s4, 31
	s_lshl_b64 s[0:1], s[4:5], 2
	s_add_u32 s2, s2, s0
	s_addc_u32 s3, s3, s1
	s_ashr_i32 s7, s6, 31
	s_lshl_b64 s[0:1], s[6:7], 2
	s_add_u32 s0, s2, s0
	s_addc_u32 s1, s3, s1
	global_store_dword v0, v1, s[0:1]
.LBB190_42:
	s_endpgm
	.section	.rodata,"a",@progbits
	.p2align	6, 0x0
	.amdhsa_kernel _ZL13mul_mat_vec_fI6__halffLi1ELi256ELb1ELb1EEvPKT_PKfPKi31ggml_cuda_mm_fusion_args_devicePfi15HIP_vector_typeIjLj3EEiiiSB_iiiSB_iiii
		.amdhsa_group_segment_fixed_size 0
		.amdhsa_private_segment_fixed_size 0
		.amdhsa_kernarg_size 144
		.amdhsa_user_sgpr_count 6
		.amdhsa_user_sgpr_private_segment_buffer 1
		.amdhsa_user_sgpr_dispatch_ptr 0
		.amdhsa_user_sgpr_queue_ptr 0
		.amdhsa_user_sgpr_kernarg_segment_ptr 1
		.amdhsa_user_sgpr_dispatch_id 0
		.amdhsa_user_sgpr_flat_scratch_init 0
		.amdhsa_user_sgpr_private_segment_size 0
		.amdhsa_wavefront_size32 1
		.amdhsa_uses_dynamic_stack 0
		.amdhsa_system_sgpr_private_segment_wavefront_offset 0
		.amdhsa_system_sgpr_workgroup_id_x 1
		.amdhsa_system_sgpr_workgroup_id_y 1
		.amdhsa_system_sgpr_workgroup_id_z 1
		.amdhsa_system_sgpr_workgroup_info 0
		.amdhsa_system_vgpr_workitem_id 0
		.amdhsa_next_free_vgpr 16
		.amdhsa_next_free_sgpr 40
		.amdhsa_reserve_vcc 1
		.amdhsa_reserve_flat_scratch 0
		.amdhsa_float_round_mode_32 0
		.amdhsa_float_round_mode_16_64 0
		.amdhsa_float_denorm_mode_32 3
		.amdhsa_float_denorm_mode_16_64 3
		.amdhsa_dx10_clamp 1
		.amdhsa_ieee_mode 1
		.amdhsa_fp16_overflow 0
		.amdhsa_workgroup_processor_mode 1
		.amdhsa_memory_ordered 1
		.amdhsa_forward_progress 1
		.amdhsa_shared_vgpr_count 0
		.amdhsa_exception_fp_ieee_invalid_op 0
		.amdhsa_exception_fp_denorm_src 0
		.amdhsa_exception_fp_ieee_div_zero 0
		.amdhsa_exception_fp_ieee_overflow 0
		.amdhsa_exception_fp_ieee_underflow 0
		.amdhsa_exception_fp_ieee_inexact 0
		.amdhsa_exception_int_div_zero 0
	.end_amdhsa_kernel
	.section	.text._ZL13mul_mat_vec_fI6__halffLi1ELi256ELb1ELb1EEvPKT_PKfPKi31ggml_cuda_mm_fusion_args_devicePfi15HIP_vector_typeIjLj3EEiiiSB_iiiSB_iiii,"axG",@progbits,_ZL13mul_mat_vec_fI6__halffLi1ELi256ELb1ELb1EEvPKT_PKfPKi31ggml_cuda_mm_fusion_args_devicePfi15HIP_vector_typeIjLj3EEiiiSB_iiiSB_iiii,comdat
.Lfunc_end190:
	.size	_ZL13mul_mat_vec_fI6__halffLi1ELi256ELb1ELb1EEvPKT_PKfPKi31ggml_cuda_mm_fusion_args_devicePfi15HIP_vector_typeIjLj3EEiiiSB_iiiSB_iiii, .Lfunc_end190-_ZL13mul_mat_vec_fI6__halffLi1ELi256ELb1ELb1EEvPKT_PKfPKi31ggml_cuda_mm_fusion_args_devicePfi15HIP_vector_typeIjLj3EEiiiSB_iiiSB_iiii
                                        ; -- End function
	.set _ZL13mul_mat_vec_fI6__halffLi1ELi256ELb1ELb1EEvPKT_PKfPKi31ggml_cuda_mm_fusion_args_devicePfi15HIP_vector_typeIjLj3EEiiiSB_iiiSB_iiii.num_vgpr, 16
	.set _ZL13mul_mat_vec_fI6__halffLi1ELi256ELb1ELb1EEvPKT_PKfPKi31ggml_cuda_mm_fusion_args_devicePfi15HIP_vector_typeIjLj3EEiiiSB_iiiSB_iiii.num_agpr, 0
	.set _ZL13mul_mat_vec_fI6__halffLi1ELi256ELb1ELb1EEvPKT_PKfPKi31ggml_cuda_mm_fusion_args_devicePfi15HIP_vector_typeIjLj3EEiiiSB_iiiSB_iiii.numbered_sgpr, 40
	.set _ZL13mul_mat_vec_fI6__halffLi1ELi256ELb1ELb1EEvPKT_PKfPKi31ggml_cuda_mm_fusion_args_devicePfi15HIP_vector_typeIjLj3EEiiiSB_iiiSB_iiii.num_named_barrier, 0
	.set _ZL13mul_mat_vec_fI6__halffLi1ELi256ELb1ELb1EEvPKT_PKfPKi31ggml_cuda_mm_fusion_args_devicePfi15HIP_vector_typeIjLj3EEiiiSB_iiiSB_iiii.private_seg_size, 0
	.set _ZL13mul_mat_vec_fI6__halffLi1ELi256ELb1ELb1EEvPKT_PKfPKi31ggml_cuda_mm_fusion_args_devicePfi15HIP_vector_typeIjLj3EEiiiSB_iiiSB_iiii.uses_vcc, 1
	.set _ZL13mul_mat_vec_fI6__halffLi1ELi256ELb1ELb1EEvPKT_PKfPKi31ggml_cuda_mm_fusion_args_devicePfi15HIP_vector_typeIjLj3EEiiiSB_iiiSB_iiii.uses_flat_scratch, 0
	.set _ZL13mul_mat_vec_fI6__halffLi1ELi256ELb1ELb1EEvPKT_PKfPKi31ggml_cuda_mm_fusion_args_devicePfi15HIP_vector_typeIjLj3EEiiiSB_iiiSB_iiii.has_dyn_sized_stack, 0
	.set _ZL13mul_mat_vec_fI6__halffLi1ELi256ELb1ELb1EEvPKT_PKfPKi31ggml_cuda_mm_fusion_args_devicePfi15HIP_vector_typeIjLj3EEiiiSB_iiiSB_iiii.has_recursion, 0
	.set _ZL13mul_mat_vec_fI6__halffLi1ELi256ELb1ELb1EEvPKT_PKfPKi31ggml_cuda_mm_fusion_args_devicePfi15HIP_vector_typeIjLj3EEiiiSB_iiiSB_iiii.has_indirect_call, 0
	.section	.AMDGPU.csdata,"",@progbits
; Kernel info:
; codeLenInByte = 2152
; TotalNumSgprs: 42
; NumVgprs: 16
; ScratchSize: 0
; MemoryBound: 0
; FloatMode: 240
; IeeeMode: 1
; LDSByteSize: 0 bytes/workgroup (compile time only)
; SGPRBlocks: 0
; VGPRBlocks: 1
; NumSGPRsForWavesPerEU: 42
; NumVGPRsForWavesPerEU: 16
; Occupancy: 16
; WaveLimiterHint : 1
; COMPUTE_PGM_RSRC2:SCRATCH_EN: 0
; COMPUTE_PGM_RSRC2:USER_SGPR: 6
; COMPUTE_PGM_RSRC2:TRAP_HANDLER: 0
; COMPUTE_PGM_RSRC2:TGID_X_EN: 1
; COMPUTE_PGM_RSRC2:TGID_Y_EN: 1
; COMPUTE_PGM_RSRC2:TGID_Z_EN: 1
; COMPUTE_PGM_RSRC2:TIDIG_COMP_CNT: 0
	.section	.text._ZL13mul_mat_vec_fI6__halffLi1ELi256ELb0ELb1EEvPKT_PKfPKi31ggml_cuda_mm_fusion_args_devicePfi15HIP_vector_typeIjLj3EEiiiSB_iiiSB_iiii,"axG",@progbits,_ZL13mul_mat_vec_fI6__halffLi1ELi256ELb0ELb1EEvPKT_PKfPKi31ggml_cuda_mm_fusion_args_devicePfi15HIP_vector_typeIjLj3EEiiiSB_iiiSB_iiii,comdat
	.globl	_ZL13mul_mat_vec_fI6__halffLi1ELi256ELb0ELb1EEvPKT_PKfPKi31ggml_cuda_mm_fusion_args_devicePfi15HIP_vector_typeIjLj3EEiiiSB_iiiSB_iiii ; -- Begin function _ZL13mul_mat_vec_fI6__halffLi1ELi256ELb0ELb1EEvPKT_PKfPKi31ggml_cuda_mm_fusion_args_devicePfi15HIP_vector_typeIjLj3EEiiiSB_iiiSB_iiii
	.p2align	8
	.type	_ZL13mul_mat_vec_fI6__halffLi1ELi256ELb0ELb1EEvPKT_PKfPKi31ggml_cuda_mm_fusion_args_devicePfi15HIP_vector_typeIjLj3EEiiiSB_iiiSB_iiii,@function
_ZL13mul_mat_vec_fI6__halffLi1ELi256ELb0ELb1EEvPKT_PKfPKi31ggml_cuda_mm_fusion_args_devicePfi15HIP_vector_typeIjLj3EEiiiSB_iiiSB_iiii: ; @_ZL13mul_mat_vec_fI6__halffLi1ELi256ELb0ELb1EEvPKT_PKfPKi31ggml_cuda_mm_fusion_args_devicePfi15HIP_vector_typeIjLj3EEiiiSB_iiiSB_iiii
; %bb.0:
	s_clause 0x2
	s_load_dword s2, s[4:5], 0x8c
	s_load_dwordx2 s[0:1], s[4:5], 0x10
	s_load_dwordx8 s[12:19], s[4:5], 0x40
	v_cmp_gt_u32_e32 vcc_lo, 32, v0
	v_lshl_add_u32 v5, v0, 2, 0
	s_waitcnt lgkmcnt(0)
	s_mul_i32 s2, s2, s8
	s_add_i32 s2, s2, s7
	s_ashr_i32 s3, s2, 31
	s_lshl_b64 s[2:3], s[2:3], 2
	s_add_u32 s2, s0, s2
	s_addc_u32 s3, s1, s3
	s_and_saveexec_b32 s0, vcc_lo
; %bb.1:
	v_mov_b32_e32 v1, 0
	ds_write_b32 v5, v1
; %bb.2:
	s_or_b32 exec_lo, exec_lo, s0
	s_load_dwordx4 s[20:23], s[4:5], 0x68
	v_mov_b32_e32 v6, 0
	s_mov_b32 s9, exec_lo
	s_waitcnt lgkmcnt(0)
	s_barrier
	buffer_gl0_inv
	v_cmpx_gt_i32_e64 s12, v0
	s_cbranch_execz .LBB191_6
; %bb.3:
	s_load_dword s19, s[2:3], 0x0
	s_load_dwordx4 s[24:27], s[4:5], 0x0
	s_mul_hi_u32 s0, s13, s7
	s_mul_i32 s1, s8, s17
	s_add_i32 s0, s7, s0
	s_mul_i32 s2, s16, s6
	s_lshr_b32 s0, s0, s14
	v_lshlrev_b32_e32 v1, 3, v0
	s_mul_i32 s10, s0, s15
	s_lshl_b32 s0, s1, 1
	s_sub_i32 s10, s7, s10
	s_ashr_i32 s1, s0, 31
	s_mul_i32 s10, s10, s21
	s_ashr_i32 s3, s2, 31
	s_ashr_i32 s11, s10, 31
	s_lshl_b64 s[0:1], s[0:1], 2
	s_lshl_b64 s[10:11], s[10:11], 2
	v_lshlrev_b32_e32 v3, 2, v0
	v_mov_b32_e32 v6, 0
	v_mov_b32_e32 v7, v0
	s_waitcnt lgkmcnt(0)
	s_mul_i32 s14, s19, s20
	s_ashr_i32 s15, s14, 31
	s_add_u32 s10, s26, s10
	s_addc_u32 s11, s27, s11
	s_add_u32 s0, s10, s0
	s_addc_u32 s1, s11, s1
	v_add_co_u32 v1, s0, s0, v1
	v_add_co_ci_u32_e64 v2, null, s1, 0, s0
	s_lshl_b64 s[10:11], s[14:15], 1
	v_add_co_u32 v1, s0, v1, 4
	v_add_co_ci_u32_e64 v2, null, 0, v2, s0
	s_lshl_b64 s[0:1], s[2:3], 1
	s_add_u32 s2, s24, s10
	s_addc_u32 s3, s25, s11
	s_add_u32 s0, s2, s0
	s_addc_u32 s1, s3, s1
	v_add_co_u32 v3, s0, s0, v3
	v_add_co_ci_u32_e64 v4, null, s1, 0, s0
	s_mov_b32 s2, 0
	.p2align	6
.LBB191_4:                              ; =>This Inner Loop Header: Depth=1
	global_load_dword v10, v[3:4], off
	global_load_dwordx2 v[8:9], v[1:2], off offset:-4
	v_add_nc_u32_e32 v7, 0x100, v7
	v_add_co_u32 v1, s0, 0x800, v1
	v_add_co_ci_u32_e64 v2, null, 0, v2, s0
	v_add_co_u32 v3, s0, 0x400, v3
	v_cmp_le_i32_e64 s1, s12, v7
	v_add_co_ci_u32_e64 v4, null, 0, v4, s0
	s_or_b32 s2, s1, s2
	s_waitcnt vmcnt(0)
	v_fma_mix_f32 v6, v8, v10, v6 op_sel_hi:[0,1,0]
	v_fma_mix_f32 v6, v9, v10, v6 op_sel:[0,1,0] op_sel_hi:[0,1,0]
	s_andn2_b32 exec_lo, exec_lo, s2
	s_cbranch_execnz .LBB191_4
; %bb.5:
	s_or_b32 exec_lo, exec_lo, s2
.LBB191_6:
	s_or_b32 exec_lo, exec_lo, s9
	v_mbcnt_lo_u32_b32 v2, -1, 0
	v_xor_b32_e32 v1, 16, v2
	v_xor_b32_e32 v3, 8, v2
	v_cmp_gt_i32_e64 s0, 32, v1
	v_cndmask_b32_e64 v1, v2, v1, s0
	v_cmp_gt_i32_e64 s0, 32, v3
	v_lshlrev_b32_e32 v1, 2, v1
	v_cndmask_b32_e64 v3, v2, v3, s0
	ds_bpermute_b32 v4, v1, v6
	v_lshlrev_b32_e32 v3, 2, v3
	s_waitcnt lgkmcnt(0)
	v_add_f32_e32 v6, v6, v4
	v_xor_b32_e32 v4, 4, v2
	ds_bpermute_b32 v7, v3, v6
	v_cmp_gt_i32_e64 s0, 32, v4
	v_cndmask_b32_e64 v4, v2, v4, s0
	v_lshlrev_b32_e32 v4, 2, v4
	s_waitcnt lgkmcnt(0)
	v_add_f32_e32 v7, v6, v7
	v_xor_b32_e32 v6, 2, v2
	ds_bpermute_b32 v8, v4, v7
	v_cmp_gt_i32_e64 s0, 32, v6
	v_cndmask_b32_e64 v6, v2, v6, s0
	;; [unrolled: 7-line block ×3, first 2 shown]
	v_lshlrev_b32_e32 v7, 2, v2
	s_waitcnt lgkmcnt(0)
	v_add_f32_e32 v2, v8, v9
	v_lshrrev_b32_e32 v9, 3, v0
	ds_bpermute_b32 v8, v7, v2
	v_and_b32_e32 v9, 0x7c, v9
	v_add_nc_u32_e32 v9, 0, v9
	s_waitcnt lgkmcnt(0)
	v_add_f32_e32 v2, v2, v8
	ds_write_b32 v9, v2
	s_waitcnt lgkmcnt(0)
	s_barrier
	buffer_gl0_inv
	s_and_saveexec_b32 s0, vcc_lo
	s_cbranch_execz .LBB191_8
; %bb.7:
	ds_read_b32 v2, v5
	s_waitcnt lgkmcnt(0)
	ds_bpermute_b32 v1, v1, v2
	s_waitcnt lgkmcnt(0)
	v_add_f32_e32 v1, v2, v1
	ds_bpermute_b32 v2, v3, v1
	s_waitcnt lgkmcnt(0)
	v_add_f32_e32 v1, v1, v2
	;; [unrolled: 3-line block ×5, first 2 shown]
.LBB191_8:
	s_or_b32 exec_lo, exec_lo, s0
	s_barrier
	buffer_gl0_inv
	s_mov_b32 s0, exec_lo
	v_cmpx_eq_u32_e32 0, v0
	s_cbranch_execz .LBB191_10
; %bb.9:
	s_load_dwordx2 s[0:1], s[4:5], 0x38
	s_mul_i32 s2, s22, s7
	s_mul_i32 s4, s18, s8
	s_ashr_i32 s3, s2, 31
	v_mov_b32_e32 v0, 0
	s_lshl_b64 s[2:3], s[2:3], 2
	s_waitcnt lgkmcnt(0)
	s_add_u32 s2, s0, s2
	s_addc_u32 s3, s1, s3
	s_ashr_i32 s5, s4, 31
	s_lshl_b64 s[0:1], s[4:5], 2
	s_add_u32 s2, s2, s0
	s_addc_u32 s3, s3, s1
	s_ashr_i32 s7, s6, 31
	s_lshl_b64 s[0:1], s[6:7], 2
	s_add_u32 s0, s2, s0
	s_addc_u32 s1, s3, s1
	global_store_dword v0, v2, s[0:1]
.LBB191_10:
	s_endpgm
	.section	.rodata,"a",@progbits
	.p2align	6, 0x0
	.amdhsa_kernel _ZL13mul_mat_vec_fI6__halffLi1ELi256ELb0ELb1EEvPKT_PKfPKi31ggml_cuda_mm_fusion_args_devicePfi15HIP_vector_typeIjLj3EEiiiSB_iiiSB_iiii
		.amdhsa_group_segment_fixed_size 0
		.amdhsa_private_segment_fixed_size 0
		.amdhsa_kernarg_size 144
		.amdhsa_user_sgpr_count 6
		.amdhsa_user_sgpr_private_segment_buffer 1
		.amdhsa_user_sgpr_dispatch_ptr 0
		.amdhsa_user_sgpr_queue_ptr 0
		.amdhsa_user_sgpr_kernarg_segment_ptr 1
		.amdhsa_user_sgpr_dispatch_id 0
		.amdhsa_user_sgpr_flat_scratch_init 0
		.amdhsa_user_sgpr_private_segment_size 0
		.amdhsa_wavefront_size32 1
		.amdhsa_uses_dynamic_stack 0
		.amdhsa_system_sgpr_private_segment_wavefront_offset 0
		.amdhsa_system_sgpr_workgroup_id_x 1
		.amdhsa_system_sgpr_workgroup_id_y 1
		.amdhsa_system_sgpr_workgroup_id_z 1
		.amdhsa_system_sgpr_workgroup_info 0
		.amdhsa_system_vgpr_workitem_id 0
		.amdhsa_next_free_vgpr 11
		.amdhsa_next_free_sgpr 28
		.amdhsa_reserve_vcc 1
		.amdhsa_reserve_flat_scratch 0
		.amdhsa_float_round_mode_32 0
		.amdhsa_float_round_mode_16_64 0
		.amdhsa_float_denorm_mode_32 3
		.amdhsa_float_denorm_mode_16_64 3
		.amdhsa_dx10_clamp 1
		.amdhsa_ieee_mode 1
		.amdhsa_fp16_overflow 0
		.amdhsa_workgroup_processor_mode 1
		.amdhsa_memory_ordered 1
		.amdhsa_forward_progress 1
		.amdhsa_shared_vgpr_count 0
		.amdhsa_exception_fp_ieee_invalid_op 0
		.amdhsa_exception_fp_denorm_src 0
		.amdhsa_exception_fp_ieee_div_zero 0
		.amdhsa_exception_fp_ieee_overflow 0
		.amdhsa_exception_fp_ieee_underflow 0
		.amdhsa_exception_fp_ieee_inexact 0
		.amdhsa_exception_int_div_zero 0
	.end_amdhsa_kernel
	.section	.text._ZL13mul_mat_vec_fI6__halffLi1ELi256ELb0ELb1EEvPKT_PKfPKi31ggml_cuda_mm_fusion_args_devicePfi15HIP_vector_typeIjLj3EEiiiSB_iiiSB_iiii,"axG",@progbits,_ZL13mul_mat_vec_fI6__halffLi1ELi256ELb0ELb1EEvPKT_PKfPKi31ggml_cuda_mm_fusion_args_devicePfi15HIP_vector_typeIjLj3EEiiiSB_iiiSB_iiii,comdat
.Lfunc_end191:
	.size	_ZL13mul_mat_vec_fI6__halffLi1ELi256ELb0ELb1EEvPKT_PKfPKi31ggml_cuda_mm_fusion_args_devicePfi15HIP_vector_typeIjLj3EEiiiSB_iiiSB_iiii, .Lfunc_end191-_ZL13mul_mat_vec_fI6__halffLi1ELi256ELb0ELb1EEvPKT_PKfPKi31ggml_cuda_mm_fusion_args_devicePfi15HIP_vector_typeIjLj3EEiiiSB_iiiSB_iiii
                                        ; -- End function
	.set _ZL13mul_mat_vec_fI6__halffLi1ELi256ELb0ELb1EEvPKT_PKfPKi31ggml_cuda_mm_fusion_args_devicePfi15HIP_vector_typeIjLj3EEiiiSB_iiiSB_iiii.num_vgpr, 11
	.set _ZL13mul_mat_vec_fI6__halffLi1ELi256ELb0ELb1EEvPKT_PKfPKi31ggml_cuda_mm_fusion_args_devicePfi15HIP_vector_typeIjLj3EEiiiSB_iiiSB_iiii.num_agpr, 0
	.set _ZL13mul_mat_vec_fI6__halffLi1ELi256ELb0ELb1EEvPKT_PKfPKi31ggml_cuda_mm_fusion_args_devicePfi15HIP_vector_typeIjLj3EEiiiSB_iiiSB_iiii.numbered_sgpr, 28
	.set _ZL13mul_mat_vec_fI6__halffLi1ELi256ELb0ELb1EEvPKT_PKfPKi31ggml_cuda_mm_fusion_args_devicePfi15HIP_vector_typeIjLj3EEiiiSB_iiiSB_iiii.num_named_barrier, 0
	.set _ZL13mul_mat_vec_fI6__halffLi1ELi256ELb0ELb1EEvPKT_PKfPKi31ggml_cuda_mm_fusion_args_devicePfi15HIP_vector_typeIjLj3EEiiiSB_iiiSB_iiii.private_seg_size, 0
	.set _ZL13mul_mat_vec_fI6__halffLi1ELi256ELb0ELb1EEvPKT_PKfPKi31ggml_cuda_mm_fusion_args_devicePfi15HIP_vector_typeIjLj3EEiiiSB_iiiSB_iiii.uses_vcc, 1
	.set _ZL13mul_mat_vec_fI6__halffLi1ELi256ELb0ELb1EEvPKT_PKfPKi31ggml_cuda_mm_fusion_args_devicePfi15HIP_vector_typeIjLj3EEiiiSB_iiiSB_iiii.uses_flat_scratch, 0
	.set _ZL13mul_mat_vec_fI6__halffLi1ELi256ELb0ELb1EEvPKT_PKfPKi31ggml_cuda_mm_fusion_args_devicePfi15HIP_vector_typeIjLj3EEiiiSB_iiiSB_iiii.has_dyn_sized_stack, 0
	.set _ZL13mul_mat_vec_fI6__halffLi1ELi256ELb0ELb1EEvPKT_PKfPKi31ggml_cuda_mm_fusion_args_devicePfi15HIP_vector_typeIjLj3EEiiiSB_iiiSB_iiii.has_recursion, 0
	.set _ZL13mul_mat_vec_fI6__halffLi1ELi256ELb0ELb1EEvPKT_PKfPKi31ggml_cuda_mm_fusion_args_devicePfi15HIP_vector_typeIjLj3EEiiiSB_iiiSB_iiii.has_indirect_call, 0
	.section	.AMDGPU.csdata,"",@progbits
; Kernel info:
; codeLenInByte = 956
; TotalNumSgprs: 30
; NumVgprs: 11
; ScratchSize: 0
; MemoryBound: 0
; FloatMode: 240
; IeeeMode: 1
; LDSByteSize: 0 bytes/workgroup (compile time only)
; SGPRBlocks: 0
; VGPRBlocks: 1
; NumSGPRsForWavesPerEU: 30
; NumVGPRsForWavesPerEU: 11
; Occupancy: 16
; WaveLimiterHint : 1
; COMPUTE_PGM_RSRC2:SCRATCH_EN: 0
; COMPUTE_PGM_RSRC2:USER_SGPR: 6
; COMPUTE_PGM_RSRC2:TRAP_HANDLER: 0
; COMPUTE_PGM_RSRC2:TGID_X_EN: 1
; COMPUTE_PGM_RSRC2:TGID_Y_EN: 1
; COMPUTE_PGM_RSRC2:TGID_Z_EN: 1
; COMPUTE_PGM_RSRC2:TIDIG_COMP_CNT: 0
	.section	.text._ZL13mul_mat_vec_fI6__halffLi1ELi32ELb1ELb0EEvPKT_PKfPKi31ggml_cuda_mm_fusion_args_devicePfi15HIP_vector_typeIjLj3EEiiiSB_iiiSB_iiii,"axG",@progbits,_ZL13mul_mat_vec_fI6__halffLi1ELi32ELb1ELb0EEvPKT_PKfPKi31ggml_cuda_mm_fusion_args_devicePfi15HIP_vector_typeIjLj3EEiiiSB_iiiSB_iiii,comdat
	.globl	_ZL13mul_mat_vec_fI6__halffLi1ELi32ELb1ELb0EEvPKT_PKfPKi31ggml_cuda_mm_fusion_args_devicePfi15HIP_vector_typeIjLj3EEiiiSB_iiiSB_iiii ; -- Begin function _ZL13mul_mat_vec_fI6__halffLi1ELi32ELb1ELb0EEvPKT_PKfPKi31ggml_cuda_mm_fusion_args_devicePfi15HIP_vector_typeIjLj3EEiiiSB_iiiSB_iiii
	.p2align	8
	.type	_ZL13mul_mat_vec_fI6__halffLi1ELi32ELb1ELb0EEvPKT_PKfPKi31ggml_cuda_mm_fusion_args_devicePfi15HIP_vector_typeIjLj3EEiiiSB_iiiSB_iiii,@function
_ZL13mul_mat_vec_fI6__halffLi1ELi32ELb1ELb0EEvPKT_PKfPKi31ggml_cuda_mm_fusion_args_devicePfi15HIP_vector_typeIjLj3EEiiiSB_iiiSB_iiii: ; @_ZL13mul_mat_vec_fI6__halffLi1ELi32ELb1ELb0EEvPKT_PKfPKi31ggml_cuda_mm_fusion_args_devicePfi15HIP_vector_typeIjLj3EEiiiSB_iiiSB_iiii
; %bb.0:
	s_clause 0x3
	s_load_dwordx8 s[12:19], s[4:5], 0x0
	s_load_dwordx4 s[24:27], s[4:5], 0x20
	s_load_dwordx4 s[36:39], s[4:5], 0x40
	;; [unrolled: 1-line block ×3, first 2 shown]
	s_mov_b32 s0, s7
	s_waitcnt lgkmcnt(0)
	s_cmp_eq_u64 s[16:17], 0
	s_cselect_b32 s1, -1, 0
	s_cmp_lg_u64 s[16:17], 0
	s_cselect_b32 s10, -1, 0
	s_and_b32 vcc_lo, exec_lo, s1
	s_cbranch_vccnz .LBB192_2
; %bb.1:
	s_mul_i32 s2, s31, s8
	s_mov_b32 s3, 0
	s_add_i32 s2, s2, s0
	s_lshl_b64 s[20:21], s[2:3], 2
	s_add_u32 s16, s16, s20
	s_addc_u32 s17, s17, s21
	s_load_dword s7, s[16:17], 0x0
	s_branch .LBB192_3
.LBB192_2:
	s_mov_b32 s3, -1
                                        ; implicit-def: $sgpr7
.LBB192_3:
	s_clause 0x1
	s_load_dwordx4 s[20:23], s[4:5], 0x68
	s_load_dword s2, s[4:5], 0x50
	s_andn2_b32 vcc_lo, exec_lo, s3
	s_waitcnt lgkmcnt(0)
	s_mov_b32 s9, s7
	s_cbranch_vccnz .LBB192_5
; %bb.4:
	s_load_dwordx2 s[16:17], s[4:5], 0x5c
	s_mov_b32 s7, s0
	s_waitcnt lgkmcnt(0)
	s_mul_hi_u32 s3, s16, s0
	s_add_i32 s3, s0, s3
	s_lshr_b32 s9, s3, s17
.LBB192_5:
	s_load_dword s16, s[4:5], 0x78
	s_andn2_b32 vcc_lo, exec_lo, s10
	s_mov_b32 s10, s0
	s_cbranch_vccnz .LBB192_7
; %bb.6:
	s_mul_hi_u32 s3, s37, s0
	s_add_i32 s3, s0, s3
	s_lshr_b32 s3, s3, s38
	s_mul_i32 s3, s3, s39
	s_sub_i32 s10, s0, s3
.LBB192_7:
	s_and_b32 s1, exec_lo, s1
	v_mov_b32_e32 v7, 0
	v_mov_b32_e32 v8, 0
	s_cselect_b32 s11, s8, 0
	s_cmp_lg_u64 s[24:25], 0
	s_mov_b32 s8, 0
	s_cselect_b32 s1, -1, 0
	s_mov_b32 s3, exec_lo
	v_cmpx_gt_i32_e64 s36, v0
	s_cbranch_execz .LBB192_14
; %bb.8:
	s_mul_hi_u32 s17, s23, s11
	s_mul_i32 s9, s9, s20
	s_add_i32 s17, s11, s17
	s_mul_i32 s2, s2, s6
	s_waitcnt lgkmcnt(0)
	s_lshr_b32 s16, s17, s16
	s_ashr_i32 s20, s9, 31
	s_mul_hi_i32 s17, s16, s28
	s_mul_i32 s16, s16, s28
	s_ashr_i32 s23, s2, 31
	s_add_u32 s2, s16, s2
	s_addc_u32 s17, s17, s23
	s_add_u32 s16, s2, s9
	s_addc_u32 s17, s17, s20
	s_mul_i32 s20, s10, s21
	s_and_b32 s2, s1, exec_lo
	s_cselect_b32 s35, s17, 0
	s_cselect_b32 s34, s16, 0
	s_ashr_i32 s21, s20, 31
	s_and_b32 s2, s1, exec_lo
	v_lshlrev_b32_e32 v5, 2, v0
	s_cselect_b32 s2, s25, 0
	s_cselect_b32 s9, s24, 0
	s_lshl_b64 s[24:25], s[34:35], 1
	v_lshlrev_b32_e32 v3, 3, v0
	s_add_u32 s9, s9, s24
	s_addc_u32 s2, s2, s25
	s_mul_hi_i32 s25, s11, s29
	s_mul_i32 s24, s11, s29
	v_add_co_u32 v1, s9, s9, v5
	s_lshl_b64 s[20:21], s[20:21], 2
	s_lshl_b64 s[24:25], s[24:25], 2
	v_add_co_ci_u32_e64 v2, null, s2, 0, s9
	s_add_u32 s2, s14, s20
	s_addc_u32 s9, s15, s21
	s_add_u32 s2, s2, s24
	s_addc_u32 s9, s9, s25
	v_add_co_u32 v3, s2, s2, v3
	s_lshl_b64 s[14:15], s[16:17], 1
	v_add_co_ci_u32_e64 v4, null, s9, 0, s2
	s_add_u32 s2, s12, s14
	v_add_co_u32 v3, vcc_lo, v3, 4
	s_addc_u32 s9, s13, s15
	v_add_co_u32 v5, s2, s2, v5
	v_mov_b32_e32 v7, 0
	v_add_co_ci_u32_e64 v4, null, 0, v4, vcc_lo
	v_add_co_ci_u32_e64 v6, null, s9, 0, s2
	v_mov_b32_e32 v9, v0
	v_mov_b32_e32 v8, 0
	s_inst_prefetch 0x1
	s_branch .LBB192_11
	.p2align	6
.LBB192_9:                              ;   in Loop: Header=BB192_11 Depth=1
	global_load_dword v11, v[1:2], off
	s_waitcnt vmcnt(0)
	v_cvt_f32_f16_e32 v12, v11
	v_cvt_f32_f16_sdwa v11, v11 dst_sel:DWORD dst_unused:UNUSED_PAD src0_sel:WORD_1
.LBB192_10:                             ;   in Loop: Header=BB192_11 Depth=1
	global_load_dwordx2 v[13:14], v[3:4], off offset:-4
	v_add_nc_u32_e32 v9, 32, v9
	v_add_co_u32 v1, vcc_lo, 0x80, v1
	v_add_co_ci_u32_e64 v2, null, 0, v2, vcc_lo
	v_add_co_u32 v3, vcc_lo, 0x100, v3
	v_add_co_ci_u32_e64 v4, null, 0, v4, vcc_lo
	v_cmp_le_i32_e32 vcc_lo, s36, v9
	v_add_co_u32 v5, s2, 0x80, v5
	v_add_co_ci_u32_e64 v6, null, 0, v6, s2
	s_or_b32 s8, vcc_lo, s8
	s_waitcnt vmcnt(0)
	v_fma_f32 v12, v13, v12, v7
	v_fma_mix_f32 v8, v13, v10, v8 op_sel_hi:[0,1,0]
	v_fmac_f32_e32 v12, v14, v11
	v_fma_mix_f32 v8, v14, v10, v8 op_sel:[0,1,0] op_sel_hi:[0,1,0]
	v_cndmask_b32_e64 v7, v7, v12, s1
	s_andn2_b32 exec_lo, exec_lo, s8
	s_cbranch_execz .LBB192_13
.LBB192_11:                             ; =>This Inner Loop Header: Depth=1
	global_load_dword v10, v[5:6], off
	s_andn2_b32 vcc_lo, exec_lo, s1
	s_cbranch_vccz .LBB192_9
; %bb.12:                               ;   in Loop: Header=BB192_11 Depth=1
	v_mov_b32_e32 v11, 0
	v_mov_b32_e32 v12, 0
	s_branch .LBB192_10
.LBB192_13:
	s_inst_prefetch 0x2
	s_or_b32 exec_lo, exec_lo, s8
.LBB192_14:
	s_or_b32 exec_lo, exec_lo, s3
	s_load_dword s10, s[4:5], 0x30
; %bb.15:
	v_mbcnt_lo_u32_b32 v2, -1, 0
	v_xor_b32_e32 v1, 16, v2
	v_xor_b32_e32 v4, 8, v2
	;; [unrolled: 1-line block ×3, first 2 shown]
	v_cmp_gt_i32_e32 vcc_lo, 32, v1
	v_cndmask_b32_e32 v1, v2, v1, vcc_lo
	v_cmp_gt_i32_e32 vcc_lo, 32, v4
	v_lshlrev_b32_e32 v1, 2, v1
	v_cndmask_b32_e32 v4, v2, v4, vcc_lo
	v_cmp_gt_i32_e32 vcc_lo, 32, v5
	ds_bpermute_b32 v3, v1, v8
	v_lshlrev_b32_e32 v4, 2, v4
	v_cndmask_b32_e32 v5, v2, v5, vcc_lo
	v_lshlrev_b32_e32 v5, 2, v5
	s_waitcnt lgkmcnt(0)
	v_add_f32_e32 v3, v8, v3
	ds_bpermute_b32 v6, v4, v3
	s_waitcnt lgkmcnt(0)
	v_add_f32_e32 v3, v3, v6
	v_xor_b32_e32 v6, 2, v2
	ds_bpermute_b32 v8, v5, v3
	v_cmp_gt_i32_e32 vcc_lo, 32, v6
	v_cndmask_b32_e32 v6, v2, v6, vcc_lo
	v_lshlrev_b32_e32 v6, 2, v6
	s_waitcnt lgkmcnt(0)
	v_add_f32_e32 v3, v3, v8
	v_xor_b32_e32 v8, 1, v2
	ds_bpermute_b32 v9, v6, v3
	v_cmp_gt_i32_e32 vcc_lo, 32, v8
	v_cndmask_b32_e32 v2, v2, v8, vcc_lo
	s_and_b32 vcc_lo, exec_lo, s1
	v_lshlrev_b32_e32 v8, 2, v2
	s_waitcnt lgkmcnt(0)
	v_add_f32_e32 v2, v3, v9
	ds_bpermute_b32 v3, v8, v2
	s_cbranch_vccz .LBB192_17
; %bb.16:
	ds_bpermute_b32 v1, v1, v7
	s_waitcnt lgkmcnt(0)
	v_add_f32_e32 v1, v7, v1
	ds_bpermute_b32 v4, v4, v1
	s_waitcnt lgkmcnt(0)
	v_add_f32_e32 v1, v1, v4
	;; [unrolled: 3-line block ×5, first 2 shown]
.LBB192_17:
	s_mov_b32 s2, exec_lo
	v_cmpx_eq_u32_e32 0, v0
	s_cbranch_execz .LBB192_41
; %bb.18:
	s_cmp_eq_u64 s[18:19], 0
	s_waitcnt lgkmcnt(0)
	v_add_f32_e32 v0, v2, v3
	s_mul_i32 s8, s7, s22
	s_cselect_b32 s2, -1, 0
	s_ashr_i32 s9, s8, 31
	s_mul_hi_i32 s3, s30, s11
	s_and_b32 vcc_lo, exec_lo, s2
	s_mul_i32 s2, s30, s11
	s_cbranch_vccnz .LBB192_20
; %bb.19:
	s_cselect_b32 s7, 0, s19
	s_cselect_b32 s11, 0, s18
	s_lshl_b64 s[12:13], s[2:3], 2
	s_add_u32 s11, s11, s12
	s_addc_u32 s7, s7, s13
	s_lshl_b64 s[12:13], s[8:9], 2
	s_add_u32 s11, s11, s12
	s_addc_u32 s14, s7, s13
	s_ashr_i32 s7, s6, 31
	s_lshl_b64 s[12:13], s[6:7], 2
	s_add_u32 s12, s11, s12
	s_addc_u32 s13, s14, s13
	s_load_dword s7, s[12:13], 0x0
	s_waitcnt lgkmcnt(0)
	v_add_f32_e32 v0, s7, v0
.LBB192_20:
	s_andn2_b32 vcc_lo, exec_lo, s1
	s_cbranch_vccnz .LBB192_40
; %bb.21:
	s_cmp_lg_u64 s[26:27], 0
	s_cselect_b32 s7, -1, 0
	s_and_b32 s1, s7, s1
	s_andn2_b32 vcc_lo, exec_lo, s1
	s_cbranch_vccnz .LBB192_23
; %bb.22:
	s_and_b32 s1, s7, exec_lo
	s_cselect_b32 s1, s27, 0
	s_cselect_b32 s7, s26, 0
	s_lshl_b64 s[12:13], s[2:3], 2
	s_add_u32 s7, s7, s12
	s_addc_u32 s1, s1, s13
	s_lshl_b64 s[8:9], s[8:9], 2
	s_add_u32 s11, s7, s8
	s_addc_u32 s1, s1, s9
	s_ashr_i32 s7, s6, 31
	s_lshl_b64 s[8:9], s[6:7], 2
	s_add_u32 s8, s11, s8
	s_addc_u32 s9, s1, s9
	s_load_dword s1, s[8:9], 0x0
	s_waitcnt lgkmcnt(0)
	v_add_f32_e32 v7, s1, v7
.LBB192_23:
	s_cmp_lt_i32 s10, 2
	s_cbranch_scc1 .LBB192_28
; %bb.24:
	s_cmp_lt_i32 s10, 3
	s_cbranch_scc1 .LBB192_29
; %bb.25:
	v_mov_b32_e32 v1, v0
	s_cmp_eq_u32 s10, 3
	s_cbranch_scc0 .LBB192_27
; %bb.26:
	v_max_f32_e32 v1, v7, v7
	v_min_f32_e32 v1, 0x40e00000, v1
	v_mul_f32_e32 v2, 0xbfd9db23, v1
	v_mul_f32_e32 v3, 0x3fb8aa3b, v2
	v_cmp_ngt_f32_e32 vcc_lo, 0xc2ce8ed0, v2
	v_fma_f32 v4, 0x3fb8aa3b, v2, -v3
	v_rndne_f32_e32 v5, v3
	v_fmamk_f32 v4, v2, 0x32a5705f, v4
	v_sub_f32_e32 v3, v3, v5
	v_add_f32_e32 v3, v3, v4
	v_cvt_i32_f32_e32 v4, v5
	v_exp_f32_e32 v3, v3
	v_ldexp_f32 v3, v3, v4
	v_cndmask_b32_e32 v3, 0, v3, vcc_lo
	v_cmp_nlt_f32_e32 vcc_lo, 0x42b17218, v2
	v_cndmask_b32_e32 v2, 0x7f800000, v3, vcc_lo
	v_add_f32_e32 v2, 1.0, v2
	v_div_scale_f32 v3, null, v2, v2, v1
	v_div_scale_f32 v6, vcc_lo, v1, v2, v1
	v_rcp_f32_e32 v4, v3
	v_fma_f32 v5, -v3, v4, 1.0
	v_fmac_f32_e32 v4, v5, v4
	v_mul_f32_e32 v5, v6, v4
	v_fma_f32 v8, -v3, v5, v6
	v_fmac_f32_e32 v5, v8, v4
	v_max_f32_e32 v8, v0, v0
	v_fma_f32 v3, -v3, v5, v6
	v_min_f32_e32 v6, 0x40e00000, v8
	v_div_fmas_f32 v3, v3, v4, v5
	v_max_f32_e32 v4, 0xc0e00000, v6
	v_div_fixup_f32 v1, v3, v2, v1
	v_add_f32_e32 v2, 1.0, v4
	v_mul_f32_e32 v1, v2, v1
.LBB192_27:
	s_cbranch_execz .LBB192_30
	s_branch .LBB192_31
.LBB192_28:
                                        ; implicit-def: $vgpr1
	s_branch .LBB192_32
.LBB192_29:
                                        ; implicit-def: $vgpr1
.LBB192_30:
	v_mul_f32_e32 v1, 0xbfb8aa3b, v7
	v_cmp_nlt_f32_e32 vcc_lo, 0x42ce8ed0, v7
	v_rndne_f32_e32 v2, v1
	v_fma_f32 v3, 0xbfb8aa3b, v7, -v1
	v_sub_f32_e32 v1, v1, v2
	v_fmamk_f32 v3, v7, 0xb2a5705f, v3
	v_cvt_i32_f32_e32 v2, v2
	v_add_f32_e32 v1, v1, v3
	v_exp_f32_e32 v1, v1
	v_ldexp_f32 v1, v1, v2
	v_cndmask_b32_e32 v1, 0, v1, vcc_lo
	v_cmp_ngt_f32_e32 vcc_lo, 0xc2b17218, v7
	v_cndmask_b32_e32 v1, 0x7f800000, v1, vcc_lo
	v_add_f32_e32 v1, 1.0, v1
	v_div_scale_f32 v2, null, v1, v1, v7
	v_rcp_f32_e32 v3, v2
	v_fma_f32 v4, -v2, v3, 1.0
	v_fmac_f32_e32 v3, v4, v3
	v_div_scale_f32 v4, vcc_lo, v7, v1, v7
	v_mul_f32_e32 v5, v4, v3
	v_fma_f32 v6, -v2, v5, v4
	v_fmac_f32_e32 v5, v6, v3
	v_fma_f32 v2, -v2, v5, v4
	v_div_fmas_f32 v2, v2, v3, v5
	v_div_fixup_f32 v1, v2, v1, v7
	v_mul_f32_e32 v1, v0, v1
.LBB192_31:
	s_cbranch_execnz .LBB192_39
.LBB192_32:
	s_cmp_eq_u32 s10, 1
	s_cbranch_scc0 .LBB192_38
; %bb.33:
	v_mul_f32_e32 v1, 0x3d372713, v7
	v_mul_f32_e32 v2, 0x3f4c422a, v7
	v_fma_f32 v1, v7, v1, 1.0
	v_mul_f32_e32 v1, v2, v1
                                        ; implicit-def: $vgpr2
	v_cmp_ngt_f32_e64 s1, 0x3f200000, |v1|
	s_and_saveexec_b32 s7, s1
	s_xor_b32 s1, exec_lo, s7
	s_cbranch_execz .LBB192_35
; %bb.34:
	v_add_f32_e64 v2, |v1|, |v1|
	v_mul_f32_e32 v3, 0x3fb8aa3b, v2
	v_cmp_ngt_f32_e32 vcc_lo, 0xc2ce8ed0, v2
	v_rndne_f32_e32 v4, v3
	v_fma_f32 v5, 0x3fb8aa3b, v2, -v3
	v_sub_f32_e32 v3, v3, v4
	v_fmamk_f32 v5, v2, 0x32a5705f, v5
	v_cvt_i32_f32_e32 v4, v4
	v_add_f32_e32 v3, v3, v5
	v_exp_f32_e32 v3, v3
	v_ldexp_f32 v3, v3, v4
	v_cndmask_b32_e32 v3, 0, v3, vcc_lo
	v_cmp_nlt_f32_e32 vcc_lo, 0x42b17218, v2
	v_cndmask_b32_e32 v2, 0x7f800000, v3, vcc_lo
	v_add_f32_e32 v2, 1.0, v2
	v_rcp_f32_e32 v2, v2
	v_fma_f32 v2, v2, -2.0, 1.0
.LBB192_35:
	s_andn2_saveexec_b32 s1, s1
	s_cbranch_execz .LBB192_37
; %bb.36:
	v_mul_f32_e32 v2, v1, v1
	s_mov_b32 s7, 0xbbbac73d
	v_fmaak_f32 v3, s7, v2, 0x3ca908c9
	v_fmaak_f32 v3, v2, v3, 0xbd5c1c4e
	;; [unrolled: 1-line block ×4, first 2 shown]
	v_mul_f32_e64 v3, |v1|, v3
	v_fma_f32 v2, v2, v3, |v1|
.LBB192_37:
	s_or_b32 exec_lo, exec_lo, s1
	v_bfi_b32 v1, 0x7fffffff, v2, v1
	v_mul_f32_e32 v2, 0.5, v7
	v_add_f32_e32 v1, 1.0, v1
	v_mul_f32_e32 v1, v2, v1
	v_mul_f32_e32 v0, v0, v1
.LBB192_38:
	v_mov_b32_e32 v1, v0
.LBB192_39:
	v_mov_b32_e32 v0, v1
.LBB192_40:
	s_load_dwordx2 s[4:5], s[4:5], 0x38
	s_lshl_b64 s[2:3], s[2:3], 2
	s_mul_i32 s0, s22, s0
	v_mov_b32_e32 v1, 0
	s_waitcnt lgkmcnt(0)
	s_add_u32 s2, s4, s2
	s_addc_u32 s3, s5, s3
	s_ashr_i32 s1, s0, 31
	s_lshl_b64 s[0:1], s[0:1], 2
	s_add_u32 s2, s2, s0
	s_addc_u32 s3, s3, s1
	s_ashr_i32 s7, s6, 31
	s_lshl_b64 s[0:1], s[6:7], 2
	s_add_u32 s0, s2, s0
	s_addc_u32 s1, s3, s1
	global_store_dword v1, v0, s[0:1]
.LBB192_41:
	s_endpgm
	.section	.rodata,"a",@progbits
	.p2align	6, 0x0
	.amdhsa_kernel _ZL13mul_mat_vec_fI6__halffLi1ELi32ELb1ELb0EEvPKT_PKfPKi31ggml_cuda_mm_fusion_args_devicePfi15HIP_vector_typeIjLj3EEiiiSB_iiiSB_iiii
		.amdhsa_group_segment_fixed_size 0
		.amdhsa_private_segment_fixed_size 0
		.amdhsa_kernarg_size 144
		.amdhsa_user_sgpr_count 6
		.amdhsa_user_sgpr_private_segment_buffer 1
		.amdhsa_user_sgpr_dispatch_ptr 0
		.amdhsa_user_sgpr_queue_ptr 0
		.amdhsa_user_sgpr_kernarg_segment_ptr 1
		.amdhsa_user_sgpr_dispatch_id 0
		.amdhsa_user_sgpr_flat_scratch_init 0
		.amdhsa_user_sgpr_private_segment_size 0
		.amdhsa_wavefront_size32 1
		.amdhsa_uses_dynamic_stack 0
		.amdhsa_system_sgpr_private_segment_wavefront_offset 0
		.amdhsa_system_sgpr_workgroup_id_x 1
		.amdhsa_system_sgpr_workgroup_id_y 1
		.amdhsa_system_sgpr_workgroup_id_z 1
		.amdhsa_system_sgpr_workgroup_info 0
		.amdhsa_system_vgpr_workitem_id 0
		.amdhsa_next_free_vgpr 15
		.amdhsa_next_free_sgpr 40
		.amdhsa_reserve_vcc 1
		.amdhsa_reserve_flat_scratch 0
		.amdhsa_float_round_mode_32 0
		.amdhsa_float_round_mode_16_64 0
		.amdhsa_float_denorm_mode_32 3
		.amdhsa_float_denorm_mode_16_64 3
		.amdhsa_dx10_clamp 1
		.amdhsa_ieee_mode 1
		.amdhsa_fp16_overflow 0
		.amdhsa_workgroup_processor_mode 1
		.amdhsa_memory_ordered 1
		.amdhsa_forward_progress 1
		.amdhsa_shared_vgpr_count 0
		.amdhsa_exception_fp_ieee_invalid_op 0
		.amdhsa_exception_fp_denorm_src 0
		.amdhsa_exception_fp_ieee_div_zero 0
		.amdhsa_exception_fp_ieee_overflow 0
		.amdhsa_exception_fp_ieee_underflow 0
		.amdhsa_exception_fp_ieee_inexact 0
		.amdhsa_exception_int_div_zero 0
	.end_amdhsa_kernel
	.section	.text._ZL13mul_mat_vec_fI6__halffLi1ELi32ELb1ELb0EEvPKT_PKfPKi31ggml_cuda_mm_fusion_args_devicePfi15HIP_vector_typeIjLj3EEiiiSB_iiiSB_iiii,"axG",@progbits,_ZL13mul_mat_vec_fI6__halffLi1ELi32ELb1ELb0EEvPKT_PKfPKi31ggml_cuda_mm_fusion_args_devicePfi15HIP_vector_typeIjLj3EEiiiSB_iiiSB_iiii,comdat
.Lfunc_end192:
	.size	_ZL13mul_mat_vec_fI6__halffLi1ELi32ELb1ELb0EEvPKT_PKfPKi31ggml_cuda_mm_fusion_args_devicePfi15HIP_vector_typeIjLj3EEiiiSB_iiiSB_iiii, .Lfunc_end192-_ZL13mul_mat_vec_fI6__halffLi1ELi32ELb1ELb0EEvPKT_PKfPKi31ggml_cuda_mm_fusion_args_devicePfi15HIP_vector_typeIjLj3EEiiiSB_iiiSB_iiii
                                        ; -- End function
	.set _ZL13mul_mat_vec_fI6__halffLi1ELi32ELb1ELb0EEvPKT_PKfPKi31ggml_cuda_mm_fusion_args_devicePfi15HIP_vector_typeIjLj3EEiiiSB_iiiSB_iiii.num_vgpr, 15
	.set _ZL13mul_mat_vec_fI6__halffLi1ELi32ELb1ELb0EEvPKT_PKfPKi31ggml_cuda_mm_fusion_args_devicePfi15HIP_vector_typeIjLj3EEiiiSB_iiiSB_iiii.num_agpr, 0
	.set _ZL13mul_mat_vec_fI6__halffLi1ELi32ELb1ELb0EEvPKT_PKfPKi31ggml_cuda_mm_fusion_args_devicePfi15HIP_vector_typeIjLj3EEiiiSB_iiiSB_iiii.numbered_sgpr, 40
	.set _ZL13mul_mat_vec_fI6__halffLi1ELi32ELb1ELb0EEvPKT_PKfPKi31ggml_cuda_mm_fusion_args_devicePfi15HIP_vector_typeIjLj3EEiiiSB_iiiSB_iiii.num_named_barrier, 0
	.set _ZL13mul_mat_vec_fI6__halffLi1ELi32ELb1ELb0EEvPKT_PKfPKi31ggml_cuda_mm_fusion_args_devicePfi15HIP_vector_typeIjLj3EEiiiSB_iiiSB_iiii.private_seg_size, 0
	.set _ZL13mul_mat_vec_fI6__halffLi1ELi32ELb1ELb0EEvPKT_PKfPKi31ggml_cuda_mm_fusion_args_devicePfi15HIP_vector_typeIjLj3EEiiiSB_iiiSB_iiii.uses_vcc, 1
	.set _ZL13mul_mat_vec_fI6__halffLi1ELi32ELb1ELb0EEvPKT_PKfPKi31ggml_cuda_mm_fusion_args_devicePfi15HIP_vector_typeIjLj3EEiiiSB_iiiSB_iiii.uses_flat_scratch, 0
	.set _ZL13mul_mat_vec_fI6__halffLi1ELi32ELb1ELb0EEvPKT_PKfPKi31ggml_cuda_mm_fusion_args_devicePfi15HIP_vector_typeIjLj3EEiiiSB_iiiSB_iiii.has_dyn_sized_stack, 0
	.set _ZL13mul_mat_vec_fI6__halffLi1ELi32ELb1ELb0EEvPKT_PKfPKi31ggml_cuda_mm_fusion_args_devicePfi15HIP_vector_typeIjLj3EEiiiSB_iiiSB_iiii.has_recursion, 0
	.set _ZL13mul_mat_vec_fI6__halffLi1ELi32ELb1ELb0EEvPKT_PKfPKi31ggml_cuda_mm_fusion_args_devicePfi15HIP_vector_typeIjLj3EEiiiSB_iiiSB_iiii.has_indirect_call, 0
	.section	.AMDGPU.csdata,"",@progbits
; Kernel info:
; codeLenInByte = 1940
; TotalNumSgprs: 42
; NumVgprs: 15
; ScratchSize: 0
; MemoryBound: 0
; FloatMode: 240
; IeeeMode: 1
; LDSByteSize: 0 bytes/workgroup (compile time only)
; SGPRBlocks: 0
; VGPRBlocks: 1
; NumSGPRsForWavesPerEU: 42
; NumVGPRsForWavesPerEU: 15
; Occupancy: 16
; WaveLimiterHint : 1
; COMPUTE_PGM_RSRC2:SCRATCH_EN: 0
; COMPUTE_PGM_RSRC2:USER_SGPR: 6
; COMPUTE_PGM_RSRC2:TRAP_HANDLER: 0
; COMPUTE_PGM_RSRC2:TGID_X_EN: 1
; COMPUTE_PGM_RSRC2:TGID_Y_EN: 1
; COMPUTE_PGM_RSRC2:TGID_Z_EN: 1
; COMPUTE_PGM_RSRC2:TIDIG_COMP_CNT: 0
	.section	.text._ZL13mul_mat_vec_fI6__halffLi1ELi32ELb0ELb0EEvPKT_PKfPKi31ggml_cuda_mm_fusion_args_devicePfi15HIP_vector_typeIjLj3EEiiiSB_iiiSB_iiii,"axG",@progbits,_ZL13mul_mat_vec_fI6__halffLi1ELi32ELb0ELb0EEvPKT_PKfPKi31ggml_cuda_mm_fusion_args_devicePfi15HIP_vector_typeIjLj3EEiiiSB_iiiSB_iiii,comdat
	.globl	_ZL13mul_mat_vec_fI6__halffLi1ELi32ELb0ELb0EEvPKT_PKfPKi31ggml_cuda_mm_fusion_args_devicePfi15HIP_vector_typeIjLj3EEiiiSB_iiiSB_iiii ; -- Begin function _ZL13mul_mat_vec_fI6__halffLi1ELi32ELb0ELb0EEvPKT_PKfPKi31ggml_cuda_mm_fusion_args_devicePfi15HIP_vector_typeIjLj3EEiiiSB_iiiSB_iiii
	.p2align	8
	.type	_ZL13mul_mat_vec_fI6__halffLi1ELi32ELb0ELb0EEvPKT_PKfPKi31ggml_cuda_mm_fusion_args_devicePfi15HIP_vector_typeIjLj3EEiiiSB_iiiSB_iiii,@function
_ZL13mul_mat_vec_fI6__halffLi1ELi32ELb0ELb0EEvPKT_PKfPKi31ggml_cuda_mm_fusion_args_devicePfi15HIP_vector_typeIjLj3EEiiiSB_iiiSB_iiii: ; @_ZL13mul_mat_vec_fI6__halffLi1ELi32ELb0ELb0EEvPKT_PKfPKi31ggml_cuda_mm_fusion_args_devicePfi15HIP_vector_typeIjLj3EEiiiSB_iiiSB_iiii
; %bb.0:
	s_clause 0x2
	s_load_dwordx2 s[12:13], s[4:5], 0x10
	s_load_dwordx4 s[16:19], s[4:5], 0x40
	s_load_dwordx4 s[0:3], s[4:5], 0x80
	s_waitcnt lgkmcnt(0)
	s_cmp_eq_u64 s[12:13], 0
	s_cselect_b32 s9, -1, 0
	s_cmp_lg_u64 s[12:13], 0
	s_cselect_b32 s23, -1, 0
	s_and_b32 vcc_lo, exec_lo, s9
	s_cbranch_vccnz .LBB193_2
; %bb.1:
	s_mul_i32 s3, s3, s8
	s_mov_b32 s11, 0
	s_add_i32 s10, s3, s7
	s_lshl_b64 s[14:15], s[10:11], 2
	s_add_u32 s12, s12, s14
	s_addc_u32 s13, s13, s15
	s_load_dword s21, s[12:13], 0x0
	s_clause 0x1
	s_load_dwordx4 s[12:15], s[4:5], 0x68
	s_load_dword s22, s[4:5], 0x50
	s_cbranch_execz .LBB193_3
	s_branch .LBB193_4
.LBB193_2:
                                        ; implicit-def: $sgpr21
	s_clause 0x1
	s_load_dwordx4 s[12:15], s[4:5], 0x68
	s_load_dword s22, s[4:5], 0x50
.LBB193_3:
	s_load_dwordx2 s[10:11], s[4:5], 0x5c
	s_waitcnt lgkmcnt(0)
	s_mul_hi_u32 s3, s10, s7
	s_add_i32 s3, s7, s3
	s_lshr_b32 s21, s3, s11
.LBB193_4:
	s_load_dword s20, s[4:5], 0x78
	s_andn2_b32 vcc_lo, exec_lo, s23
	s_mov_b32 s23, s7
	s_cbranch_vccnz .LBB193_6
; %bb.5:
	s_mul_hi_u32 s3, s17, s7
	s_add_i32 s3, s7, s3
	s_lshr_b32 s3, s3, s18
	s_mul_i32 s3, s3, s19
	s_sub_i32 s23, s7, s3
.LBB193_6:
	v_mov_b32_e32 v5, 0
	s_and_b32 s3, exec_lo, s9
	s_mov_b32 s18, 0
	s_cselect_b32 s3, s8, 0
	s_mov_b32 s17, exec_lo
	v_cmpx_gt_i32_e64 s16, v0
	s_cbranch_execz .LBB193_10
; %bb.7:
	s_load_dwordx4 s[8:11], s[4:5], 0x0
	s_waitcnt lgkmcnt(0)
	s_mul_hi_u32 s15, s15, s3
	s_mul_i32 s24, s23, s13
	s_mul_hi_i32 s27, s3, s1
	s_mul_i32 s26, s3, s1
	s_add_i32 s1, s3, s15
	s_ashr_i32 s25, s24, 31
	s_mul_i32 s12, s21, s12
	s_mul_i32 s22, s22, s6
	s_lshr_b32 s15, s1, s20
	s_lshl_b64 s[20:21], s[24:25], 2
	v_lshlrev_b32_e32 v1, 3, v0
	s_ashr_i32 s13, s12, 31
	s_ashr_i32 s23, s22, 31
	s_lshl_b64 s[26:27], s[26:27], 2
	s_mul_hi_i32 s1, s15, s0
	s_mul_i32 s0, s15, s0
	v_lshlrev_b32_e32 v3, 2, v0
	v_mov_b32_e32 v5, 0
	v_mov_b32_e32 v6, v0
	s_add_u32 s10, s10, s20
	s_addc_u32 s11, s11, s21
	s_add_u32 s10, s10, s26
	s_addc_u32 s11, s11, s27
	v_add_co_u32 v1, s10, s10, v1
	v_add_co_ci_u32_e64 v2, null, s11, 0, s10
	s_lshl_b64 s[10:11], s[12:13], 1
	s_lshl_b64 s[0:1], s[0:1], 1
	;; [unrolled: 1-line block ×3, first 2 shown]
	s_add_u32 s8, s8, s10
	s_addc_u32 s9, s9, s11
	s_add_u32 s8, s8, s12
	s_addc_u32 s9, s9, s13
	s_add_u32 s0, s8, s0
	v_add_co_u32 v1, vcc_lo, v1, 4
	s_addc_u32 s1, s9, s1
	v_add_co_u32 v3, s0, s0, v3
	v_add_co_ci_u32_e64 v2, null, 0, v2, vcc_lo
	v_add_co_ci_u32_e64 v4, null, s1, 0, s0
	.p2align	6
.LBB193_8:                              ; =>This Inner Loop Header: Depth=1
	global_load_dword v9, v[3:4], off
	global_load_dwordx2 v[7:8], v[1:2], off offset:-4
	v_add_nc_u32_e32 v6, 32, v6
	v_add_co_u32 v1, vcc_lo, 0x100, v1
	v_add_co_ci_u32_e64 v2, null, 0, v2, vcc_lo
	v_add_co_u32 v3, vcc_lo, 0x80, v3
	v_cmp_le_i32_e64 s0, s16, v6
	v_add_co_ci_u32_e64 v4, null, 0, v4, vcc_lo
	s_or_b32 s18, s0, s18
	s_waitcnt vmcnt(0)
	v_fma_mix_f32 v5, v7, v9, v5 op_sel_hi:[0,1,0]
	v_fma_mix_f32 v5, v8, v9, v5 op_sel:[0,1,0] op_sel_hi:[0,1,0]
	s_andn2_b32 exec_lo, exec_lo, s18
	s_cbranch_execnz .LBB193_8
; %bb.9:
	s_or_b32 exec_lo, exec_lo, s18
.LBB193_10:
	s_or_b32 exec_lo, exec_lo, s17
	v_mbcnt_lo_u32_b32 v1, -1, 0
	s_mov_b32 s0, exec_lo
	v_xor_b32_e32 v2, 16, v1
	v_xor_b32_e32 v3, 8, v1
	;; [unrolled: 1-line block ×3, first 2 shown]
	v_cmp_gt_i32_e32 vcc_lo, 32, v2
	v_cndmask_b32_e32 v2, v1, v2, vcc_lo
	v_cmp_gt_i32_e32 vcc_lo, 32, v3
	v_lshlrev_b32_e32 v2, 2, v2
	v_cndmask_b32_e32 v3, v1, v3, vcc_lo
	v_cmp_gt_i32_e32 vcc_lo, 32, v4
	ds_bpermute_b32 v2, v2, v5
	v_lshlrev_b32_e32 v3, 2, v3
	v_cndmask_b32_e32 v4, v1, v4, vcc_lo
	v_lshlrev_b32_e32 v4, 2, v4
	s_waitcnt lgkmcnt(0)
	v_add_f32_e32 v2, v5, v2
	ds_bpermute_b32 v3, v3, v2
	s_waitcnt lgkmcnt(0)
	v_add_f32_e32 v2, v2, v3
	ds_bpermute_b32 v3, v4, v2
	v_xor_b32_e32 v4, 2, v1
	v_cmp_gt_i32_e32 vcc_lo, 32, v4
	v_cndmask_b32_e32 v4, v1, v4, vcc_lo
	v_lshlrev_b32_e32 v4, 2, v4
	s_waitcnt lgkmcnt(0)
	v_add_f32_e32 v2, v2, v3
	ds_bpermute_b32 v3, v4, v2
	v_xor_b32_e32 v4, 1, v1
	v_cmp_gt_i32_e32 vcc_lo, 32, v4
	v_cndmask_b32_e32 v1, v1, v4, vcc_lo
	v_lshlrev_b32_e32 v4, 2, v1
	s_waitcnt lgkmcnt(0)
	v_add_f32_e32 v1, v2, v3
	ds_bpermute_b32 v2, v4, v1
	v_cmpx_eq_u32_e32 0, v0
	s_cbranch_execz .LBB193_12
; %bb.11:
	s_load_dwordx2 s[0:1], s[4:5], 0x38
	s_mul_hi_i32 s5, s2, s3
	s_mul_i32 s4, s2, s3
	s_mul_i32 s2, s14, s7
	s_lshl_b64 s[4:5], s[4:5], 2
	s_ashr_i32 s3, s2, 31
	s_waitcnt lgkmcnt(0)
	v_add_f32_e32 v0, v1, v2
	v_mov_b32_e32 v1, 0
	s_add_u32 s4, s0, s4
	s_addc_u32 s5, s1, s5
	s_lshl_b64 s[0:1], s[2:3], 2
	s_add_u32 s2, s4, s0
	s_addc_u32 s3, s5, s1
	s_ashr_i32 s7, s6, 31
	s_lshl_b64 s[0:1], s[6:7], 2
	s_add_u32 s0, s2, s0
	s_addc_u32 s1, s3, s1
	global_store_dword v1, v0, s[0:1]
.LBB193_12:
	s_endpgm
	.section	.rodata,"a",@progbits
	.p2align	6, 0x0
	.amdhsa_kernel _ZL13mul_mat_vec_fI6__halffLi1ELi32ELb0ELb0EEvPKT_PKfPKi31ggml_cuda_mm_fusion_args_devicePfi15HIP_vector_typeIjLj3EEiiiSB_iiiSB_iiii
		.amdhsa_group_segment_fixed_size 0
		.amdhsa_private_segment_fixed_size 0
		.amdhsa_kernarg_size 144
		.amdhsa_user_sgpr_count 6
		.amdhsa_user_sgpr_private_segment_buffer 1
		.amdhsa_user_sgpr_dispatch_ptr 0
		.amdhsa_user_sgpr_queue_ptr 0
		.amdhsa_user_sgpr_kernarg_segment_ptr 1
		.amdhsa_user_sgpr_dispatch_id 0
		.amdhsa_user_sgpr_flat_scratch_init 0
		.amdhsa_user_sgpr_private_segment_size 0
		.amdhsa_wavefront_size32 1
		.amdhsa_uses_dynamic_stack 0
		.amdhsa_system_sgpr_private_segment_wavefront_offset 0
		.amdhsa_system_sgpr_workgroup_id_x 1
		.amdhsa_system_sgpr_workgroup_id_y 1
		.amdhsa_system_sgpr_workgroup_id_z 1
		.amdhsa_system_sgpr_workgroup_info 0
		.amdhsa_system_vgpr_workitem_id 0
		.amdhsa_next_free_vgpr 10
		.amdhsa_next_free_sgpr 28
		.amdhsa_reserve_vcc 1
		.amdhsa_reserve_flat_scratch 0
		.amdhsa_float_round_mode_32 0
		.amdhsa_float_round_mode_16_64 0
		.amdhsa_float_denorm_mode_32 3
		.amdhsa_float_denorm_mode_16_64 3
		.amdhsa_dx10_clamp 1
		.amdhsa_ieee_mode 1
		.amdhsa_fp16_overflow 0
		.amdhsa_workgroup_processor_mode 1
		.amdhsa_memory_ordered 1
		.amdhsa_forward_progress 1
		.amdhsa_shared_vgpr_count 0
		.amdhsa_exception_fp_ieee_invalid_op 0
		.amdhsa_exception_fp_denorm_src 0
		.amdhsa_exception_fp_ieee_div_zero 0
		.amdhsa_exception_fp_ieee_overflow 0
		.amdhsa_exception_fp_ieee_underflow 0
		.amdhsa_exception_fp_ieee_inexact 0
		.amdhsa_exception_int_div_zero 0
	.end_amdhsa_kernel
	.section	.text._ZL13mul_mat_vec_fI6__halffLi1ELi32ELb0ELb0EEvPKT_PKfPKi31ggml_cuda_mm_fusion_args_devicePfi15HIP_vector_typeIjLj3EEiiiSB_iiiSB_iiii,"axG",@progbits,_ZL13mul_mat_vec_fI6__halffLi1ELi32ELb0ELb0EEvPKT_PKfPKi31ggml_cuda_mm_fusion_args_devicePfi15HIP_vector_typeIjLj3EEiiiSB_iiiSB_iiii,comdat
.Lfunc_end193:
	.size	_ZL13mul_mat_vec_fI6__halffLi1ELi32ELb0ELb0EEvPKT_PKfPKi31ggml_cuda_mm_fusion_args_devicePfi15HIP_vector_typeIjLj3EEiiiSB_iiiSB_iiii, .Lfunc_end193-_ZL13mul_mat_vec_fI6__halffLi1ELi32ELb0ELb0EEvPKT_PKfPKi31ggml_cuda_mm_fusion_args_devicePfi15HIP_vector_typeIjLj3EEiiiSB_iiiSB_iiii
                                        ; -- End function
	.set _ZL13mul_mat_vec_fI6__halffLi1ELi32ELb0ELb0EEvPKT_PKfPKi31ggml_cuda_mm_fusion_args_devicePfi15HIP_vector_typeIjLj3EEiiiSB_iiiSB_iiii.num_vgpr, 10
	.set _ZL13mul_mat_vec_fI6__halffLi1ELi32ELb0ELb0EEvPKT_PKfPKi31ggml_cuda_mm_fusion_args_devicePfi15HIP_vector_typeIjLj3EEiiiSB_iiiSB_iiii.num_agpr, 0
	.set _ZL13mul_mat_vec_fI6__halffLi1ELi32ELb0ELb0EEvPKT_PKfPKi31ggml_cuda_mm_fusion_args_devicePfi15HIP_vector_typeIjLj3EEiiiSB_iiiSB_iiii.numbered_sgpr, 28
	.set _ZL13mul_mat_vec_fI6__halffLi1ELi32ELb0ELb0EEvPKT_PKfPKi31ggml_cuda_mm_fusion_args_devicePfi15HIP_vector_typeIjLj3EEiiiSB_iiiSB_iiii.num_named_barrier, 0
	.set _ZL13mul_mat_vec_fI6__halffLi1ELi32ELb0ELb0EEvPKT_PKfPKi31ggml_cuda_mm_fusion_args_devicePfi15HIP_vector_typeIjLj3EEiiiSB_iiiSB_iiii.private_seg_size, 0
	.set _ZL13mul_mat_vec_fI6__halffLi1ELi32ELb0ELb0EEvPKT_PKfPKi31ggml_cuda_mm_fusion_args_devicePfi15HIP_vector_typeIjLj3EEiiiSB_iiiSB_iiii.uses_vcc, 1
	.set _ZL13mul_mat_vec_fI6__halffLi1ELi32ELb0ELb0EEvPKT_PKfPKi31ggml_cuda_mm_fusion_args_devicePfi15HIP_vector_typeIjLj3EEiiiSB_iiiSB_iiii.uses_flat_scratch, 0
	.set _ZL13mul_mat_vec_fI6__halffLi1ELi32ELb0ELb0EEvPKT_PKfPKi31ggml_cuda_mm_fusion_args_devicePfi15HIP_vector_typeIjLj3EEiiiSB_iiiSB_iiii.has_dyn_sized_stack, 0
	.set _ZL13mul_mat_vec_fI6__halffLi1ELi32ELb0ELb0EEvPKT_PKfPKi31ggml_cuda_mm_fusion_args_devicePfi15HIP_vector_typeIjLj3EEiiiSB_iiiSB_iiii.has_recursion, 0
	.set _ZL13mul_mat_vec_fI6__halffLi1ELi32ELb0ELb0EEvPKT_PKfPKi31ggml_cuda_mm_fusion_args_devicePfi15HIP_vector_typeIjLj3EEiiiSB_iiiSB_iiii.has_indirect_call, 0
	.section	.AMDGPU.csdata,"",@progbits
; Kernel info:
; codeLenInByte = 816
; TotalNumSgprs: 30
; NumVgprs: 10
; ScratchSize: 0
; MemoryBound: 0
; FloatMode: 240
; IeeeMode: 1
; LDSByteSize: 0 bytes/workgroup (compile time only)
; SGPRBlocks: 0
; VGPRBlocks: 1
; NumSGPRsForWavesPerEU: 30
; NumVGPRsForWavesPerEU: 10
; Occupancy: 16
; WaveLimiterHint : 0
; COMPUTE_PGM_RSRC2:SCRATCH_EN: 0
; COMPUTE_PGM_RSRC2:USER_SGPR: 6
; COMPUTE_PGM_RSRC2:TRAP_HANDLER: 0
; COMPUTE_PGM_RSRC2:TGID_X_EN: 1
; COMPUTE_PGM_RSRC2:TGID_Y_EN: 1
; COMPUTE_PGM_RSRC2:TGID_Z_EN: 1
; COMPUTE_PGM_RSRC2:TIDIG_COMP_CNT: 0
	.section	.text._ZL13mul_mat_vec_fI6__halffLi1ELi64ELb1ELb0EEvPKT_PKfPKi31ggml_cuda_mm_fusion_args_devicePfi15HIP_vector_typeIjLj3EEiiiSB_iiiSB_iiii,"axG",@progbits,_ZL13mul_mat_vec_fI6__halffLi1ELi64ELb1ELb0EEvPKT_PKfPKi31ggml_cuda_mm_fusion_args_devicePfi15HIP_vector_typeIjLj3EEiiiSB_iiiSB_iiii,comdat
	.globl	_ZL13mul_mat_vec_fI6__halffLi1ELi64ELb1ELb0EEvPKT_PKfPKi31ggml_cuda_mm_fusion_args_devicePfi15HIP_vector_typeIjLj3EEiiiSB_iiiSB_iiii ; -- Begin function _ZL13mul_mat_vec_fI6__halffLi1ELi64ELb1ELb0EEvPKT_PKfPKi31ggml_cuda_mm_fusion_args_devicePfi15HIP_vector_typeIjLj3EEiiiSB_iiiSB_iiii
	.p2align	8
	.type	_ZL13mul_mat_vec_fI6__halffLi1ELi64ELb1ELb0EEvPKT_PKfPKi31ggml_cuda_mm_fusion_args_devicePfi15HIP_vector_typeIjLj3EEiiiSB_iiiSB_iiii,@function
_ZL13mul_mat_vec_fI6__halffLi1ELi64ELb1ELb0EEvPKT_PKfPKi31ggml_cuda_mm_fusion_args_devicePfi15HIP_vector_typeIjLj3EEiiiSB_iiiSB_iiii: ; @_ZL13mul_mat_vec_fI6__halffLi1ELi64ELb1ELb0EEvPKT_PKfPKi31ggml_cuda_mm_fusion_args_devicePfi15HIP_vector_typeIjLj3EEiiiSB_iiiSB_iiii
; %bb.0:
	s_clause 0x3
	s_load_dwordx8 s[12:19], s[4:5], 0x0
	s_load_dwordx4 s[24:27], s[4:5], 0x20
	s_load_dwordx4 s[36:39], s[4:5], 0x40
	;; [unrolled: 1-line block ×3, first 2 shown]
	s_mov_b32 s0, s7
	s_waitcnt lgkmcnt(0)
	s_cmp_eq_u64 s[16:17], 0
	s_cselect_b32 s11, -1, 0
	s_cmp_lg_u64 s[16:17], 0
	s_cselect_b32 s1, -1, 0
	s_and_b32 vcc_lo, exec_lo, s11
	s_cbranch_vccnz .LBB194_2
; %bb.1:
	s_mul_i32 s2, s31, s8
	s_mov_b32 s3, 0
	s_add_i32 s2, s2, s0
	s_lshl_b64 s[20:21], s[2:3], 2
	s_add_u32 s16, s16, s20
	s_addc_u32 s17, s17, s21
	s_load_dword s7, s[16:17], 0x0
	s_load_dword s16, s[4:5], 0x50
	s_waitcnt lgkmcnt(0)
	s_mov_b32 s3, s7
	s_cbranch_execz .LBB194_3
	s_branch .LBB194_4
.LBB194_2:
                                        ; implicit-def: $sgpr7
	s_load_dword s16, s[4:5], 0x50
	s_mov_b32 s3, s7
.LBB194_3:
	s_load_dwordx2 s[2:3], s[4:5], 0x5c
	s_mov_b32 s7, s0
	s_waitcnt lgkmcnt(0)
	s_mul_hi_u32 s2, s2, s0
	s_add_i32 s2, s0, s2
	s_lshr_b32 s3, s2, s3
.LBB194_4:
	s_load_dwordx4 s[20:23], s[4:5], 0x68
	s_andn2_b32 vcc_lo, exec_lo, s1
	s_mov_b32 s17, s0
	s_cbranch_vccnz .LBB194_6
; %bb.5:
	s_mul_hi_u32 s1, s37, s0
	s_add_i32 s1, s0, s1
	s_lshr_b32 s1, s1, s38
	s_mul_i32 s1, s1, s39
	s_sub_i32 s17, s0, s1
.LBB194_6:
	s_load_dword s31, s[4:5], 0x78
	s_cmp_lg_u64 s[24:25], 0
	v_cmp_gt_u32_e64 s2, 32, v0
	v_lshl_add_u32 v8, v0, 2, 0
	s_cselect_b32 s1, -1, 0
	s_cmp_eq_u64 s[24:25], 0
	s_cselect_b32 s9, -1, 0
	s_and_saveexec_b32 s10, s2
	s_cbranch_execz .LBB194_9
; %bb.7:
	v_mov_b32_e32 v1, 0
	s_andn2_b32 vcc_lo, exec_lo, s1
	ds_write_b32 v8, v1
	s_cbranch_vccnz .LBB194_9
; %bb.8:
	ds_write_b32 v8, v1 offset:128
.LBB194_9:
	s_or_b32 exec_lo, exec_lo, s10
	v_mov_b32_e32 v7, 0
	v_mov_b32_e32 v9, 0
	s_and_b32 s11, exec_lo, s11
	s_mov_b32 s10, 0
	s_cselect_b32 s11, s8, 0
	s_mov_b32 s8, exec_lo
	s_waitcnt lgkmcnt(0)
	s_barrier
	buffer_gl0_inv
	v_cmpx_gt_i32_e64 s36, v0
	s_cbranch_execz .LBB194_16
; %bb.10:
	s_mul_hi_u32 s23, s23, s11
	s_mul_i32 s3, s3, s20
	s_add_i32 s23, s11, s23
	s_mul_i32 s16, s16, s6
	s_lshr_b32 s20, s23, s31
	s_ashr_i32 s31, s16, 31
	s_mul_hi_i32 s23, s20, s28
	s_mul_i32 s20, s20, s28
	s_ashr_i32 s28, s3, 31
	s_add_u32 s16, s20, s16
	s_addc_u32 s23, s23, s31
	s_mul_i32 s20, s17, s21
	s_add_u32 s16, s16, s3
	s_addc_u32 s17, s23, s28
	s_ashr_i32 s21, s20, 31
	s_and_b32 s3, s1, exec_lo
	s_cselect_b32 s3, s25, 0
	s_cselect_b32 s23, s24, 0
	;; [unrolled: 1-line block ×4, first 2 shown]
	v_lshlrev_b32_e32 v5, 2, v0
	s_lshl_b64 s[24:25], s[24:25], 1
	v_lshlrev_b32_e32 v3, 3, v0
	s_add_u32 s23, s23, s24
	s_addc_u32 s3, s3, s25
	s_mul_hi_i32 s25, s11, s29
	s_mul_i32 s24, s11, s29
	v_add_co_u32 v1, s23, s23, v5
	s_lshl_b64 s[20:21], s[20:21], 2
	s_lshl_b64 s[24:25], s[24:25], 2
	v_add_co_ci_u32_e64 v2, null, s3, 0, s23
	s_add_u32 s3, s14, s20
	s_addc_u32 s14, s15, s21
	s_add_u32 s3, s3, s24
	s_addc_u32 s14, s14, s25
	v_add_co_u32 v3, s3, s3, v3
	v_add_co_ci_u32_e64 v4, null, s14, 0, s3
	s_lshl_b64 s[14:15], s[16:17], 1
	v_add_co_u32 v3, vcc_lo, v3, 4
	s_add_u32 s3, s12, s14
	s_addc_u32 s12, s13, s15
	v_add_co_u32 v5, s3, s3, v5
	v_mov_b32_e32 v7, 0
	v_add_co_ci_u32_e64 v4, null, 0, v4, vcc_lo
	v_add_co_ci_u32_e64 v6, null, s12, 0, s3
	v_mov_b32_e32 v10, v0
	v_mov_b32_e32 v9, 0
	s_inst_prefetch 0x1
	s_branch .LBB194_13
	.p2align	6
.LBB194_11:                             ;   in Loop: Header=BB194_13 Depth=1
	global_load_dword v12, v[1:2], off
	s_waitcnt vmcnt(0)
	v_cvt_f32_f16_e32 v13, v12
	v_cvt_f32_f16_sdwa v12, v12 dst_sel:DWORD dst_unused:UNUSED_PAD src0_sel:WORD_1
.LBB194_12:                             ;   in Loop: Header=BB194_13 Depth=1
	global_load_dwordx2 v[14:15], v[3:4], off offset:-4
	v_add_nc_u32_e32 v10, 64, v10
	v_add_co_u32 v1, vcc_lo, 0x100, v1
	v_add_co_ci_u32_e64 v2, null, 0, v2, vcc_lo
	v_add_co_u32 v3, vcc_lo, 0x200, v3
	v_add_co_ci_u32_e64 v4, null, 0, v4, vcc_lo
	v_cmp_le_i32_e32 vcc_lo, s36, v10
	v_add_co_u32 v5, s3, 0x100, v5
	v_add_co_ci_u32_e64 v6, null, 0, v6, s3
	s_or_b32 s10, vcc_lo, s10
	s_waitcnt vmcnt(0)
	v_fma_f32 v13, v14, v13, v7
	v_fma_mix_f32 v9, v14, v11, v9 op_sel_hi:[0,1,0]
	v_fmac_f32_e32 v13, v15, v12
	v_fma_mix_f32 v9, v15, v11, v9 op_sel:[0,1,0] op_sel_hi:[0,1,0]
	v_cndmask_b32_e64 v7, v7, v13, s1
	s_andn2_b32 exec_lo, exec_lo, s10
	s_cbranch_execz .LBB194_15
.LBB194_13:                             ; =>This Inner Loop Header: Depth=1
	global_load_dword v11, v[5:6], off
	s_andn2_b32 vcc_lo, exec_lo, s1
	s_cbranch_vccz .LBB194_11
; %bb.14:                               ;   in Loop: Header=BB194_13 Depth=1
	v_mov_b32_e32 v12, 0
	v_mov_b32_e32 v13, 0
	s_branch .LBB194_12
.LBB194_15:
	s_inst_prefetch 0x2
	s_or_b32 exec_lo, exec_lo, s10
.LBB194_16:
	s_or_b32 exec_lo, exec_lo, s8
	v_mbcnt_lo_u32_b32 v1, -1, 0
	s_load_dword s10, s[4:5], 0x30
	s_mov_b32 s3, -1
	v_xor_b32_e32 v2, 16, v1
	v_xor_b32_e32 v3, 8, v1
	v_cmp_gt_i32_e32 vcc_lo, 32, v2
	v_cndmask_b32_e32 v2, v1, v2, vcc_lo
	v_cmp_gt_i32_e32 vcc_lo, 32, v3
	v_lshlrev_b32_e32 v2, 2, v2
	v_cndmask_b32_e32 v3, v1, v3, vcc_lo
	ds_bpermute_b32 v4, v2, v9
	v_lshlrev_b32_e32 v3, 2, v3
	s_waitcnt lgkmcnt(0)
	v_add_f32_e32 v5, v9, v4
	v_xor_b32_e32 v4, 4, v1
	ds_bpermute_b32 v6, v3, v5
	v_cmp_gt_i32_e32 vcc_lo, 32, v4
	v_cndmask_b32_e32 v4, v1, v4, vcc_lo
	v_lshlrev_b32_e32 v4, 2, v4
	s_waitcnt lgkmcnt(0)
	v_add_f32_e32 v6, v5, v6
	v_xor_b32_e32 v5, 2, v1
	ds_bpermute_b32 v9, v4, v6
	v_cmp_gt_i32_e32 vcc_lo, 32, v5
	v_cndmask_b32_e32 v5, v1, v5, vcc_lo
	;; [unrolled: 7-line block ×3, first 2 shown]
	s_and_b32 vcc_lo, exec_lo, s9
	v_lshlrev_b32_e32 v6, 2, v1
	s_waitcnt lgkmcnt(0)
	v_add_f32_e32 v1, v9, v10
	v_lshrrev_b32_e32 v10, 5, v0
	ds_bpermute_b32 v9, v6, v1
	s_waitcnt lgkmcnt(0)
	v_add_f32_e32 v1, v1, v9
	v_lshl_add_u32 v9, v10, 2, 0
	s_cbranch_vccz .LBB194_18
; %bb.17:
	s_mov_b32 s3, 0
	ds_write_b32 v9, v1
.LBB194_18:
	s_andn2_b32 vcc_lo, exec_lo, s3
	s_cbranch_vccnz .LBB194_20
; %bb.19:
	ds_bpermute_b32 v10, v2, v7
	s_waitcnt lgkmcnt(0)
	v_add_f32_e32 v7, v7, v10
	ds_bpermute_b32 v10, v3, v7
	s_waitcnt lgkmcnt(0)
	v_add_f32_e32 v7, v7, v10
	;; [unrolled: 3-line block ×5, first 2 shown]
	ds_write2_b32 v9, v1, v7 offset1:32
.LBB194_20:
	s_waitcnt lgkmcnt(0)
	s_barrier
	buffer_gl0_inv
	s_and_saveexec_b32 s3, s2
	s_cbranch_execz .LBB194_24
; %bb.21:
	ds_read_b32 v1, v8
	s_andn2_b32 vcc_lo, exec_lo, s1
	s_waitcnt lgkmcnt(0)
	ds_bpermute_b32 v9, v2, v1
	s_waitcnt lgkmcnt(0)
	v_add_f32_e32 v1, v1, v9
	ds_bpermute_b32 v9, v3, v1
	s_waitcnt lgkmcnt(0)
	v_add_f32_e32 v1, v1, v9
	;; [unrolled: 3-line block ×4, first 2 shown]
	ds_bpermute_b32 v9, v6, v1
	s_cbranch_vccnz .LBB194_23
; %bb.22:
	ds_read_b32 v7, v8 offset:128
	s_waitcnt lgkmcnt(0)
	ds_bpermute_b32 v2, v2, v7
	s_waitcnt lgkmcnt(0)
	v_add_f32_e32 v2, v7, v2
	ds_bpermute_b32 v3, v3, v2
	s_waitcnt lgkmcnt(0)
	v_add_f32_e32 v2, v2, v3
	;; [unrolled: 3-line block ×5, first 2 shown]
.LBB194_23:
	s_waitcnt lgkmcnt(0)
	v_add_f32_e32 v1, v1, v9
.LBB194_24:
	s_or_b32 exec_lo, exec_lo, s3
	s_barrier
	buffer_gl0_inv
	s_mov_b32 s2, exec_lo
	v_cmpx_eq_u32_e32 0, v0
	s_cbranch_execz .LBB194_48
; %bb.25:
	s_cmp_eq_u64 s[18:19], 0
	s_mul_i32 s8, s7, s22
	s_cselect_b32 s2, -1, 0
	s_ashr_i32 s9, s8, 31
	s_mul_hi_i32 s3, s30, s11
	s_and_b32 vcc_lo, exec_lo, s2
	s_mul_i32 s2, s30, s11
	s_cbranch_vccnz .LBB194_27
; %bb.26:
	s_cselect_b32 s7, 0, s19
	s_cselect_b32 s11, 0, s18
	s_lshl_b64 s[12:13], s[2:3], 2
	s_add_u32 s11, s11, s12
	s_addc_u32 s7, s7, s13
	s_lshl_b64 s[12:13], s[8:9], 2
	s_add_u32 s11, s11, s12
	s_addc_u32 s14, s7, s13
	s_ashr_i32 s7, s6, 31
	s_lshl_b64 s[12:13], s[6:7], 2
	s_add_u32 s12, s11, s12
	s_addc_u32 s13, s14, s13
	s_load_dword s7, s[12:13], 0x0
	s_waitcnt lgkmcnt(0)
	v_add_f32_e32 v1, s7, v1
.LBB194_27:
	s_andn2_b32 vcc_lo, exec_lo, s1
	s_cbranch_vccnz .LBB194_47
; %bb.28:
	s_cmp_lg_u64 s[26:27], 0
	s_cselect_b32 s7, -1, 0
	s_and_b32 s1, s7, s1
	s_andn2_b32 vcc_lo, exec_lo, s1
	s_cbranch_vccnz .LBB194_30
; %bb.29:
	s_and_b32 s1, s7, exec_lo
	s_cselect_b32 s1, s27, 0
	s_cselect_b32 s7, s26, 0
	s_lshl_b64 s[12:13], s[2:3], 2
	s_add_u32 s7, s7, s12
	s_addc_u32 s1, s1, s13
	s_lshl_b64 s[8:9], s[8:9], 2
	s_add_u32 s11, s7, s8
	s_addc_u32 s1, s1, s9
	s_ashr_i32 s7, s6, 31
	s_lshl_b64 s[8:9], s[6:7], 2
	s_add_u32 s8, s11, s8
	s_addc_u32 s9, s1, s9
	s_load_dword s1, s[8:9], 0x0
	s_waitcnt lgkmcnt(0)
	v_add_f32_e32 v7, s1, v7
.LBB194_30:
	s_cmp_lt_i32 s10, 2
	s_cbranch_scc1 .LBB194_35
; %bb.31:
	s_cmp_lt_i32 s10, 3
	s_cbranch_scc1 .LBB194_36
; %bb.32:
	v_mov_b32_e32 v0, v1
	s_cmp_eq_u32 s10, 3
	s_cbranch_scc0 .LBB194_34
; %bb.33:
	v_max_f32_e32 v0, v7, v7
	v_min_f32_e32 v0, 0x40e00000, v0
	v_mul_f32_e32 v2, 0xbfd9db23, v0
	v_mul_f32_e32 v3, 0x3fb8aa3b, v2
	v_cmp_ngt_f32_e32 vcc_lo, 0xc2ce8ed0, v2
	v_fma_f32 v4, 0x3fb8aa3b, v2, -v3
	v_rndne_f32_e32 v5, v3
	v_fmamk_f32 v4, v2, 0x32a5705f, v4
	v_sub_f32_e32 v3, v3, v5
	v_add_f32_e32 v3, v3, v4
	v_cvt_i32_f32_e32 v4, v5
	v_exp_f32_e32 v3, v3
	v_ldexp_f32 v3, v3, v4
	v_cndmask_b32_e32 v3, 0, v3, vcc_lo
	v_cmp_nlt_f32_e32 vcc_lo, 0x42b17218, v2
	v_cndmask_b32_e32 v2, 0x7f800000, v3, vcc_lo
	v_add_f32_e32 v2, 1.0, v2
	v_div_scale_f32 v3, null, v2, v2, v0
	v_div_scale_f32 v6, vcc_lo, v0, v2, v0
	v_rcp_f32_e32 v4, v3
	v_fma_f32 v5, -v3, v4, 1.0
	v_fmac_f32_e32 v4, v5, v4
	v_mul_f32_e32 v5, v6, v4
	v_fma_f32 v8, -v3, v5, v6
	v_fmac_f32_e32 v5, v8, v4
	v_max_f32_e32 v8, v1, v1
	v_fma_f32 v3, -v3, v5, v6
	v_min_f32_e32 v6, 0x40e00000, v8
	v_div_fmas_f32 v3, v3, v4, v5
	v_max_f32_e32 v4, 0xc0e00000, v6
	v_div_fixup_f32 v0, v3, v2, v0
	v_add_f32_e32 v2, 1.0, v4
	v_mul_f32_e32 v0, v2, v0
.LBB194_34:
	s_cbranch_execz .LBB194_37
	s_branch .LBB194_38
.LBB194_35:
                                        ; implicit-def: $vgpr0
	s_branch .LBB194_39
.LBB194_36:
                                        ; implicit-def: $vgpr0
.LBB194_37:
	v_mul_f32_e32 v0, 0xbfb8aa3b, v7
	v_cmp_nlt_f32_e32 vcc_lo, 0x42ce8ed0, v7
	v_rndne_f32_e32 v2, v0
	v_fma_f32 v3, 0xbfb8aa3b, v7, -v0
	v_sub_f32_e32 v0, v0, v2
	v_fmamk_f32 v3, v7, 0xb2a5705f, v3
	v_cvt_i32_f32_e32 v2, v2
	v_add_f32_e32 v0, v0, v3
	v_exp_f32_e32 v0, v0
	v_ldexp_f32 v0, v0, v2
	v_cndmask_b32_e32 v0, 0, v0, vcc_lo
	v_cmp_ngt_f32_e32 vcc_lo, 0xc2b17218, v7
	v_cndmask_b32_e32 v0, 0x7f800000, v0, vcc_lo
	v_add_f32_e32 v0, 1.0, v0
	v_div_scale_f32 v2, null, v0, v0, v7
	v_rcp_f32_e32 v3, v2
	v_fma_f32 v4, -v2, v3, 1.0
	v_fmac_f32_e32 v3, v4, v3
	v_div_scale_f32 v4, vcc_lo, v7, v0, v7
	v_mul_f32_e32 v5, v4, v3
	v_fma_f32 v6, -v2, v5, v4
	v_fmac_f32_e32 v5, v6, v3
	v_fma_f32 v2, -v2, v5, v4
	v_div_fmas_f32 v2, v2, v3, v5
	v_div_fixup_f32 v0, v2, v0, v7
	v_mul_f32_e32 v0, v1, v0
.LBB194_38:
	s_cbranch_execnz .LBB194_46
.LBB194_39:
	s_cmp_eq_u32 s10, 1
	s_cbranch_scc0 .LBB194_45
; %bb.40:
	v_mul_f32_e32 v0, 0x3d372713, v7
	v_mul_f32_e32 v2, 0x3f4c422a, v7
	v_fma_f32 v0, v7, v0, 1.0
	v_mul_f32_e32 v0, v2, v0
                                        ; implicit-def: $vgpr2
	v_cmp_ngt_f32_e64 s1, 0x3f200000, |v0|
	s_and_saveexec_b32 s7, s1
	s_xor_b32 s1, exec_lo, s7
	s_cbranch_execz .LBB194_42
; %bb.41:
	v_add_f32_e64 v2, |v0|, |v0|
	v_mul_f32_e32 v3, 0x3fb8aa3b, v2
	v_cmp_ngt_f32_e32 vcc_lo, 0xc2ce8ed0, v2
	v_rndne_f32_e32 v4, v3
	v_fma_f32 v5, 0x3fb8aa3b, v2, -v3
	v_sub_f32_e32 v3, v3, v4
	v_fmamk_f32 v5, v2, 0x32a5705f, v5
	v_cvt_i32_f32_e32 v4, v4
	v_add_f32_e32 v3, v3, v5
	v_exp_f32_e32 v3, v3
	v_ldexp_f32 v3, v3, v4
	v_cndmask_b32_e32 v3, 0, v3, vcc_lo
	v_cmp_nlt_f32_e32 vcc_lo, 0x42b17218, v2
	v_cndmask_b32_e32 v2, 0x7f800000, v3, vcc_lo
	v_add_f32_e32 v2, 1.0, v2
	v_rcp_f32_e32 v2, v2
	v_fma_f32 v2, v2, -2.0, 1.0
.LBB194_42:
	s_andn2_saveexec_b32 s1, s1
	s_cbranch_execz .LBB194_44
; %bb.43:
	v_mul_f32_e32 v2, v0, v0
	s_mov_b32 s7, 0xbbbac73d
	v_fmaak_f32 v3, s7, v2, 0x3ca908c9
	v_fmaak_f32 v3, v2, v3, 0xbd5c1c4e
	;; [unrolled: 1-line block ×4, first 2 shown]
	v_mul_f32_e64 v3, |v0|, v3
	v_fma_f32 v2, v2, v3, |v0|
.LBB194_44:
	s_or_b32 exec_lo, exec_lo, s1
	v_bfi_b32 v0, 0x7fffffff, v2, v0
	v_mul_f32_e32 v2, 0.5, v7
	v_add_f32_e32 v0, 1.0, v0
	v_mul_f32_e32 v0, v2, v0
	v_mul_f32_e32 v1, v1, v0
.LBB194_45:
	v_mov_b32_e32 v0, v1
.LBB194_46:
	v_mov_b32_e32 v1, v0
.LBB194_47:
	s_load_dwordx2 s[4:5], s[4:5], 0x38
	s_mul_i32 s0, s22, s0
	s_lshl_b64 s[2:3], s[2:3], 2
	s_ashr_i32 s1, s0, 31
	v_mov_b32_e32 v0, 0
	s_waitcnt lgkmcnt(0)
	s_add_u32 s2, s4, s2
	s_addc_u32 s3, s5, s3
	s_lshl_b64 s[0:1], s[0:1], 2
	s_add_u32 s2, s2, s0
	s_addc_u32 s3, s3, s1
	s_ashr_i32 s7, s6, 31
	s_lshl_b64 s[0:1], s[6:7], 2
	s_add_u32 s0, s2, s0
	s_addc_u32 s1, s3, s1
	global_store_dword v0, v1, s[0:1]
.LBB194_48:
	s_endpgm
	.section	.rodata,"a",@progbits
	.p2align	6, 0x0
	.amdhsa_kernel _ZL13mul_mat_vec_fI6__halffLi1ELi64ELb1ELb0EEvPKT_PKfPKi31ggml_cuda_mm_fusion_args_devicePfi15HIP_vector_typeIjLj3EEiiiSB_iiiSB_iiii
		.amdhsa_group_segment_fixed_size 0
		.amdhsa_private_segment_fixed_size 0
		.amdhsa_kernarg_size 144
		.amdhsa_user_sgpr_count 6
		.amdhsa_user_sgpr_private_segment_buffer 1
		.amdhsa_user_sgpr_dispatch_ptr 0
		.amdhsa_user_sgpr_queue_ptr 0
		.amdhsa_user_sgpr_kernarg_segment_ptr 1
		.amdhsa_user_sgpr_dispatch_id 0
		.amdhsa_user_sgpr_flat_scratch_init 0
		.amdhsa_user_sgpr_private_segment_size 0
		.amdhsa_wavefront_size32 1
		.amdhsa_uses_dynamic_stack 0
		.amdhsa_system_sgpr_private_segment_wavefront_offset 0
		.amdhsa_system_sgpr_workgroup_id_x 1
		.amdhsa_system_sgpr_workgroup_id_y 1
		.amdhsa_system_sgpr_workgroup_id_z 1
		.amdhsa_system_sgpr_workgroup_info 0
		.amdhsa_system_vgpr_workitem_id 0
		.amdhsa_next_free_vgpr 16
		.amdhsa_next_free_sgpr 40
		.amdhsa_reserve_vcc 1
		.amdhsa_reserve_flat_scratch 0
		.amdhsa_float_round_mode_32 0
		.amdhsa_float_round_mode_16_64 0
		.amdhsa_float_denorm_mode_32 3
		.amdhsa_float_denorm_mode_16_64 3
		.amdhsa_dx10_clamp 1
		.amdhsa_ieee_mode 1
		.amdhsa_fp16_overflow 0
		.amdhsa_workgroup_processor_mode 1
		.amdhsa_memory_ordered 1
		.amdhsa_forward_progress 1
		.amdhsa_shared_vgpr_count 0
		.amdhsa_exception_fp_ieee_invalid_op 0
		.amdhsa_exception_fp_denorm_src 0
		.amdhsa_exception_fp_ieee_div_zero 0
		.amdhsa_exception_fp_ieee_overflow 0
		.amdhsa_exception_fp_ieee_underflow 0
		.amdhsa_exception_fp_ieee_inexact 0
		.amdhsa_exception_int_div_zero 0
	.end_amdhsa_kernel
	.section	.text._ZL13mul_mat_vec_fI6__halffLi1ELi64ELb1ELb0EEvPKT_PKfPKi31ggml_cuda_mm_fusion_args_devicePfi15HIP_vector_typeIjLj3EEiiiSB_iiiSB_iiii,"axG",@progbits,_ZL13mul_mat_vec_fI6__halffLi1ELi64ELb1ELb0EEvPKT_PKfPKi31ggml_cuda_mm_fusion_args_devicePfi15HIP_vector_typeIjLj3EEiiiSB_iiiSB_iiii,comdat
.Lfunc_end194:
	.size	_ZL13mul_mat_vec_fI6__halffLi1ELi64ELb1ELb0EEvPKT_PKfPKi31ggml_cuda_mm_fusion_args_devicePfi15HIP_vector_typeIjLj3EEiiiSB_iiiSB_iiii, .Lfunc_end194-_ZL13mul_mat_vec_fI6__halffLi1ELi64ELb1ELb0EEvPKT_PKfPKi31ggml_cuda_mm_fusion_args_devicePfi15HIP_vector_typeIjLj3EEiiiSB_iiiSB_iiii
                                        ; -- End function
	.set _ZL13mul_mat_vec_fI6__halffLi1ELi64ELb1ELb0EEvPKT_PKfPKi31ggml_cuda_mm_fusion_args_devicePfi15HIP_vector_typeIjLj3EEiiiSB_iiiSB_iiii.num_vgpr, 16
	.set _ZL13mul_mat_vec_fI6__halffLi1ELi64ELb1ELb0EEvPKT_PKfPKi31ggml_cuda_mm_fusion_args_devicePfi15HIP_vector_typeIjLj3EEiiiSB_iiiSB_iiii.num_agpr, 0
	.set _ZL13mul_mat_vec_fI6__halffLi1ELi64ELb1ELb0EEvPKT_PKfPKi31ggml_cuda_mm_fusion_args_devicePfi15HIP_vector_typeIjLj3EEiiiSB_iiiSB_iiii.numbered_sgpr, 40
	.set _ZL13mul_mat_vec_fI6__halffLi1ELi64ELb1ELb0EEvPKT_PKfPKi31ggml_cuda_mm_fusion_args_devicePfi15HIP_vector_typeIjLj3EEiiiSB_iiiSB_iiii.num_named_barrier, 0
	.set _ZL13mul_mat_vec_fI6__halffLi1ELi64ELb1ELb0EEvPKT_PKfPKi31ggml_cuda_mm_fusion_args_devicePfi15HIP_vector_typeIjLj3EEiiiSB_iiiSB_iiii.private_seg_size, 0
	.set _ZL13mul_mat_vec_fI6__halffLi1ELi64ELb1ELb0EEvPKT_PKfPKi31ggml_cuda_mm_fusion_args_devicePfi15HIP_vector_typeIjLj3EEiiiSB_iiiSB_iiii.uses_vcc, 1
	.set _ZL13mul_mat_vec_fI6__halffLi1ELi64ELb1ELb0EEvPKT_PKfPKi31ggml_cuda_mm_fusion_args_devicePfi15HIP_vector_typeIjLj3EEiiiSB_iiiSB_iiii.uses_flat_scratch, 0
	.set _ZL13mul_mat_vec_fI6__halffLi1ELi64ELb1ELb0EEvPKT_PKfPKi31ggml_cuda_mm_fusion_args_devicePfi15HIP_vector_typeIjLj3EEiiiSB_iiiSB_iiii.has_dyn_sized_stack, 0
	.set _ZL13mul_mat_vec_fI6__halffLi1ELi64ELb1ELb0EEvPKT_PKfPKi31ggml_cuda_mm_fusion_args_devicePfi15HIP_vector_typeIjLj3EEiiiSB_iiiSB_iiii.has_recursion, 0
	.set _ZL13mul_mat_vec_fI6__halffLi1ELi64ELb1ELb0EEvPKT_PKfPKi31ggml_cuda_mm_fusion_args_devicePfi15HIP_vector_typeIjLj3EEiiiSB_iiiSB_iiii.has_indirect_call, 0
	.section	.AMDGPU.csdata,"",@progbits
; Kernel info:
; codeLenInByte = 2280
; TotalNumSgprs: 42
; NumVgprs: 16
; ScratchSize: 0
; MemoryBound: 0
; FloatMode: 240
; IeeeMode: 1
; LDSByteSize: 0 bytes/workgroup (compile time only)
; SGPRBlocks: 0
; VGPRBlocks: 1
; NumSGPRsForWavesPerEU: 42
; NumVGPRsForWavesPerEU: 16
; Occupancy: 16
; WaveLimiterHint : 1
; COMPUTE_PGM_RSRC2:SCRATCH_EN: 0
; COMPUTE_PGM_RSRC2:USER_SGPR: 6
; COMPUTE_PGM_RSRC2:TRAP_HANDLER: 0
; COMPUTE_PGM_RSRC2:TGID_X_EN: 1
; COMPUTE_PGM_RSRC2:TGID_Y_EN: 1
; COMPUTE_PGM_RSRC2:TGID_Z_EN: 1
; COMPUTE_PGM_RSRC2:TIDIG_COMP_CNT: 0
	.section	.text._ZL13mul_mat_vec_fI6__halffLi1ELi64ELb0ELb0EEvPKT_PKfPKi31ggml_cuda_mm_fusion_args_devicePfi15HIP_vector_typeIjLj3EEiiiSB_iiiSB_iiii,"axG",@progbits,_ZL13mul_mat_vec_fI6__halffLi1ELi64ELb0ELb0EEvPKT_PKfPKi31ggml_cuda_mm_fusion_args_devicePfi15HIP_vector_typeIjLj3EEiiiSB_iiiSB_iiii,comdat
	.globl	_ZL13mul_mat_vec_fI6__halffLi1ELi64ELb0ELb0EEvPKT_PKfPKi31ggml_cuda_mm_fusion_args_devicePfi15HIP_vector_typeIjLj3EEiiiSB_iiiSB_iiii ; -- Begin function _ZL13mul_mat_vec_fI6__halffLi1ELi64ELb0ELb0EEvPKT_PKfPKi31ggml_cuda_mm_fusion_args_devicePfi15HIP_vector_typeIjLj3EEiiiSB_iiiSB_iiii
	.p2align	8
	.type	_ZL13mul_mat_vec_fI6__halffLi1ELi64ELb0ELb0EEvPKT_PKfPKi31ggml_cuda_mm_fusion_args_devicePfi15HIP_vector_typeIjLj3EEiiiSB_iiiSB_iiii,@function
_ZL13mul_mat_vec_fI6__halffLi1ELi64ELb0ELb0EEvPKT_PKfPKi31ggml_cuda_mm_fusion_args_devicePfi15HIP_vector_typeIjLj3EEiiiSB_iiiSB_iiii: ; @_ZL13mul_mat_vec_fI6__halffLi1ELi64ELb0ELb0EEvPKT_PKfPKi31ggml_cuda_mm_fusion_args_devicePfi15HIP_vector_typeIjLj3EEiiiSB_iiiSB_iiii
; %bb.0:
	s_clause 0x2
	s_load_dwordx2 s[2:3], s[4:5], 0x10
	s_load_dwordx4 s[20:23], s[4:5], 0x40
	s_load_dwordx4 s[12:15], s[4:5], 0x80
	s_waitcnt lgkmcnt(0)
	s_cmp_eq_u64 s[2:3], 0
	s_cselect_b32 s9, -1, 0
	s_cmp_lg_u64 s[2:3], 0
	s_cselect_b32 s10, -1, 0
	s_and_b32 vcc_lo, exec_lo, s9
	s_cbranch_vccnz .LBB195_2
; %bb.1:
	s_mul_i32 s0, s15, s8
	s_mov_b32 s1, 0
	s_add_i32 s0, s0, s7
	s_lshl_b64 s[16:17], s[0:1], 2
	s_add_u32 s2, s2, s16
	s_addc_u32 s3, s3, s17
	s_load_dword s24, s[2:3], 0x0
	s_load_dword s25, s[4:5], 0x50
	s_cbranch_execz .LBB195_3
	s_branch .LBB195_4
.LBB195_2:
                                        ; implicit-def: $sgpr24
	s_load_dword s25, s[4:5], 0x50
.LBB195_3:
	s_load_dwordx2 s[0:1], s[4:5], 0x5c
	s_waitcnt lgkmcnt(0)
	s_mul_hi_u32 s0, s0, s7
	s_add_i32 s0, s7, s0
	s_lshr_b32 s24, s0, s1
.LBB195_4:
	s_load_dwordx4 s[16:19], s[4:5], 0x68
	s_andn2_b32 vcc_lo, exec_lo, s10
	s_mov_b32 s26, s7
	s_cbranch_vccnz .LBB195_6
; %bb.5:
	s_mul_hi_u32 s0, s21, s7
	s_add_i32 s0, s7, s0
	s_lshr_b32 s0, s0, s22
	s_mul_i32 s0, s0, s23
	s_sub_i32 s26, s7, s0
.LBB195_6:
	s_load_dword s1, s[4:5], 0x78
	v_cmp_gt_u32_e32 vcc_lo, 32, v0
	v_lshl_add_u32 v5, v0, 2, 0
	s_and_saveexec_b32 s0, vcc_lo
; %bb.7:
	v_mov_b32_e32 v1, 0
	ds_write_b32 v5, v1
; %bb.8:
	s_or_b32 exec_lo, exec_lo, s0
	v_mov_b32_e32 v6, 0
	s_and_b32 s0, exec_lo, s9
	s_mov_b32 s3, 0
	s_cselect_b32 s2, s8, 0
	s_mov_b32 s15, exec_lo
	s_waitcnt lgkmcnt(0)
	s_barrier
	buffer_gl0_inv
	v_cmpx_gt_i32_e64 s20, v0
	s_cbranch_execz .LBB195_12
; %bb.9:
	s_load_dwordx4 s[8:11], s[4:5], 0x0
	s_mul_hi_u32 s0, s19, s2
	s_mul_i32 s16, s24, s16
	s_mul_i32 s24, s26, s17
	;; [unrolled: 1-line block ×3, first 2 shown]
	s_add_i32 s0, s2, s0
	s_ashr_i32 s25, s24, 31
	s_mul_hi_i32 s27, s2, s13
	s_mul_i32 s26, s2, s13
	s_lshr_b32 s19, s0, s1
	s_lshl_b64 s[0:1], s[24:25], 2
	v_lshlrev_b32_e32 v1, 3, v0
	s_ashr_i32 s17, s16, 31
	s_ashr_i32 s23, s22, 31
	s_lshl_b64 s[26:27], s[26:27], 2
	s_mul_hi_i32 s13, s19, s12
	s_mul_i32 s12, s19, s12
	v_lshlrev_b32_e32 v3, 2, v0
	v_mov_b32_e32 v6, 0
	v_mov_b32_e32 v7, v0
	s_waitcnt lgkmcnt(0)
	s_add_u32 s0, s10, s0
	s_addc_u32 s1, s11, s1
	s_add_u32 s0, s0, s26
	s_addc_u32 s1, s1, s27
	v_add_co_u32 v1, s0, s0, v1
	v_add_co_ci_u32_e64 v2, null, s1, 0, s0
	s_lshl_b64 s[10:11], s[12:13], 1
	v_add_co_u32 v1, s0, v1, 4
	v_add_co_ci_u32_e64 v2, null, 0, v2, s0
	s_lshl_b64 s[0:1], s[16:17], 1
	s_lshl_b64 s[12:13], s[22:23], 1
	s_add_u32 s0, s8, s0
	s_addc_u32 s1, s9, s1
	s_add_u32 s0, s0, s12
	s_addc_u32 s1, s1, s13
	;; [unrolled: 2-line block ×3, first 2 shown]
	v_add_co_u32 v3, s0, s0, v3
	v_add_co_ci_u32_e64 v4, null, s1, 0, s0
	.p2align	6
.LBB195_10:                             ; =>This Inner Loop Header: Depth=1
	global_load_dword v10, v[3:4], off
	global_load_dwordx2 v[8:9], v[1:2], off offset:-4
	v_add_nc_u32_e32 v7, 64, v7
	v_add_co_u32 v1, s0, 0x200, v1
	v_add_co_ci_u32_e64 v2, null, 0, v2, s0
	v_add_co_u32 v3, s0, 0x100, v3
	v_cmp_le_i32_e64 s1, s20, v7
	v_add_co_ci_u32_e64 v4, null, 0, v4, s0
	s_or_b32 s3, s1, s3
	s_waitcnt vmcnt(0)
	v_fma_mix_f32 v6, v8, v10, v6 op_sel_hi:[0,1,0]
	v_fma_mix_f32 v6, v9, v10, v6 op_sel:[0,1,0] op_sel_hi:[0,1,0]
	s_andn2_b32 exec_lo, exec_lo, s3
	s_cbranch_execnz .LBB195_10
; %bb.11:
	s_or_b32 exec_lo, exec_lo, s3
.LBB195_12:
	s_or_b32 exec_lo, exec_lo, s15
	v_mbcnt_lo_u32_b32 v2, -1, 0
	v_xor_b32_e32 v1, 16, v2
	v_xor_b32_e32 v3, 8, v2
	v_cmp_gt_i32_e64 s0, 32, v1
	v_cndmask_b32_e64 v1, v2, v1, s0
	v_cmp_gt_i32_e64 s0, 32, v3
	v_lshlrev_b32_e32 v1, 2, v1
	v_cndmask_b32_e64 v3, v2, v3, s0
	ds_bpermute_b32 v4, v1, v6
	v_lshlrev_b32_e32 v3, 2, v3
	s_waitcnt lgkmcnt(0)
	v_add_f32_e32 v6, v6, v4
	v_xor_b32_e32 v4, 4, v2
	ds_bpermute_b32 v7, v3, v6
	v_cmp_gt_i32_e64 s0, 32, v4
	v_cndmask_b32_e64 v4, v2, v4, s0
	v_lshlrev_b32_e32 v4, 2, v4
	s_waitcnt lgkmcnt(0)
	v_add_f32_e32 v7, v6, v7
	v_xor_b32_e32 v6, 2, v2
	ds_bpermute_b32 v8, v4, v7
	v_cmp_gt_i32_e64 s0, 32, v6
	v_cndmask_b32_e64 v6, v2, v6, s0
	;; [unrolled: 7-line block ×3, first 2 shown]
	v_lshlrev_b32_e32 v7, 2, v2
	s_waitcnt lgkmcnt(0)
	v_add_f32_e32 v2, v8, v9
	v_lshrrev_b32_e32 v9, 3, v0
	ds_bpermute_b32 v8, v7, v2
	v_and_b32_e32 v9, 0x7c, v9
	v_add_nc_u32_e32 v9, 0, v9
	s_waitcnt lgkmcnt(0)
	v_add_f32_e32 v2, v2, v8
	ds_write_b32 v9, v2
	s_waitcnt lgkmcnt(0)
	s_barrier
	buffer_gl0_inv
	s_and_saveexec_b32 s0, vcc_lo
	s_cbranch_execz .LBB195_14
; %bb.13:
	ds_read_b32 v2, v5
	s_waitcnt lgkmcnt(0)
	ds_bpermute_b32 v1, v1, v2
	s_waitcnt lgkmcnt(0)
	v_add_f32_e32 v1, v2, v1
	ds_bpermute_b32 v2, v3, v1
	s_waitcnt lgkmcnt(0)
	v_add_f32_e32 v1, v1, v2
	;; [unrolled: 3-line block ×5, first 2 shown]
.LBB195_14:
	s_or_b32 exec_lo, exec_lo, s0
	s_barrier
	buffer_gl0_inv
	s_mov_b32 s0, exec_lo
	v_cmpx_eq_u32_e32 0, v0
	s_cbranch_execz .LBB195_16
; %bb.15:
	s_load_dwordx2 s[0:1], s[4:5], 0x38
	s_mul_hi_i32 s3, s14, s2
	s_mul_i32 s2, s14, s2
	s_mul_i32 s4, s18, s7
	s_lshl_b64 s[2:3], s[2:3], 2
	s_ashr_i32 s5, s4, 31
	v_mov_b32_e32 v0, 0
	s_waitcnt lgkmcnt(0)
	s_add_u32 s2, s0, s2
	s_addc_u32 s3, s1, s3
	s_lshl_b64 s[0:1], s[4:5], 2
	s_add_u32 s2, s2, s0
	s_addc_u32 s3, s3, s1
	s_ashr_i32 s7, s6, 31
	s_lshl_b64 s[0:1], s[6:7], 2
	s_add_u32 s0, s2, s0
	s_addc_u32 s1, s3, s1
	global_store_dword v0, v2, s[0:1]
.LBB195_16:
	s_endpgm
	.section	.rodata,"a",@progbits
	.p2align	6, 0x0
	.amdhsa_kernel _ZL13mul_mat_vec_fI6__halffLi1ELi64ELb0ELb0EEvPKT_PKfPKi31ggml_cuda_mm_fusion_args_devicePfi15HIP_vector_typeIjLj3EEiiiSB_iiiSB_iiii
		.amdhsa_group_segment_fixed_size 0
		.amdhsa_private_segment_fixed_size 0
		.amdhsa_kernarg_size 144
		.amdhsa_user_sgpr_count 6
		.amdhsa_user_sgpr_private_segment_buffer 1
		.amdhsa_user_sgpr_dispatch_ptr 0
		.amdhsa_user_sgpr_queue_ptr 0
		.amdhsa_user_sgpr_kernarg_segment_ptr 1
		.amdhsa_user_sgpr_dispatch_id 0
		.amdhsa_user_sgpr_flat_scratch_init 0
		.amdhsa_user_sgpr_private_segment_size 0
		.amdhsa_wavefront_size32 1
		.amdhsa_uses_dynamic_stack 0
		.amdhsa_system_sgpr_private_segment_wavefront_offset 0
		.amdhsa_system_sgpr_workgroup_id_x 1
		.amdhsa_system_sgpr_workgroup_id_y 1
		.amdhsa_system_sgpr_workgroup_id_z 1
		.amdhsa_system_sgpr_workgroup_info 0
		.amdhsa_system_vgpr_workitem_id 0
		.amdhsa_next_free_vgpr 11
		.amdhsa_next_free_sgpr 28
		.amdhsa_reserve_vcc 1
		.amdhsa_reserve_flat_scratch 0
		.amdhsa_float_round_mode_32 0
		.amdhsa_float_round_mode_16_64 0
		.amdhsa_float_denorm_mode_32 3
		.amdhsa_float_denorm_mode_16_64 3
		.amdhsa_dx10_clamp 1
		.amdhsa_ieee_mode 1
		.amdhsa_fp16_overflow 0
		.amdhsa_workgroup_processor_mode 1
		.amdhsa_memory_ordered 1
		.amdhsa_forward_progress 1
		.amdhsa_shared_vgpr_count 0
		.amdhsa_exception_fp_ieee_invalid_op 0
		.amdhsa_exception_fp_denorm_src 0
		.amdhsa_exception_fp_ieee_div_zero 0
		.amdhsa_exception_fp_ieee_overflow 0
		.amdhsa_exception_fp_ieee_underflow 0
		.amdhsa_exception_fp_ieee_inexact 0
		.amdhsa_exception_int_div_zero 0
	.end_amdhsa_kernel
	.section	.text._ZL13mul_mat_vec_fI6__halffLi1ELi64ELb0ELb0EEvPKT_PKfPKi31ggml_cuda_mm_fusion_args_devicePfi15HIP_vector_typeIjLj3EEiiiSB_iiiSB_iiii,"axG",@progbits,_ZL13mul_mat_vec_fI6__halffLi1ELi64ELb0ELb0EEvPKT_PKfPKi31ggml_cuda_mm_fusion_args_devicePfi15HIP_vector_typeIjLj3EEiiiSB_iiiSB_iiii,comdat
.Lfunc_end195:
	.size	_ZL13mul_mat_vec_fI6__halffLi1ELi64ELb0ELb0EEvPKT_PKfPKi31ggml_cuda_mm_fusion_args_devicePfi15HIP_vector_typeIjLj3EEiiiSB_iiiSB_iiii, .Lfunc_end195-_ZL13mul_mat_vec_fI6__halffLi1ELi64ELb0ELb0EEvPKT_PKfPKi31ggml_cuda_mm_fusion_args_devicePfi15HIP_vector_typeIjLj3EEiiiSB_iiiSB_iiii
                                        ; -- End function
	.set _ZL13mul_mat_vec_fI6__halffLi1ELi64ELb0ELb0EEvPKT_PKfPKi31ggml_cuda_mm_fusion_args_devicePfi15HIP_vector_typeIjLj3EEiiiSB_iiiSB_iiii.num_vgpr, 11
	.set _ZL13mul_mat_vec_fI6__halffLi1ELi64ELb0ELb0EEvPKT_PKfPKi31ggml_cuda_mm_fusion_args_devicePfi15HIP_vector_typeIjLj3EEiiiSB_iiiSB_iiii.num_agpr, 0
	.set _ZL13mul_mat_vec_fI6__halffLi1ELi64ELb0ELb0EEvPKT_PKfPKi31ggml_cuda_mm_fusion_args_devicePfi15HIP_vector_typeIjLj3EEiiiSB_iiiSB_iiii.numbered_sgpr, 28
	.set _ZL13mul_mat_vec_fI6__halffLi1ELi64ELb0ELb0EEvPKT_PKfPKi31ggml_cuda_mm_fusion_args_devicePfi15HIP_vector_typeIjLj3EEiiiSB_iiiSB_iiii.num_named_barrier, 0
	.set _ZL13mul_mat_vec_fI6__halffLi1ELi64ELb0ELb0EEvPKT_PKfPKi31ggml_cuda_mm_fusion_args_devicePfi15HIP_vector_typeIjLj3EEiiiSB_iiiSB_iiii.private_seg_size, 0
	.set _ZL13mul_mat_vec_fI6__halffLi1ELi64ELb0ELb0EEvPKT_PKfPKi31ggml_cuda_mm_fusion_args_devicePfi15HIP_vector_typeIjLj3EEiiiSB_iiiSB_iiii.uses_vcc, 1
	.set _ZL13mul_mat_vec_fI6__halffLi1ELi64ELb0ELb0EEvPKT_PKfPKi31ggml_cuda_mm_fusion_args_devicePfi15HIP_vector_typeIjLj3EEiiiSB_iiiSB_iiii.uses_flat_scratch, 0
	.set _ZL13mul_mat_vec_fI6__halffLi1ELi64ELb0ELb0EEvPKT_PKfPKi31ggml_cuda_mm_fusion_args_devicePfi15HIP_vector_typeIjLj3EEiiiSB_iiiSB_iiii.has_dyn_sized_stack, 0
	.set _ZL13mul_mat_vec_fI6__halffLi1ELi64ELb0ELb0EEvPKT_PKfPKi31ggml_cuda_mm_fusion_args_devicePfi15HIP_vector_typeIjLj3EEiiiSB_iiiSB_iiii.has_recursion, 0
	.set _ZL13mul_mat_vec_fI6__halffLi1ELi64ELb0ELb0EEvPKT_PKfPKi31ggml_cuda_mm_fusion_args_devicePfi15HIP_vector_typeIjLj3EEiiiSB_iiiSB_iiii.has_indirect_call, 0
	.section	.AMDGPU.csdata,"",@progbits
; Kernel info:
; codeLenInByte = 1080
; TotalNumSgprs: 30
; NumVgprs: 11
; ScratchSize: 0
; MemoryBound: 0
; FloatMode: 240
; IeeeMode: 1
; LDSByteSize: 0 bytes/workgroup (compile time only)
; SGPRBlocks: 0
; VGPRBlocks: 1
; NumSGPRsForWavesPerEU: 30
; NumVGPRsForWavesPerEU: 11
; Occupancy: 16
; WaveLimiterHint : 0
; COMPUTE_PGM_RSRC2:SCRATCH_EN: 0
; COMPUTE_PGM_RSRC2:USER_SGPR: 6
; COMPUTE_PGM_RSRC2:TRAP_HANDLER: 0
; COMPUTE_PGM_RSRC2:TGID_X_EN: 1
; COMPUTE_PGM_RSRC2:TGID_Y_EN: 1
; COMPUTE_PGM_RSRC2:TGID_Z_EN: 1
; COMPUTE_PGM_RSRC2:TIDIG_COMP_CNT: 0
	.section	.text._ZL13mul_mat_vec_fI6__halffLi1ELi96ELb1ELb0EEvPKT_PKfPKi31ggml_cuda_mm_fusion_args_devicePfi15HIP_vector_typeIjLj3EEiiiSB_iiiSB_iiii,"axG",@progbits,_ZL13mul_mat_vec_fI6__halffLi1ELi96ELb1ELb0EEvPKT_PKfPKi31ggml_cuda_mm_fusion_args_devicePfi15HIP_vector_typeIjLj3EEiiiSB_iiiSB_iiii,comdat
	.globl	_ZL13mul_mat_vec_fI6__halffLi1ELi96ELb1ELb0EEvPKT_PKfPKi31ggml_cuda_mm_fusion_args_devicePfi15HIP_vector_typeIjLj3EEiiiSB_iiiSB_iiii ; -- Begin function _ZL13mul_mat_vec_fI6__halffLi1ELi96ELb1ELb0EEvPKT_PKfPKi31ggml_cuda_mm_fusion_args_devicePfi15HIP_vector_typeIjLj3EEiiiSB_iiiSB_iiii
	.p2align	8
	.type	_ZL13mul_mat_vec_fI6__halffLi1ELi96ELb1ELb0EEvPKT_PKfPKi31ggml_cuda_mm_fusion_args_devicePfi15HIP_vector_typeIjLj3EEiiiSB_iiiSB_iiii,@function
_ZL13mul_mat_vec_fI6__halffLi1ELi96ELb1ELb0EEvPKT_PKfPKi31ggml_cuda_mm_fusion_args_devicePfi15HIP_vector_typeIjLj3EEiiiSB_iiiSB_iiii: ; @_ZL13mul_mat_vec_fI6__halffLi1ELi96ELb1ELb0EEvPKT_PKfPKi31ggml_cuda_mm_fusion_args_devicePfi15HIP_vector_typeIjLj3EEiiiSB_iiiSB_iiii
; %bb.0:
	s_clause 0x3
	s_load_dwordx8 s[12:19], s[4:5], 0x0
	s_load_dwordx4 s[24:27], s[4:5], 0x20
	s_load_dwordx4 s[36:39], s[4:5], 0x40
	;; [unrolled: 1-line block ×3, first 2 shown]
	s_mov_b32 s0, s7
	s_waitcnt lgkmcnt(0)
	s_cmp_eq_u64 s[16:17], 0
	s_cselect_b32 s11, -1, 0
	s_cmp_lg_u64 s[16:17], 0
	s_cselect_b32 s1, -1, 0
	s_and_b32 vcc_lo, exec_lo, s11
	s_cbranch_vccnz .LBB196_2
; %bb.1:
	s_mul_i32 s2, s31, s8
	s_mov_b32 s3, 0
	s_add_i32 s2, s2, s0
	s_lshl_b64 s[20:21], s[2:3], 2
	s_add_u32 s16, s16, s20
	s_addc_u32 s17, s17, s21
	s_load_dword s7, s[16:17], 0x0
	s_load_dword s16, s[4:5], 0x50
	s_waitcnt lgkmcnt(0)
	s_mov_b32 s3, s7
	s_cbranch_execz .LBB196_3
	s_branch .LBB196_4
.LBB196_2:
                                        ; implicit-def: $sgpr7
	s_load_dword s16, s[4:5], 0x50
	s_mov_b32 s3, s7
.LBB196_3:
	s_load_dwordx2 s[2:3], s[4:5], 0x5c
	s_mov_b32 s7, s0
	s_waitcnt lgkmcnt(0)
	s_mul_hi_u32 s2, s2, s0
	s_add_i32 s2, s0, s2
	s_lshr_b32 s3, s2, s3
.LBB196_4:
	s_load_dwordx4 s[20:23], s[4:5], 0x68
	s_andn2_b32 vcc_lo, exec_lo, s1
	s_mov_b32 s17, s0
	s_cbranch_vccnz .LBB196_6
; %bb.5:
	s_mul_hi_u32 s1, s37, s0
	s_add_i32 s1, s0, s1
	s_lshr_b32 s1, s1, s38
	s_mul_i32 s1, s1, s39
	s_sub_i32 s17, s0, s1
.LBB196_6:
	s_load_dword s31, s[4:5], 0x78
	s_cmp_lg_u64 s[24:25], 0
	v_cmp_gt_u32_e64 s2, 32, v0
	v_lshl_add_u32 v8, v0, 2, 0
	s_cselect_b32 s1, -1, 0
	s_cmp_eq_u64 s[24:25], 0
	s_cselect_b32 s9, -1, 0
	s_and_saveexec_b32 s10, s2
	s_cbranch_execz .LBB196_9
; %bb.7:
	v_mov_b32_e32 v1, 0
	s_andn2_b32 vcc_lo, exec_lo, s1
	ds_write_b32 v8, v1
	s_cbranch_vccnz .LBB196_9
; %bb.8:
	ds_write_b32 v8, v1 offset:128
.LBB196_9:
	s_or_b32 exec_lo, exec_lo, s10
	v_mov_b32_e32 v7, 0
	v_mov_b32_e32 v9, 0
	s_and_b32 s11, exec_lo, s11
	s_mov_b32 s10, 0
	s_cselect_b32 s11, s8, 0
	s_mov_b32 s8, exec_lo
	s_waitcnt lgkmcnt(0)
	s_barrier
	buffer_gl0_inv
	v_cmpx_gt_i32_e64 s36, v0
	s_cbranch_execz .LBB196_16
; %bb.10:
	s_mul_hi_u32 s23, s23, s11
	s_mul_i32 s3, s3, s20
	s_add_i32 s23, s11, s23
	s_mul_i32 s16, s16, s6
	s_lshr_b32 s20, s23, s31
	s_ashr_i32 s31, s16, 31
	s_mul_hi_i32 s23, s20, s28
	s_mul_i32 s20, s20, s28
	s_ashr_i32 s28, s3, 31
	s_add_u32 s16, s20, s16
	s_addc_u32 s23, s23, s31
	s_mul_i32 s20, s17, s21
	s_add_u32 s16, s16, s3
	s_addc_u32 s17, s23, s28
	s_ashr_i32 s21, s20, 31
	s_and_b32 s3, s1, exec_lo
	s_cselect_b32 s3, s25, 0
	s_cselect_b32 s23, s24, 0
	;; [unrolled: 1-line block ×4, first 2 shown]
	v_lshlrev_b32_e32 v5, 2, v0
	s_lshl_b64 s[24:25], s[24:25], 1
	v_lshlrev_b32_e32 v3, 3, v0
	s_add_u32 s23, s23, s24
	s_addc_u32 s3, s3, s25
	s_mul_hi_i32 s25, s11, s29
	s_mul_i32 s24, s11, s29
	v_add_co_u32 v1, s23, s23, v5
	s_lshl_b64 s[20:21], s[20:21], 2
	s_lshl_b64 s[24:25], s[24:25], 2
	v_add_co_ci_u32_e64 v2, null, s3, 0, s23
	s_add_u32 s3, s14, s20
	s_addc_u32 s14, s15, s21
	s_add_u32 s3, s3, s24
	s_addc_u32 s14, s14, s25
	v_add_co_u32 v3, s3, s3, v3
	v_add_co_ci_u32_e64 v4, null, s14, 0, s3
	s_lshl_b64 s[14:15], s[16:17], 1
	v_add_co_u32 v3, vcc_lo, v3, 4
	s_add_u32 s3, s12, s14
	s_addc_u32 s12, s13, s15
	v_add_co_u32 v5, s3, s3, v5
	v_mov_b32_e32 v7, 0
	v_add_co_ci_u32_e64 v4, null, 0, v4, vcc_lo
	v_add_co_ci_u32_e64 v6, null, s12, 0, s3
	v_mov_b32_e32 v10, v0
	v_mov_b32_e32 v9, 0
	s_inst_prefetch 0x1
	s_branch .LBB196_13
	.p2align	6
.LBB196_11:                             ;   in Loop: Header=BB196_13 Depth=1
	global_load_dword v12, v[1:2], off
	s_waitcnt vmcnt(0)
	v_cvt_f32_f16_e32 v13, v12
	v_cvt_f32_f16_sdwa v12, v12 dst_sel:DWORD dst_unused:UNUSED_PAD src0_sel:WORD_1
.LBB196_12:                             ;   in Loop: Header=BB196_13 Depth=1
	global_load_dwordx2 v[14:15], v[3:4], off offset:-4
	v_add_nc_u32_e32 v10, 0x60, v10
	v_add_co_u32 v1, vcc_lo, 0x180, v1
	v_add_co_ci_u32_e64 v2, null, 0, v2, vcc_lo
	v_add_co_u32 v3, vcc_lo, 0x300, v3
	v_add_co_ci_u32_e64 v4, null, 0, v4, vcc_lo
	v_cmp_le_i32_e32 vcc_lo, s36, v10
	v_add_co_u32 v5, s3, 0x180, v5
	v_add_co_ci_u32_e64 v6, null, 0, v6, s3
	s_or_b32 s10, vcc_lo, s10
	s_waitcnt vmcnt(0)
	v_fma_f32 v13, v14, v13, v7
	v_fma_mix_f32 v9, v14, v11, v9 op_sel_hi:[0,1,0]
	v_fmac_f32_e32 v13, v15, v12
	v_fma_mix_f32 v9, v15, v11, v9 op_sel:[0,1,0] op_sel_hi:[0,1,0]
	v_cndmask_b32_e64 v7, v7, v13, s1
	s_andn2_b32 exec_lo, exec_lo, s10
	s_cbranch_execz .LBB196_15
.LBB196_13:                             ; =>This Inner Loop Header: Depth=1
	global_load_dword v11, v[5:6], off
	s_andn2_b32 vcc_lo, exec_lo, s1
	s_cbranch_vccz .LBB196_11
; %bb.14:                               ;   in Loop: Header=BB196_13 Depth=1
	v_mov_b32_e32 v12, 0
	v_mov_b32_e32 v13, 0
	s_branch .LBB196_12
.LBB196_15:
	s_inst_prefetch 0x2
	s_or_b32 exec_lo, exec_lo, s10
.LBB196_16:
	s_or_b32 exec_lo, exec_lo, s8
	v_mbcnt_lo_u32_b32 v1, -1, 0
	s_load_dword s10, s[4:5], 0x30
	s_mov_b32 s3, -1
	v_xor_b32_e32 v2, 16, v1
	v_xor_b32_e32 v3, 8, v1
	v_cmp_gt_i32_e32 vcc_lo, 32, v2
	v_cndmask_b32_e32 v2, v1, v2, vcc_lo
	v_cmp_gt_i32_e32 vcc_lo, 32, v3
	v_lshlrev_b32_e32 v2, 2, v2
	v_cndmask_b32_e32 v3, v1, v3, vcc_lo
	ds_bpermute_b32 v4, v2, v9
	v_lshlrev_b32_e32 v3, 2, v3
	s_waitcnt lgkmcnt(0)
	v_add_f32_e32 v5, v9, v4
	v_xor_b32_e32 v4, 4, v1
	ds_bpermute_b32 v6, v3, v5
	v_cmp_gt_i32_e32 vcc_lo, 32, v4
	v_cndmask_b32_e32 v4, v1, v4, vcc_lo
	v_lshlrev_b32_e32 v4, 2, v4
	s_waitcnt lgkmcnt(0)
	v_add_f32_e32 v6, v5, v6
	v_xor_b32_e32 v5, 2, v1
	ds_bpermute_b32 v9, v4, v6
	v_cmp_gt_i32_e32 vcc_lo, 32, v5
	v_cndmask_b32_e32 v5, v1, v5, vcc_lo
	;; [unrolled: 7-line block ×3, first 2 shown]
	s_and_b32 vcc_lo, exec_lo, s9
	v_lshlrev_b32_e32 v6, 2, v1
	s_waitcnt lgkmcnt(0)
	v_add_f32_e32 v1, v9, v10
	v_lshrrev_b32_e32 v10, 5, v0
	ds_bpermute_b32 v9, v6, v1
	s_waitcnt lgkmcnt(0)
	v_add_f32_e32 v1, v1, v9
	v_lshl_add_u32 v9, v10, 2, 0
	s_cbranch_vccz .LBB196_18
; %bb.17:
	s_mov_b32 s3, 0
	ds_write_b32 v9, v1
.LBB196_18:
	s_andn2_b32 vcc_lo, exec_lo, s3
	s_cbranch_vccnz .LBB196_20
; %bb.19:
	ds_bpermute_b32 v10, v2, v7
	s_waitcnt lgkmcnt(0)
	v_add_f32_e32 v7, v7, v10
	ds_bpermute_b32 v10, v3, v7
	s_waitcnt lgkmcnt(0)
	v_add_f32_e32 v7, v7, v10
	;; [unrolled: 3-line block ×5, first 2 shown]
	ds_write2_b32 v9, v1, v7 offset1:32
.LBB196_20:
	s_waitcnt lgkmcnt(0)
	s_barrier
	buffer_gl0_inv
	s_and_saveexec_b32 s3, s2
	s_cbranch_execz .LBB196_24
; %bb.21:
	ds_read_b32 v1, v8
	s_andn2_b32 vcc_lo, exec_lo, s1
	s_waitcnt lgkmcnt(0)
	ds_bpermute_b32 v9, v2, v1
	s_waitcnt lgkmcnt(0)
	v_add_f32_e32 v1, v1, v9
	ds_bpermute_b32 v9, v3, v1
	s_waitcnt lgkmcnt(0)
	v_add_f32_e32 v1, v1, v9
	;; [unrolled: 3-line block ×4, first 2 shown]
	ds_bpermute_b32 v9, v6, v1
	s_cbranch_vccnz .LBB196_23
; %bb.22:
	ds_read_b32 v7, v8 offset:128
	s_waitcnt lgkmcnt(0)
	ds_bpermute_b32 v2, v2, v7
	s_waitcnt lgkmcnt(0)
	v_add_f32_e32 v2, v7, v2
	ds_bpermute_b32 v3, v3, v2
	s_waitcnt lgkmcnt(0)
	v_add_f32_e32 v2, v2, v3
	;; [unrolled: 3-line block ×5, first 2 shown]
.LBB196_23:
	s_waitcnt lgkmcnt(0)
	v_add_f32_e32 v1, v1, v9
.LBB196_24:
	s_or_b32 exec_lo, exec_lo, s3
	s_barrier
	buffer_gl0_inv
	s_mov_b32 s2, exec_lo
	v_cmpx_eq_u32_e32 0, v0
	s_cbranch_execz .LBB196_48
; %bb.25:
	s_cmp_eq_u64 s[18:19], 0
	s_mul_i32 s8, s7, s22
	s_cselect_b32 s2, -1, 0
	s_ashr_i32 s9, s8, 31
	s_mul_hi_i32 s3, s30, s11
	s_and_b32 vcc_lo, exec_lo, s2
	s_mul_i32 s2, s30, s11
	s_cbranch_vccnz .LBB196_27
; %bb.26:
	s_cselect_b32 s7, 0, s19
	s_cselect_b32 s11, 0, s18
	s_lshl_b64 s[12:13], s[2:3], 2
	s_add_u32 s11, s11, s12
	s_addc_u32 s7, s7, s13
	s_lshl_b64 s[12:13], s[8:9], 2
	s_add_u32 s11, s11, s12
	s_addc_u32 s14, s7, s13
	s_ashr_i32 s7, s6, 31
	s_lshl_b64 s[12:13], s[6:7], 2
	s_add_u32 s12, s11, s12
	s_addc_u32 s13, s14, s13
	s_load_dword s7, s[12:13], 0x0
	s_waitcnt lgkmcnt(0)
	v_add_f32_e32 v1, s7, v1
.LBB196_27:
	s_andn2_b32 vcc_lo, exec_lo, s1
	s_cbranch_vccnz .LBB196_47
; %bb.28:
	s_cmp_lg_u64 s[26:27], 0
	s_cselect_b32 s7, -1, 0
	s_and_b32 s1, s7, s1
	s_andn2_b32 vcc_lo, exec_lo, s1
	s_cbranch_vccnz .LBB196_30
; %bb.29:
	s_and_b32 s1, s7, exec_lo
	s_cselect_b32 s1, s27, 0
	s_cselect_b32 s7, s26, 0
	s_lshl_b64 s[12:13], s[2:3], 2
	s_add_u32 s7, s7, s12
	s_addc_u32 s1, s1, s13
	s_lshl_b64 s[8:9], s[8:9], 2
	s_add_u32 s11, s7, s8
	s_addc_u32 s1, s1, s9
	s_ashr_i32 s7, s6, 31
	s_lshl_b64 s[8:9], s[6:7], 2
	s_add_u32 s8, s11, s8
	s_addc_u32 s9, s1, s9
	s_load_dword s1, s[8:9], 0x0
	s_waitcnt lgkmcnt(0)
	v_add_f32_e32 v7, s1, v7
.LBB196_30:
	s_cmp_lt_i32 s10, 2
	s_cbranch_scc1 .LBB196_35
; %bb.31:
	s_cmp_lt_i32 s10, 3
	s_cbranch_scc1 .LBB196_36
; %bb.32:
	v_mov_b32_e32 v0, v1
	s_cmp_eq_u32 s10, 3
	s_cbranch_scc0 .LBB196_34
; %bb.33:
	v_max_f32_e32 v0, v7, v7
	v_min_f32_e32 v0, 0x40e00000, v0
	v_mul_f32_e32 v2, 0xbfd9db23, v0
	v_mul_f32_e32 v3, 0x3fb8aa3b, v2
	v_cmp_ngt_f32_e32 vcc_lo, 0xc2ce8ed0, v2
	v_fma_f32 v4, 0x3fb8aa3b, v2, -v3
	v_rndne_f32_e32 v5, v3
	v_fmamk_f32 v4, v2, 0x32a5705f, v4
	v_sub_f32_e32 v3, v3, v5
	v_add_f32_e32 v3, v3, v4
	v_cvt_i32_f32_e32 v4, v5
	v_exp_f32_e32 v3, v3
	v_ldexp_f32 v3, v3, v4
	v_cndmask_b32_e32 v3, 0, v3, vcc_lo
	v_cmp_nlt_f32_e32 vcc_lo, 0x42b17218, v2
	v_cndmask_b32_e32 v2, 0x7f800000, v3, vcc_lo
	v_add_f32_e32 v2, 1.0, v2
	v_div_scale_f32 v3, null, v2, v2, v0
	v_div_scale_f32 v6, vcc_lo, v0, v2, v0
	v_rcp_f32_e32 v4, v3
	v_fma_f32 v5, -v3, v4, 1.0
	v_fmac_f32_e32 v4, v5, v4
	v_mul_f32_e32 v5, v6, v4
	v_fma_f32 v8, -v3, v5, v6
	v_fmac_f32_e32 v5, v8, v4
	v_max_f32_e32 v8, v1, v1
	v_fma_f32 v3, -v3, v5, v6
	v_min_f32_e32 v6, 0x40e00000, v8
	v_div_fmas_f32 v3, v3, v4, v5
	v_max_f32_e32 v4, 0xc0e00000, v6
	v_div_fixup_f32 v0, v3, v2, v0
	v_add_f32_e32 v2, 1.0, v4
	v_mul_f32_e32 v0, v2, v0
.LBB196_34:
	s_cbranch_execz .LBB196_37
	s_branch .LBB196_38
.LBB196_35:
                                        ; implicit-def: $vgpr0
	s_branch .LBB196_39
.LBB196_36:
                                        ; implicit-def: $vgpr0
.LBB196_37:
	v_mul_f32_e32 v0, 0xbfb8aa3b, v7
	v_cmp_nlt_f32_e32 vcc_lo, 0x42ce8ed0, v7
	v_rndne_f32_e32 v2, v0
	v_fma_f32 v3, 0xbfb8aa3b, v7, -v0
	v_sub_f32_e32 v0, v0, v2
	v_fmamk_f32 v3, v7, 0xb2a5705f, v3
	v_cvt_i32_f32_e32 v2, v2
	v_add_f32_e32 v0, v0, v3
	v_exp_f32_e32 v0, v0
	v_ldexp_f32 v0, v0, v2
	v_cndmask_b32_e32 v0, 0, v0, vcc_lo
	v_cmp_ngt_f32_e32 vcc_lo, 0xc2b17218, v7
	v_cndmask_b32_e32 v0, 0x7f800000, v0, vcc_lo
	v_add_f32_e32 v0, 1.0, v0
	v_div_scale_f32 v2, null, v0, v0, v7
	v_rcp_f32_e32 v3, v2
	v_fma_f32 v4, -v2, v3, 1.0
	v_fmac_f32_e32 v3, v4, v3
	v_div_scale_f32 v4, vcc_lo, v7, v0, v7
	v_mul_f32_e32 v5, v4, v3
	v_fma_f32 v6, -v2, v5, v4
	v_fmac_f32_e32 v5, v6, v3
	v_fma_f32 v2, -v2, v5, v4
	v_div_fmas_f32 v2, v2, v3, v5
	v_div_fixup_f32 v0, v2, v0, v7
	v_mul_f32_e32 v0, v1, v0
.LBB196_38:
	s_cbranch_execnz .LBB196_46
.LBB196_39:
	s_cmp_eq_u32 s10, 1
	s_cbranch_scc0 .LBB196_45
; %bb.40:
	v_mul_f32_e32 v0, 0x3d372713, v7
	v_mul_f32_e32 v2, 0x3f4c422a, v7
	v_fma_f32 v0, v7, v0, 1.0
	v_mul_f32_e32 v0, v2, v0
                                        ; implicit-def: $vgpr2
	v_cmp_ngt_f32_e64 s1, 0x3f200000, |v0|
	s_and_saveexec_b32 s7, s1
	s_xor_b32 s1, exec_lo, s7
	s_cbranch_execz .LBB196_42
; %bb.41:
	v_add_f32_e64 v2, |v0|, |v0|
	v_mul_f32_e32 v3, 0x3fb8aa3b, v2
	v_cmp_ngt_f32_e32 vcc_lo, 0xc2ce8ed0, v2
	v_rndne_f32_e32 v4, v3
	v_fma_f32 v5, 0x3fb8aa3b, v2, -v3
	v_sub_f32_e32 v3, v3, v4
	v_fmamk_f32 v5, v2, 0x32a5705f, v5
	v_cvt_i32_f32_e32 v4, v4
	v_add_f32_e32 v3, v3, v5
	v_exp_f32_e32 v3, v3
	v_ldexp_f32 v3, v3, v4
	v_cndmask_b32_e32 v3, 0, v3, vcc_lo
	v_cmp_nlt_f32_e32 vcc_lo, 0x42b17218, v2
	v_cndmask_b32_e32 v2, 0x7f800000, v3, vcc_lo
	v_add_f32_e32 v2, 1.0, v2
	v_rcp_f32_e32 v2, v2
	v_fma_f32 v2, v2, -2.0, 1.0
.LBB196_42:
	s_andn2_saveexec_b32 s1, s1
	s_cbranch_execz .LBB196_44
; %bb.43:
	v_mul_f32_e32 v2, v0, v0
	s_mov_b32 s7, 0xbbbac73d
	v_fmaak_f32 v3, s7, v2, 0x3ca908c9
	v_fmaak_f32 v3, v2, v3, 0xbd5c1c4e
	;; [unrolled: 1-line block ×4, first 2 shown]
	v_mul_f32_e64 v3, |v0|, v3
	v_fma_f32 v2, v2, v3, |v0|
.LBB196_44:
	s_or_b32 exec_lo, exec_lo, s1
	v_bfi_b32 v0, 0x7fffffff, v2, v0
	v_mul_f32_e32 v2, 0.5, v7
	v_add_f32_e32 v0, 1.0, v0
	v_mul_f32_e32 v0, v2, v0
	v_mul_f32_e32 v1, v1, v0
.LBB196_45:
	v_mov_b32_e32 v0, v1
.LBB196_46:
	v_mov_b32_e32 v1, v0
.LBB196_47:
	s_load_dwordx2 s[4:5], s[4:5], 0x38
	s_mul_i32 s0, s22, s0
	s_lshl_b64 s[2:3], s[2:3], 2
	s_ashr_i32 s1, s0, 31
	v_mov_b32_e32 v0, 0
	s_waitcnt lgkmcnt(0)
	s_add_u32 s2, s4, s2
	s_addc_u32 s3, s5, s3
	s_lshl_b64 s[0:1], s[0:1], 2
	s_add_u32 s2, s2, s0
	s_addc_u32 s3, s3, s1
	s_ashr_i32 s7, s6, 31
	s_lshl_b64 s[0:1], s[6:7], 2
	s_add_u32 s0, s2, s0
	s_addc_u32 s1, s3, s1
	global_store_dword v0, v1, s[0:1]
.LBB196_48:
	s_endpgm
	.section	.rodata,"a",@progbits
	.p2align	6, 0x0
	.amdhsa_kernel _ZL13mul_mat_vec_fI6__halffLi1ELi96ELb1ELb0EEvPKT_PKfPKi31ggml_cuda_mm_fusion_args_devicePfi15HIP_vector_typeIjLj3EEiiiSB_iiiSB_iiii
		.amdhsa_group_segment_fixed_size 0
		.amdhsa_private_segment_fixed_size 0
		.amdhsa_kernarg_size 144
		.amdhsa_user_sgpr_count 6
		.amdhsa_user_sgpr_private_segment_buffer 1
		.amdhsa_user_sgpr_dispatch_ptr 0
		.amdhsa_user_sgpr_queue_ptr 0
		.amdhsa_user_sgpr_kernarg_segment_ptr 1
		.amdhsa_user_sgpr_dispatch_id 0
		.amdhsa_user_sgpr_flat_scratch_init 0
		.amdhsa_user_sgpr_private_segment_size 0
		.amdhsa_wavefront_size32 1
		.amdhsa_uses_dynamic_stack 0
		.amdhsa_system_sgpr_private_segment_wavefront_offset 0
		.amdhsa_system_sgpr_workgroup_id_x 1
		.amdhsa_system_sgpr_workgroup_id_y 1
		.amdhsa_system_sgpr_workgroup_id_z 1
		.amdhsa_system_sgpr_workgroup_info 0
		.amdhsa_system_vgpr_workitem_id 0
		.amdhsa_next_free_vgpr 16
		.amdhsa_next_free_sgpr 40
		.amdhsa_reserve_vcc 1
		.amdhsa_reserve_flat_scratch 0
		.amdhsa_float_round_mode_32 0
		.amdhsa_float_round_mode_16_64 0
		.amdhsa_float_denorm_mode_32 3
		.amdhsa_float_denorm_mode_16_64 3
		.amdhsa_dx10_clamp 1
		.amdhsa_ieee_mode 1
		.amdhsa_fp16_overflow 0
		.amdhsa_workgroup_processor_mode 1
		.amdhsa_memory_ordered 1
		.amdhsa_forward_progress 1
		.amdhsa_shared_vgpr_count 0
		.amdhsa_exception_fp_ieee_invalid_op 0
		.amdhsa_exception_fp_denorm_src 0
		.amdhsa_exception_fp_ieee_div_zero 0
		.amdhsa_exception_fp_ieee_overflow 0
		.amdhsa_exception_fp_ieee_underflow 0
		.amdhsa_exception_fp_ieee_inexact 0
		.amdhsa_exception_int_div_zero 0
	.end_amdhsa_kernel
	.section	.text._ZL13mul_mat_vec_fI6__halffLi1ELi96ELb1ELb0EEvPKT_PKfPKi31ggml_cuda_mm_fusion_args_devicePfi15HIP_vector_typeIjLj3EEiiiSB_iiiSB_iiii,"axG",@progbits,_ZL13mul_mat_vec_fI6__halffLi1ELi96ELb1ELb0EEvPKT_PKfPKi31ggml_cuda_mm_fusion_args_devicePfi15HIP_vector_typeIjLj3EEiiiSB_iiiSB_iiii,comdat
.Lfunc_end196:
	.size	_ZL13mul_mat_vec_fI6__halffLi1ELi96ELb1ELb0EEvPKT_PKfPKi31ggml_cuda_mm_fusion_args_devicePfi15HIP_vector_typeIjLj3EEiiiSB_iiiSB_iiii, .Lfunc_end196-_ZL13mul_mat_vec_fI6__halffLi1ELi96ELb1ELb0EEvPKT_PKfPKi31ggml_cuda_mm_fusion_args_devicePfi15HIP_vector_typeIjLj3EEiiiSB_iiiSB_iiii
                                        ; -- End function
	.set _ZL13mul_mat_vec_fI6__halffLi1ELi96ELb1ELb0EEvPKT_PKfPKi31ggml_cuda_mm_fusion_args_devicePfi15HIP_vector_typeIjLj3EEiiiSB_iiiSB_iiii.num_vgpr, 16
	.set _ZL13mul_mat_vec_fI6__halffLi1ELi96ELb1ELb0EEvPKT_PKfPKi31ggml_cuda_mm_fusion_args_devicePfi15HIP_vector_typeIjLj3EEiiiSB_iiiSB_iiii.num_agpr, 0
	.set _ZL13mul_mat_vec_fI6__halffLi1ELi96ELb1ELb0EEvPKT_PKfPKi31ggml_cuda_mm_fusion_args_devicePfi15HIP_vector_typeIjLj3EEiiiSB_iiiSB_iiii.numbered_sgpr, 40
	.set _ZL13mul_mat_vec_fI6__halffLi1ELi96ELb1ELb0EEvPKT_PKfPKi31ggml_cuda_mm_fusion_args_devicePfi15HIP_vector_typeIjLj3EEiiiSB_iiiSB_iiii.num_named_barrier, 0
	.set _ZL13mul_mat_vec_fI6__halffLi1ELi96ELb1ELb0EEvPKT_PKfPKi31ggml_cuda_mm_fusion_args_devicePfi15HIP_vector_typeIjLj3EEiiiSB_iiiSB_iiii.private_seg_size, 0
	.set _ZL13mul_mat_vec_fI6__halffLi1ELi96ELb1ELb0EEvPKT_PKfPKi31ggml_cuda_mm_fusion_args_devicePfi15HIP_vector_typeIjLj3EEiiiSB_iiiSB_iiii.uses_vcc, 1
	.set _ZL13mul_mat_vec_fI6__halffLi1ELi96ELb1ELb0EEvPKT_PKfPKi31ggml_cuda_mm_fusion_args_devicePfi15HIP_vector_typeIjLj3EEiiiSB_iiiSB_iiii.uses_flat_scratch, 0
	.set _ZL13mul_mat_vec_fI6__halffLi1ELi96ELb1ELb0EEvPKT_PKfPKi31ggml_cuda_mm_fusion_args_devicePfi15HIP_vector_typeIjLj3EEiiiSB_iiiSB_iiii.has_dyn_sized_stack, 0
	.set _ZL13mul_mat_vec_fI6__halffLi1ELi96ELb1ELb0EEvPKT_PKfPKi31ggml_cuda_mm_fusion_args_devicePfi15HIP_vector_typeIjLj3EEiiiSB_iiiSB_iiii.has_recursion, 0
	.set _ZL13mul_mat_vec_fI6__halffLi1ELi96ELb1ELb0EEvPKT_PKfPKi31ggml_cuda_mm_fusion_args_devicePfi15HIP_vector_typeIjLj3EEiiiSB_iiiSB_iiii.has_indirect_call, 0
	.section	.AMDGPU.csdata,"",@progbits
; Kernel info:
; codeLenInByte = 2284
; TotalNumSgprs: 42
; NumVgprs: 16
; ScratchSize: 0
; MemoryBound: 0
; FloatMode: 240
; IeeeMode: 1
; LDSByteSize: 0 bytes/workgroup (compile time only)
; SGPRBlocks: 0
; VGPRBlocks: 1
; NumSGPRsForWavesPerEU: 42
; NumVGPRsForWavesPerEU: 16
; Occupancy: 16
; WaveLimiterHint : 1
; COMPUTE_PGM_RSRC2:SCRATCH_EN: 0
; COMPUTE_PGM_RSRC2:USER_SGPR: 6
; COMPUTE_PGM_RSRC2:TRAP_HANDLER: 0
; COMPUTE_PGM_RSRC2:TGID_X_EN: 1
; COMPUTE_PGM_RSRC2:TGID_Y_EN: 1
; COMPUTE_PGM_RSRC2:TGID_Z_EN: 1
; COMPUTE_PGM_RSRC2:TIDIG_COMP_CNT: 0
	.section	.text._ZL13mul_mat_vec_fI6__halffLi1ELi96ELb0ELb0EEvPKT_PKfPKi31ggml_cuda_mm_fusion_args_devicePfi15HIP_vector_typeIjLj3EEiiiSB_iiiSB_iiii,"axG",@progbits,_ZL13mul_mat_vec_fI6__halffLi1ELi96ELb0ELb0EEvPKT_PKfPKi31ggml_cuda_mm_fusion_args_devicePfi15HIP_vector_typeIjLj3EEiiiSB_iiiSB_iiii,comdat
	.globl	_ZL13mul_mat_vec_fI6__halffLi1ELi96ELb0ELb0EEvPKT_PKfPKi31ggml_cuda_mm_fusion_args_devicePfi15HIP_vector_typeIjLj3EEiiiSB_iiiSB_iiii ; -- Begin function _ZL13mul_mat_vec_fI6__halffLi1ELi96ELb0ELb0EEvPKT_PKfPKi31ggml_cuda_mm_fusion_args_devicePfi15HIP_vector_typeIjLj3EEiiiSB_iiiSB_iiii
	.p2align	8
	.type	_ZL13mul_mat_vec_fI6__halffLi1ELi96ELb0ELb0EEvPKT_PKfPKi31ggml_cuda_mm_fusion_args_devicePfi15HIP_vector_typeIjLj3EEiiiSB_iiiSB_iiii,@function
_ZL13mul_mat_vec_fI6__halffLi1ELi96ELb0ELb0EEvPKT_PKfPKi31ggml_cuda_mm_fusion_args_devicePfi15HIP_vector_typeIjLj3EEiiiSB_iiiSB_iiii: ; @_ZL13mul_mat_vec_fI6__halffLi1ELi96ELb0ELb0EEvPKT_PKfPKi31ggml_cuda_mm_fusion_args_devicePfi15HIP_vector_typeIjLj3EEiiiSB_iiiSB_iiii
; %bb.0:
	s_clause 0x2
	s_load_dwordx2 s[2:3], s[4:5], 0x10
	s_load_dwordx4 s[20:23], s[4:5], 0x40
	s_load_dwordx4 s[12:15], s[4:5], 0x80
	s_waitcnt lgkmcnt(0)
	s_cmp_eq_u64 s[2:3], 0
	s_cselect_b32 s9, -1, 0
	s_cmp_lg_u64 s[2:3], 0
	s_cselect_b32 s10, -1, 0
	s_and_b32 vcc_lo, exec_lo, s9
	s_cbranch_vccnz .LBB197_2
; %bb.1:
	s_mul_i32 s0, s15, s8
	s_mov_b32 s1, 0
	s_add_i32 s0, s0, s7
	s_lshl_b64 s[16:17], s[0:1], 2
	s_add_u32 s2, s2, s16
	s_addc_u32 s3, s3, s17
	s_load_dword s24, s[2:3], 0x0
	s_load_dword s25, s[4:5], 0x50
	s_cbranch_execz .LBB197_3
	s_branch .LBB197_4
.LBB197_2:
                                        ; implicit-def: $sgpr24
	s_load_dword s25, s[4:5], 0x50
.LBB197_3:
	s_load_dwordx2 s[0:1], s[4:5], 0x5c
	s_waitcnt lgkmcnt(0)
	s_mul_hi_u32 s0, s0, s7
	s_add_i32 s0, s7, s0
	s_lshr_b32 s24, s0, s1
.LBB197_4:
	s_load_dwordx4 s[16:19], s[4:5], 0x68
	s_andn2_b32 vcc_lo, exec_lo, s10
	s_mov_b32 s26, s7
	s_cbranch_vccnz .LBB197_6
; %bb.5:
	s_mul_hi_u32 s0, s21, s7
	s_add_i32 s0, s7, s0
	s_lshr_b32 s0, s0, s22
	s_mul_i32 s0, s0, s23
	s_sub_i32 s26, s7, s0
.LBB197_6:
	s_load_dword s1, s[4:5], 0x78
	v_cmp_gt_u32_e32 vcc_lo, 32, v0
	v_lshl_add_u32 v5, v0, 2, 0
	s_and_saveexec_b32 s0, vcc_lo
; %bb.7:
	v_mov_b32_e32 v1, 0
	ds_write_b32 v5, v1
; %bb.8:
	s_or_b32 exec_lo, exec_lo, s0
	v_mov_b32_e32 v6, 0
	s_and_b32 s0, exec_lo, s9
	s_mov_b32 s3, 0
	s_cselect_b32 s2, s8, 0
	s_mov_b32 s15, exec_lo
	s_waitcnt lgkmcnt(0)
	s_barrier
	buffer_gl0_inv
	v_cmpx_gt_i32_e64 s20, v0
	s_cbranch_execz .LBB197_12
; %bb.9:
	s_load_dwordx4 s[8:11], s[4:5], 0x0
	s_mul_hi_u32 s0, s19, s2
	s_mul_i32 s16, s24, s16
	s_mul_i32 s24, s26, s17
	;; [unrolled: 1-line block ×3, first 2 shown]
	s_add_i32 s0, s2, s0
	s_ashr_i32 s25, s24, 31
	s_mul_hi_i32 s27, s2, s13
	s_mul_i32 s26, s2, s13
	s_lshr_b32 s19, s0, s1
	s_lshl_b64 s[0:1], s[24:25], 2
	v_lshlrev_b32_e32 v1, 3, v0
	s_ashr_i32 s17, s16, 31
	s_ashr_i32 s23, s22, 31
	s_lshl_b64 s[26:27], s[26:27], 2
	s_mul_hi_i32 s13, s19, s12
	s_mul_i32 s12, s19, s12
	v_lshlrev_b32_e32 v3, 2, v0
	v_mov_b32_e32 v6, 0
	v_mov_b32_e32 v7, v0
	s_waitcnt lgkmcnt(0)
	s_add_u32 s0, s10, s0
	s_addc_u32 s1, s11, s1
	s_add_u32 s0, s0, s26
	s_addc_u32 s1, s1, s27
	v_add_co_u32 v1, s0, s0, v1
	v_add_co_ci_u32_e64 v2, null, s1, 0, s0
	s_lshl_b64 s[10:11], s[12:13], 1
	v_add_co_u32 v1, s0, v1, 4
	v_add_co_ci_u32_e64 v2, null, 0, v2, s0
	s_lshl_b64 s[0:1], s[16:17], 1
	s_lshl_b64 s[12:13], s[22:23], 1
	s_add_u32 s0, s8, s0
	s_addc_u32 s1, s9, s1
	s_add_u32 s0, s0, s12
	s_addc_u32 s1, s1, s13
	;; [unrolled: 2-line block ×3, first 2 shown]
	v_add_co_u32 v3, s0, s0, v3
	v_add_co_ci_u32_e64 v4, null, s1, 0, s0
	.p2align	6
.LBB197_10:                             ; =>This Inner Loop Header: Depth=1
	global_load_dword v10, v[3:4], off
	global_load_dwordx2 v[8:9], v[1:2], off offset:-4
	v_add_nc_u32_e32 v7, 0x60, v7
	v_add_co_u32 v1, s0, 0x300, v1
	v_add_co_ci_u32_e64 v2, null, 0, v2, s0
	v_add_co_u32 v3, s0, 0x180, v3
	v_cmp_le_i32_e64 s1, s20, v7
	v_add_co_ci_u32_e64 v4, null, 0, v4, s0
	s_or_b32 s3, s1, s3
	s_waitcnt vmcnt(0)
	v_fma_mix_f32 v6, v8, v10, v6 op_sel_hi:[0,1,0]
	v_fma_mix_f32 v6, v9, v10, v6 op_sel:[0,1,0] op_sel_hi:[0,1,0]
	s_andn2_b32 exec_lo, exec_lo, s3
	s_cbranch_execnz .LBB197_10
; %bb.11:
	s_or_b32 exec_lo, exec_lo, s3
.LBB197_12:
	s_or_b32 exec_lo, exec_lo, s15
	v_mbcnt_lo_u32_b32 v2, -1, 0
	v_xor_b32_e32 v1, 16, v2
	v_xor_b32_e32 v3, 8, v2
	v_cmp_gt_i32_e64 s0, 32, v1
	v_cndmask_b32_e64 v1, v2, v1, s0
	v_cmp_gt_i32_e64 s0, 32, v3
	v_lshlrev_b32_e32 v1, 2, v1
	v_cndmask_b32_e64 v3, v2, v3, s0
	ds_bpermute_b32 v4, v1, v6
	v_lshlrev_b32_e32 v3, 2, v3
	s_waitcnt lgkmcnt(0)
	v_add_f32_e32 v6, v6, v4
	v_xor_b32_e32 v4, 4, v2
	ds_bpermute_b32 v7, v3, v6
	v_cmp_gt_i32_e64 s0, 32, v4
	v_cndmask_b32_e64 v4, v2, v4, s0
	v_lshlrev_b32_e32 v4, 2, v4
	s_waitcnt lgkmcnt(0)
	v_add_f32_e32 v7, v6, v7
	v_xor_b32_e32 v6, 2, v2
	ds_bpermute_b32 v8, v4, v7
	v_cmp_gt_i32_e64 s0, 32, v6
	v_cndmask_b32_e64 v6, v2, v6, s0
	;; [unrolled: 7-line block ×3, first 2 shown]
	v_lshlrev_b32_e32 v7, 2, v2
	s_waitcnt lgkmcnt(0)
	v_add_f32_e32 v2, v8, v9
	v_lshrrev_b32_e32 v9, 3, v0
	ds_bpermute_b32 v8, v7, v2
	v_and_b32_e32 v9, 0x7c, v9
	v_add_nc_u32_e32 v9, 0, v9
	s_waitcnt lgkmcnt(0)
	v_add_f32_e32 v2, v2, v8
	ds_write_b32 v9, v2
	s_waitcnt lgkmcnt(0)
	s_barrier
	buffer_gl0_inv
	s_and_saveexec_b32 s0, vcc_lo
	s_cbranch_execz .LBB197_14
; %bb.13:
	ds_read_b32 v2, v5
	s_waitcnt lgkmcnt(0)
	ds_bpermute_b32 v1, v1, v2
	s_waitcnt lgkmcnt(0)
	v_add_f32_e32 v1, v2, v1
	ds_bpermute_b32 v2, v3, v1
	s_waitcnt lgkmcnt(0)
	v_add_f32_e32 v1, v1, v2
	;; [unrolled: 3-line block ×5, first 2 shown]
.LBB197_14:
	s_or_b32 exec_lo, exec_lo, s0
	s_barrier
	buffer_gl0_inv
	s_mov_b32 s0, exec_lo
	v_cmpx_eq_u32_e32 0, v0
	s_cbranch_execz .LBB197_16
; %bb.15:
	s_load_dwordx2 s[0:1], s[4:5], 0x38
	s_mul_hi_i32 s3, s14, s2
	s_mul_i32 s2, s14, s2
	s_mul_i32 s4, s18, s7
	s_lshl_b64 s[2:3], s[2:3], 2
	s_ashr_i32 s5, s4, 31
	v_mov_b32_e32 v0, 0
	s_waitcnt lgkmcnt(0)
	s_add_u32 s2, s0, s2
	s_addc_u32 s3, s1, s3
	s_lshl_b64 s[0:1], s[4:5], 2
	s_add_u32 s2, s2, s0
	s_addc_u32 s3, s3, s1
	s_ashr_i32 s7, s6, 31
	s_lshl_b64 s[0:1], s[6:7], 2
	s_add_u32 s0, s2, s0
	s_addc_u32 s1, s3, s1
	global_store_dword v0, v2, s[0:1]
.LBB197_16:
	s_endpgm
	.section	.rodata,"a",@progbits
	.p2align	6, 0x0
	.amdhsa_kernel _ZL13mul_mat_vec_fI6__halffLi1ELi96ELb0ELb0EEvPKT_PKfPKi31ggml_cuda_mm_fusion_args_devicePfi15HIP_vector_typeIjLj3EEiiiSB_iiiSB_iiii
		.amdhsa_group_segment_fixed_size 0
		.amdhsa_private_segment_fixed_size 0
		.amdhsa_kernarg_size 144
		.amdhsa_user_sgpr_count 6
		.amdhsa_user_sgpr_private_segment_buffer 1
		.amdhsa_user_sgpr_dispatch_ptr 0
		.amdhsa_user_sgpr_queue_ptr 0
		.amdhsa_user_sgpr_kernarg_segment_ptr 1
		.amdhsa_user_sgpr_dispatch_id 0
		.amdhsa_user_sgpr_flat_scratch_init 0
		.amdhsa_user_sgpr_private_segment_size 0
		.amdhsa_wavefront_size32 1
		.amdhsa_uses_dynamic_stack 0
		.amdhsa_system_sgpr_private_segment_wavefront_offset 0
		.amdhsa_system_sgpr_workgroup_id_x 1
		.amdhsa_system_sgpr_workgroup_id_y 1
		.amdhsa_system_sgpr_workgroup_id_z 1
		.amdhsa_system_sgpr_workgroup_info 0
		.amdhsa_system_vgpr_workitem_id 0
		.amdhsa_next_free_vgpr 11
		.amdhsa_next_free_sgpr 28
		.amdhsa_reserve_vcc 1
		.amdhsa_reserve_flat_scratch 0
		.amdhsa_float_round_mode_32 0
		.amdhsa_float_round_mode_16_64 0
		.amdhsa_float_denorm_mode_32 3
		.amdhsa_float_denorm_mode_16_64 3
		.amdhsa_dx10_clamp 1
		.amdhsa_ieee_mode 1
		.amdhsa_fp16_overflow 0
		.amdhsa_workgroup_processor_mode 1
		.amdhsa_memory_ordered 1
		.amdhsa_forward_progress 1
		.amdhsa_shared_vgpr_count 0
		.amdhsa_exception_fp_ieee_invalid_op 0
		.amdhsa_exception_fp_denorm_src 0
		.amdhsa_exception_fp_ieee_div_zero 0
		.amdhsa_exception_fp_ieee_overflow 0
		.amdhsa_exception_fp_ieee_underflow 0
		.amdhsa_exception_fp_ieee_inexact 0
		.amdhsa_exception_int_div_zero 0
	.end_amdhsa_kernel
	.section	.text._ZL13mul_mat_vec_fI6__halffLi1ELi96ELb0ELb0EEvPKT_PKfPKi31ggml_cuda_mm_fusion_args_devicePfi15HIP_vector_typeIjLj3EEiiiSB_iiiSB_iiii,"axG",@progbits,_ZL13mul_mat_vec_fI6__halffLi1ELi96ELb0ELb0EEvPKT_PKfPKi31ggml_cuda_mm_fusion_args_devicePfi15HIP_vector_typeIjLj3EEiiiSB_iiiSB_iiii,comdat
.Lfunc_end197:
	.size	_ZL13mul_mat_vec_fI6__halffLi1ELi96ELb0ELb0EEvPKT_PKfPKi31ggml_cuda_mm_fusion_args_devicePfi15HIP_vector_typeIjLj3EEiiiSB_iiiSB_iiii, .Lfunc_end197-_ZL13mul_mat_vec_fI6__halffLi1ELi96ELb0ELb0EEvPKT_PKfPKi31ggml_cuda_mm_fusion_args_devicePfi15HIP_vector_typeIjLj3EEiiiSB_iiiSB_iiii
                                        ; -- End function
	.set _ZL13mul_mat_vec_fI6__halffLi1ELi96ELb0ELb0EEvPKT_PKfPKi31ggml_cuda_mm_fusion_args_devicePfi15HIP_vector_typeIjLj3EEiiiSB_iiiSB_iiii.num_vgpr, 11
	.set _ZL13mul_mat_vec_fI6__halffLi1ELi96ELb0ELb0EEvPKT_PKfPKi31ggml_cuda_mm_fusion_args_devicePfi15HIP_vector_typeIjLj3EEiiiSB_iiiSB_iiii.num_agpr, 0
	.set _ZL13mul_mat_vec_fI6__halffLi1ELi96ELb0ELb0EEvPKT_PKfPKi31ggml_cuda_mm_fusion_args_devicePfi15HIP_vector_typeIjLj3EEiiiSB_iiiSB_iiii.numbered_sgpr, 28
	.set _ZL13mul_mat_vec_fI6__halffLi1ELi96ELb0ELb0EEvPKT_PKfPKi31ggml_cuda_mm_fusion_args_devicePfi15HIP_vector_typeIjLj3EEiiiSB_iiiSB_iiii.num_named_barrier, 0
	.set _ZL13mul_mat_vec_fI6__halffLi1ELi96ELb0ELb0EEvPKT_PKfPKi31ggml_cuda_mm_fusion_args_devicePfi15HIP_vector_typeIjLj3EEiiiSB_iiiSB_iiii.private_seg_size, 0
	.set _ZL13mul_mat_vec_fI6__halffLi1ELi96ELb0ELb0EEvPKT_PKfPKi31ggml_cuda_mm_fusion_args_devicePfi15HIP_vector_typeIjLj3EEiiiSB_iiiSB_iiii.uses_vcc, 1
	.set _ZL13mul_mat_vec_fI6__halffLi1ELi96ELb0ELb0EEvPKT_PKfPKi31ggml_cuda_mm_fusion_args_devicePfi15HIP_vector_typeIjLj3EEiiiSB_iiiSB_iiii.uses_flat_scratch, 0
	.set _ZL13mul_mat_vec_fI6__halffLi1ELi96ELb0ELb0EEvPKT_PKfPKi31ggml_cuda_mm_fusion_args_devicePfi15HIP_vector_typeIjLj3EEiiiSB_iiiSB_iiii.has_dyn_sized_stack, 0
	.set _ZL13mul_mat_vec_fI6__halffLi1ELi96ELb0ELb0EEvPKT_PKfPKi31ggml_cuda_mm_fusion_args_devicePfi15HIP_vector_typeIjLj3EEiiiSB_iiiSB_iiii.has_recursion, 0
	.set _ZL13mul_mat_vec_fI6__halffLi1ELi96ELb0ELb0EEvPKT_PKfPKi31ggml_cuda_mm_fusion_args_devicePfi15HIP_vector_typeIjLj3EEiiiSB_iiiSB_iiii.has_indirect_call, 0
	.section	.AMDGPU.csdata,"",@progbits
; Kernel info:
; codeLenInByte = 1084
; TotalNumSgprs: 30
; NumVgprs: 11
; ScratchSize: 0
; MemoryBound: 0
; FloatMode: 240
; IeeeMode: 1
; LDSByteSize: 0 bytes/workgroup (compile time only)
; SGPRBlocks: 0
; VGPRBlocks: 1
; NumSGPRsForWavesPerEU: 30
; NumVGPRsForWavesPerEU: 11
; Occupancy: 16
; WaveLimiterHint : 0
; COMPUTE_PGM_RSRC2:SCRATCH_EN: 0
; COMPUTE_PGM_RSRC2:USER_SGPR: 6
; COMPUTE_PGM_RSRC2:TRAP_HANDLER: 0
; COMPUTE_PGM_RSRC2:TGID_X_EN: 1
; COMPUTE_PGM_RSRC2:TGID_Y_EN: 1
; COMPUTE_PGM_RSRC2:TGID_Z_EN: 1
; COMPUTE_PGM_RSRC2:TIDIG_COMP_CNT: 0
	.section	.text._ZL13mul_mat_vec_fI6__halffLi1ELi128ELb1ELb0EEvPKT_PKfPKi31ggml_cuda_mm_fusion_args_devicePfi15HIP_vector_typeIjLj3EEiiiSB_iiiSB_iiii,"axG",@progbits,_ZL13mul_mat_vec_fI6__halffLi1ELi128ELb1ELb0EEvPKT_PKfPKi31ggml_cuda_mm_fusion_args_devicePfi15HIP_vector_typeIjLj3EEiiiSB_iiiSB_iiii,comdat
	.globl	_ZL13mul_mat_vec_fI6__halffLi1ELi128ELb1ELb0EEvPKT_PKfPKi31ggml_cuda_mm_fusion_args_devicePfi15HIP_vector_typeIjLj3EEiiiSB_iiiSB_iiii ; -- Begin function _ZL13mul_mat_vec_fI6__halffLi1ELi128ELb1ELb0EEvPKT_PKfPKi31ggml_cuda_mm_fusion_args_devicePfi15HIP_vector_typeIjLj3EEiiiSB_iiiSB_iiii
	.p2align	8
	.type	_ZL13mul_mat_vec_fI6__halffLi1ELi128ELb1ELb0EEvPKT_PKfPKi31ggml_cuda_mm_fusion_args_devicePfi15HIP_vector_typeIjLj3EEiiiSB_iiiSB_iiii,@function
_ZL13mul_mat_vec_fI6__halffLi1ELi128ELb1ELb0EEvPKT_PKfPKi31ggml_cuda_mm_fusion_args_devicePfi15HIP_vector_typeIjLj3EEiiiSB_iiiSB_iiii: ; @_ZL13mul_mat_vec_fI6__halffLi1ELi128ELb1ELb0EEvPKT_PKfPKi31ggml_cuda_mm_fusion_args_devicePfi15HIP_vector_typeIjLj3EEiiiSB_iiiSB_iiii
; %bb.0:
	s_clause 0x3
	s_load_dwordx8 s[12:19], s[4:5], 0x0
	s_load_dwordx4 s[24:27], s[4:5], 0x20
	s_load_dwordx4 s[36:39], s[4:5], 0x40
	;; [unrolled: 1-line block ×3, first 2 shown]
	s_mov_b32 s0, s7
	s_waitcnt lgkmcnt(0)
	s_cmp_eq_u64 s[16:17], 0
	s_cselect_b32 s11, -1, 0
	s_cmp_lg_u64 s[16:17], 0
	s_cselect_b32 s1, -1, 0
	s_and_b32 vcc_lo, exec_lo, s11
	s_cbranch_vccnz .LBB198_2
; %bb.1:
	s_mul_i32 s2, s31, s8
	s_mov_b32 s3, 0
	s_add_i32 s2, s2, s0
	s_lshl_b64 s[20:21], s[2:3], 2
	s_add_u32 s16, s16, s20
	s_addc_u32 s17, s17, s21
	s_load_dword s7, s[16:17], 0x0
	s_load_dword s16, s[4:5], 0x50
	s_waitcnt lgkmcnt(0)
	s_mov_b32 s3, s7
	s_cbranch_execz .LBB198_3
	s_branch .LBB198_4
.LBB198_2:
                                        ; implicit-def: $sgpr7
	s_load_dword s16, s[4:5], 0x50
	s_mov_b32 s3, s7
.LBB198_3:
	s_load_dwordx2 s[2:3], s[4:5], 0x5c
	s_mov_b32 s7, s0
	s_waitcnt lgkmcnt(0)
	s_mul_hi_u32 s2, s2, s0
	s_add_i32 s2, s0, s2
	s_lshr_b32 s3, s2, s3
.LBB198_4:
	s_load_dwordx4 s[20:23], s[4:5], 0x68
	s_andn2_b32 vcc_lo, exec_lo, s1
	s_mov_b32 s17, s0
	s_cbranch_vccnz .LBB198_6
; %bb.5:
	s_mul_hi_u32 s1, s37, s0
	s_add_i32 s1, s0, s1
	s_lshr_b32 s1, s1, s38
	s_mul_i32 s1, s1, s39
	s_sub_i32 s17, s0, s1
.LBB198_6:
	s_load_dword s31, s[4:5], 0x78
	s_cmp_lg_u64 s[24:25], 0
	v_cmp_gt_u32_e64 s2, 32, v0
	v_lshl_add_u32 v8, v0, 2, 0
	s_cselect_b32 s1, -1, 0
	s_cmp_eq_u64 s[24:25], 0
	s_cselect_b32 s9, -1, 0
	s_and_saveexec_b32 s10, s2
	s_cbranch_execz .LBB198_9
; %bb.7:
	v_mov_b32_e32 v1, 0
	s_andn2_b32 vcc_lo, exec_lo, s1
	ds_write_b32 v8, v1
	s_cbranch_vccnz .LBB198_9
; %bb.8:
	ds_write_b32 v8, v1 offset:128
.LBB198_9:
	s_or_b32 exec_lo, exec_lo, s10
	v_mov_b32_e32 v7, 0
	v_mov_b32_e32 v9, 0
	s_and_b32 s11, exec_lo, s11
	s_mov_b32 s10, 0
	s_cselect_b32 s11, s8, 0
	s_mov_b32 s8, exec_lo
	s_waitcnt lgkmcnt(0)
	s_barrier
	buffer_gl0_inv
	v_cmpx_gt_i32_e64 s36, v0
	s_cbranch_execz .LBB198_16
; %bb.10:
	s_mul_hi_u32 s23, s23, s11
	s_mul_i32 s3, s3, s20
	s_add_i32 s23, s11, s23
	s_mul_i32 s16, s16, s6
	s_lshr_b32 s20, s23, s31
	s_ashr_i32 s31, s16, 31
	s_mul_hi_i32 s23, s20, s28
	s_mul_i32 s20, s20, s28
	s_ashr_i32 s28, s3, 31
	s_add_u32 s16, s20, s16
	s_addc_u32 s23, s23, s31
	s_mul_i32 s20, s17, s21
	s_add_u32 s16, s16, s3
	s_addc_u32 s17, s23, s28
	s_ashr_i32 s21, s20, 31
	s_and_b32 s3, s1, exec_lo
	s_cselect_b32 s3, s25, 0
	s_cselect_b32 s23, s24, 0
	;; [unrolled: 1-line block ×4, first 2 shown]
	v_lshlrev_b32_e32 v5, 2, v0
	s_lshl_b64 s[24:25], s[24:25], 1
	v_lshlrev_b32_e32 v3, 3, v0
	s_add_u32 s23, s23, s24
	s_addc_u32 s3, s3, s25
	s_mul_hi_i32 s25, s11, s29
	s_mul_i32 s24, s11, s29
	v_add_co_u32 v1, s23, s23, v5
	s_lshl_b64 s[20:21], s[20:21], 2
	s_lshl_b64 s[24:25], s[24:25], 2
	v_add_co_ci_u32_e64 v2, null, s3, 0, s23
	s_add_u32 s3, s14, s20
	s_addc_u32 s14, s15, s21
	s_add_u32 s3, s3, s24
	s_addc_u32 s14, s14, s25
	v_add_co_u32 v3, s3, s3, v3
	v_add_co_ci_u32_e64 v4, null, s14, 0, s3
	s_lshl_b64 s[14:15], s[16:17], 1
	v_add_co_u32 v3, vcc_lo, v3, 4
	s_add_u32 s3, s12, s14
	s_addc_u32 s12, s13, s15
	v_add_co_u32 v5, s3, s3, v5
	v_mov_b32_e32 v7, 0
	v_add_co_ci_u32_e64 v4, null, 0, v4, vcc_lo
	v_add_co_ci_u32_e64 v6, null, s12, 0, s3
	v_mov_b32_e32 v10, v0
	v_mov_b32_e32 v9, 0
	s_inst_prefetch 0x1
	s_branch .LBB198_13
	.p2align	6
.LBB198_11:                             ;   in Loop: Header=BB198_13 Depth=1
	global_load_dword v12, v[1:2], off
	s_waitcnt vmcnt(0)
	v_cvt_f32_f16_e32 v13, v12
	v_cvt_f32_f16_sdwa v12, v12 dst_sel:DWORD dst_unused:UNUSED_PAD src0_sel:WORD_1
.LBB198_12:                             ;   in Loop: Header=BB198_13 Depth=1
	global_load_dwordx2 v[14:15], v[3:4], off offset:-4
	v_add_nc_u32_e32 v10, 0x80, v10
	v_add_co_u32 v1, vcc_lo, 0x200, v1
	v_add_co_ci_u32_e64 v2, null, 0, v2, vcc_lo
	v_add_co_u32 v3, vcc_lo, 0x400, v3
	v_add_co_ci_u32_e64 v4, null, 0, v4, vcc_lo
	v_cmp_le_i32_e32 vcc_lo, s36, v10
	v_add_co_u32 v5, s3, 0x200, v5
	v_add_co_ci_u32_e64 v6, null, 0, v6, s3
	s_or_b32 s10, vcc_lo, s10
	s_waitcnt vmcnt(0)
	v_fma_f32 v13, v14, v13, v7
	v_fma_mix_f32 v9, v14, v11, v9 op_sel_hi:[0,1,0]
	v_fmac_f32_e32 v13, v15, v12
	v_fma_mix_f32 v9, v15, v11, v9 op_sel:[0,1,0] op_sel_hi:[0,1,0]
	v_cndmask_b32_e64 v7, v7, v13, s1
	s_andn2_b32 exec_lo, exec_lo, s10
	s_cbranch_execz .LBB198_15
.LBB198_13:                             ; =>This Inner Loop Header: Depth=1
	global_load_dword v11, v[5:6], off
	s_andn2_b32 vcc_lo, exec_lo, s1
	s_cbranch_vccz .LBB198_11
; %bb.14:                               ;   in Loop: Header=BB198_13 Depth=1
	v_mov_b32_e32 v12, 0
	v_mov_b32_e32 v13, 0
	s_branch .LBB198_12
.LBB198_15:
	s_inst_prefetch 0x2
	s_or_b32 exec_lo, exec_lo, s10
.LBB198_16:
	s_or_b32 exec_lo, exec_lo, s8
	v_mbcnt_lo_u32_b32 v1, -1, 0
	s_load_dword s10, s[4:5], 0x30
	s_mov_b32 s3, -1
	v_xor_b32_e32 v2, 16, v1
	v_xor_b32_e32 v3, 8, v1
	v_cmp_gt_i32_e32 vcc_lo, 32, v2
	v_cndmask_b32_e32 v2, v1, v2, vcc_lo
	v_cmp_gt_i32_e32 vcc_lo, 32, v3
	v_lshlrev_b32_e32 v2, 2, v2
	v_cndmask_b32_e32 v3, v1, v3, vcc_lo
	ds_bpermute_b32 v4, v2, v9
	v_lshlrev_b32_e32 v3, 2, v3
	s_waitcnt lgkmcnt(0)
	v_add_f32_e32 v5, v9, v4
	v_xor_b32_e32 v4, 4, v1
	ds_bpermute_b32 v6, v3, v5
	v_cmp_gt_i32_e32 vcc_lo, 32, v4
	v_cndmask_b32_e32 v4, v1, v4, vcc_lo
	v_lshlrev_b32_e32 v4, 2, v4
	s_waitcnt lgkmcnt(0)
	v_add_f32_e32 v6, v5, v6
	v_xor_b32_e32 v5, 2, v1
	ds_bpermute_b32 v9, v4, v6
	v_cmp_gt_i32_e32 vcc_lo, 32, v5
	v_cndmask_b32_e32 v5, v1, v5, vcc_lo
	;; [unrolled: 7-line block ×3, first 2 shown]
	s_and_b32 vcc_lo, exec_lo, s9
	v_lshlrev_b32_e32 v6, 2, v1
	s_waitcnt lgkmcnt(0)
	v_add_f32_e32 v1, v9, v10
	v_lshrrev_b32_e32 v10, 5, v0
	ds_bpermute_b32 v9, v6, v1
	s_waitcnt lgkmcnt(0)
	v_add_f32_e32 v1, v1, v9
	v_lshl_add_u32 v9, v10, 2, 0
	s_cbranch_vccz .LBB198_18
; %bb.17:
	s_mov_b32 s3, 0
	ds_write_b32 v9, v1
.LBB198_18:
	s_andn2_b32 vcc_lo, exec_lo, s3
	s_cbranch_vccnz .LBB198_20
; %bb.19:
	ds_bpermute_b32 v10, v2, v7
	s_waitcnt lgkmcnt(0)
	v_add_f32_e32 v7, v7, v10
	ds_bpermute_b32 v10, v3, v7
	s_waitcnt lgkmcnt(0)
	v_add_f32_e32 v7, v7, v10
	;; [unrolled: 3-line block ×5, first 2 shown]
	ds_write2_b32 v9, v1, v7 offset1:32
.LBB198_20:
	s_waitcnt lgkmcnt(0)
	s_barrier
	buffer_gl0_inv
	s_and_saveexec_b32 s3, s2
	s_cbranch_execz .LBB198_24
; %bb.21:
	ds_read_b32 v1, v8
	s_andn2_b32 vcc_lo, exec_lo, s1
	s_waitcnt lgkmcnt(0)
	ds_bpermute_b32 v9, v2, v1
	s_waitcnt lgkmcnt(0)
	v_add_f32_e32 v1, v1, v9
	ds_bpermute_b32 v9, v3, v1
	s_waitcnt lgkmcnt(0)
	v_add_f32_e32 v1, v1, v9
	;; [unrolled: 3-line block ×4, first 2 shown]
	ds_bpermute_b32 v9, v6, v1
	s_cbranch_vccnz .LBB198_23
; %bb.22:
	ds_read_b32 v7, v8 offset:128
	s_waitcnt lgkmcnt(0)
	ds_bpermute_b32 v2, v2, v7
	s_waitcnt lgkmcnt(0)
	v_add_f32_e32 v2, v7, v2
	ds_bpermute_b32 v3, v3, v2
	s_waitcnt lgkmcnt(0)
	v_add_f32_e32 v2, v2, v3
	;; [unrolled: 3-line block ×5, first 2 shown]
.LBB198_23:
	s_waitcnt lgkmcnt(0)
	v_add_f32_e32 v1, v1, v9
.LBB198_24:
	s_or_b32 exec_lo, exec_lo, s3
	s_barrier
	buffer_gl0_inv
	s_mov_b32 s2, exec_lo
	v_cmpx_eq_u32_e32 0, v0
	s_cbranch_execz .LBB198_48
; %bb.25:
	s_cmp_eq_u64 s[18:19], 0
	s_mul_i32 s8, s7, s22
	s_cselect_b32 s2, -1, 0
	s_ashr_i32 s9, s8, 31
	s_mul_hi_i32 s3, s30, s11
	s_and_b32 vcc_lo, exec_lo, s2
	s_mul_i32 s2, s30, s11
	s_cbranch_vccnz .LBB198_27
; %bb.26:
	s_cselect_b32 s7, 0, s19
	s_cselect_b32 s11, 0, s18
	s_lshl_b64 s[12:13], s[2:3], 2
	s_add_u32 s11, s11, s12
	s_addc_u32 s7, s7, s13
	s_lshl_b64 s[12:13], s[8:9], 2
	s_add_u32 s11, s11, s12
	s_addc_u32 s14, s7, s13
	s_ashr_i32 s7, s6, 31
	s_lshl_b64 s[12:13], s[6:7], 2
	s_add_u32 s12, s11, s12
	s_addc_u32 s13, s14, s13
	s_load_dword s7, s[12:13], 0x0
	s_waitcnt lgkmcnt(0)
	v_add_f32_e32 v1, s7, v1
.LBB198_27:
	s_andn2_b32 vcc_lo, exec_lo, s1
	s_cbranch_vccnz .LBB198_47
; %bb.28:
	s_cmp_lg_u64 s[26:27], 0
	s_cselect_b32 s7, -1, 0
	s_and_b32 s1, s7, s1
	s_andn2_b32 vcc_lo, exec_lo, s1
	s_cbranch_vccnz .LBB198_30
; %bb.29:
	s_and_b32 s1, s7, exec_lo
	s_cselect_b32 s1, s27, 0
	s_cselect_b32 s7, s26, 0
	s_lshl_b64 s[12:13], s[2:3], 2
	s_add_u32 s7, s7, s12
	s_addc_u32 s1, s1, s13
	s_lshl_b64 s[8:9], s[8:9], 2
	s_add_u32 s11, s7, s8
	s_addc_u32 s1, s1, s9
	s_ashr_i32 s7, s6, 31
	s_lshl_b64 s[8:9], s[6:7], 2
	s_add_u32 s8, s11, s8
	s_addc_u32 s9, s1, s9
	s_load_dword s1, s[8:9], 0x0
	s_waitcnt lgkmcnt(0)
	v_add_f32_e32 v7, s1, v7
.LBB198_30:
	s_cmp_lt_i32 s10, 2
	s_cbranch_scc1 .LBB198_35
; %bb.31:
	s_cmp_lt_i32 s10, 3
	s_cbranch_scc1 .LBB198_36
; %bb.32:
	v_mov_b32_e32 v0, v1
	s_cmp_eq_u32 s10, 3
	s_cbranch_scc0 .LBB198_34
; %bb.33:
	v_max_f32_e32 v0, v7, v7
	v_min_f32_e32 v0, 0x40e00000, v0
	v_mul_f32_e32 v2, 0xbfd9db23, v0
	v_mul_f32_e32 v3, 0x3fb8aa3b, v2
	v_cmp_ngt_f32_e32 vcc_lo, 0xc2ce8ed0, v2
	v_fma_f32 v4, 0x3fb8aa3b, v2, -v3
	v_rndne_f32_e32 v5, v3
	v_fmamk_f32 v4, v2, 0x32a5705f, v4
	v_sub_f32_e32 v3, v3, v5
	v_add_f32_e32 v3, v3, v4
	v_cvt_i32_f32_e32 v4, v5
	v_exp_f32_e32 v3, v3
	v_ldexp_f32 v3, v3, v4
	v_cndmask_b32_e32 v3, 0, v3, vcc_lo
	v_cmp_nlt_f32_e32 vcc_lo, 0x42b17218, v2
	v_cndmask_b32_e32 v2, 0x7f800000, v3, vcc_lo
	v_add_f32_e32 v2, 1.0, v2
	v_div_scale_f32 v3, null, v2, v2, v0
	v_div_scale_f32 v6, vcc_lo, v0, v2, v0
	v_rcp_f32_e32 v4, v3
	v_fma_f32 v5, -v3, v4, 1.0
	v_fmac_f32_e32 v4, v5, v4
	v_mul_f32_e32 v5, v6, v4
	v_fma_f32 v8, -v3, v5, v6
	v_fmac_f32_e32 v5, v8, v4
	v_max_f32_e32 v8, v1, v1
	v_fma_f32 v3, -v3, v5, v6
	v_min_f32_e32 v6, 0x40e00000, v8
	v_div_fmas_f32 v3, v3, v4, v5
	v_max_f32_e32 v4, 0xc0e00000, v6
	v_div_fixup_f32 v0, v3, v2, v0
	v_add_f32_e32 v2, 1.0, v4
	v_mul_f32_e32 v0, v2, v0
.LBB198_34:
	s_cbranch_execz .LBB198_37
	s_branch .LBB198_38
.LBB198_35:
                                        ; implicit-def: $vgpr0
	s_branch .LBB198_39
.LBB198_36:
                                        ; implicit-def: $vgpr0
.LBB198_37:
	v_mul_f32_e32 v0, 0xbfb8aa3b, v7
	v_cmp_nlt_f32_e32 vcc_lo, 0x42ce8ed0, v7
	v_rndne_f32_e32 v2, v0
	v_fma_f32 v3, 0xbfb8aa3b, v7, -v0
	v_sub_f32_e32 v0, v0, v2
	v_fmamk_f32 v3, v7, 0xb2a5705f, v3
	v_cvt_i32_f32_e32 v2, v2
	v_add_f32_e32 v0, v0, v3
	v_exp_f32_e32 v0, v0
	v_ldexp_f32 v0, v0, v2
	v_cndmask_b32_e32 v0, 0, v0, vcc_lo
	v_cmp_ngt_f32_e32 vcc_lo, 0xc2b17218, v7
	v_cndmask_b32_e32 v0, 0x7f800000, v0, vcc_lo
	v_add_f32_e32 v0, 1.0, v0
	v_div_scale_f32 v2, null, v0, v0, v7
	v_rcp_f32_e32 v3, v2
	v_fma_f32 v4, -v2, v3, 1.0
	v_fmac_f32_e32 v3, v4, v3
	v_div_scale_f32 v4, vcc_lo, v7, v0, v7
	v_mul_f32_e32 v5, v4, v3
	v_fma_f32 v6, -v2, v5, v4
	v_fmac_f32_e32 v5, v6, v3
	v_fma_f32 v2, -v2, v5, v4
	v_div_fmas_f32 v2, v2, v3, v5
	v_div_fixup_f32 v0, v2, v0, v7
	v_mul_f32_e32 v0, v1, v0
.LBB198_38:
	s_cbranch_execnz .LBB198_46
.LBB198_39:
	s_cmp_eq_u32 s10, 1
	s_cbranch_scc0 .LBB198_45
; %bb.40:
	v_mul_f32_e32 v0, 0x3d372713, v7
	v_mul_f32_e32 v2, 0x3f4c422a, v7
	v_fma_f32 v0, v7, v0, 1.0
	v_mul_f32_e32 v0, v2, v0
                                        ; implicit-def: $vgpr2
	v_cmp_ngt_f32_e64 s1, 0x3f200000, |v0|
	s_and_saveexec_b32 s7, s1
	s_xor_b32 s1, exec_lo, s7
	s_cbranch_execz .LBB198_42
; %bb.41:
	v_add_f32_e64 v2, |v0|, |v0|
	v_mul_f32_e32 v3, 0x3fb8aa3b, v2
	v_cmp_ngt_f32_e32 vcc_lo, 0xc2ce8ed0, v2
	v_rndne_f32_e32 v4, v3
	v_fma_f32 v5, 0x3fb8aa3b, v2, -v3
	v_sub_f32_e32 v3, v3, v4
	v_fmamk_f32 v5, v2, 0x32a5705f, v5
	v_cvt_i32_f32_e32 v4, v4
	v_add_f32_e32 v3, v3, v5
	v_exp_f32_e32 v3, v3
	v_ldexp_f32 v3, v3, v4
	v_cndmask_b32_e32 v3, 0, v3, vcc_lo
	v_cmp_nlt_f32_e32 vcc_lo, 0x42b17218, v2
	v_cndmask_b32_e32 v2, 0x7f800000, v3, vcc_lo
	v_add_f32_e32 v2, 1.0, v2
	v_rcp_f32_e32 v2, v2
	v_fma_f32 v2, v2, -2.0, 1.0
.LBB198_42:
	s_andn2_saveexec_b32 s1, s1
	s_cbranch_execz .LBB198_44
; %bb.43:
	v_mul_f32_e32 v2, v0, v0
	s_mov_b32 s7, 0xbbbac73d
	v_fmaak_f32 v3, s7, v2, 0x3ca908c9
	v_fmaak_f32 v3, v2, v3, 0xbd5c1c4e
	;; [unrolled: 1-line block ×4, first 2 shown]
	v_mul_f32_e64 v3, |v0|, v3
	v_fma_f32 v2, v2, v3, |v0|
.LBB198_44:
	s_or_b32 exec_lo, exec_lo, s1
	v_bfi_b32 v0, 0x7fffffff, v2, v0
	v_mul_f32_e32 v2, 0.5, v7
	v_add_f32_e32 v0, 1.0, v0
	v_mul_f32_e32 v0, v2, v0
	v_mul_f32_e32 v1, v1, v0
.LBB198_45:
	v_mov_b32_e32 v0, v1
.LBB198_46:
	v_mov_b32_e32 v1, v0
.LBB198_47:
	s_load_dwordx2 s[4:5], s[4:5], 0x38
	s_mul_i32 s0, s22, s0
	s_lshl_b64 s[2:3], s[2:3], 2
	s_ashr_i32 s1, s0, 31
	v_mov_b32_e32 v0, 0
	s_waitcnt lgkmcnt(0)
	s_add_u32 s2, s4, s2
	s_addc_u32 s3, s5, s3
	s_lshl_b64 s[0:1], s[0:1], 2
	s_add_u32 s2, s2, s0
	s_addc_u32 s3, s3, s1
	s_ashr_i32 s7, s6, 31
	s_lshl_b64 s[0:1], s[6:7], 2
	s_add_u32 s0, s2, s0
	s_addc_u32 s1, s3, s1
	global_store_dword v0, v1, s[0:1]
.LBB198_48:
	s_endpgm
	.section	.rodata,"a",@progbits
	.p2align	6, 0x0
	.amdhsa_kernel _ZL13mul_mat_vec_fI6__halffLi1ELi128ELb1ELb0EEvPKT_PKfPKi31ggml_cuda_mm_fusion_args_devicePfi15HIP_vector_typeIjLj3EEiiiSB_iiiSB_iiii
		.amdhsa_group_segment_fixed_size 0
		.amdhsa_private_segment_fixed_size 0
		.amdhsa_kernarg_size 144
		.amdhsa_user_sgpr_count 6
		.amdhsa_user_sgpr_private_segment_buffer 1
		.amdhsa_user_sgpr_dispatch_ptr 0
		.amdhsa_user_sgpr_queue_ptr 0
		.amdhsa_user_sgpr_kernarg_segment_ptr 1
		.amdhsa_user_sgpr_dispatch_id 0
		.amdhsa_user_sgpr_flat_scratch_init 0
		.amdhsa_user_sgpr_private_segment_size 0
		.amdhsa_wavefront_size32 1
		.amdhsa_uses_dynamic_stack 0
		.amdhsa_system_sgpr_private_segment_wavefront_offset 0
		.amdhsa_system_sgpr_workgroup_id_x 1
		.amdhsa_system_sgpr_workgroup_id_y 1
		.amdhsa_system_sgpr_workgroup_id_z 1
		.amdhsa_system_sgpr_workgroup_info 0
		.amdhsa_system_vgpr_workitem_id 0
		.amdhsa_next_free_vgpr 16
		.amdhsa_next_free_sgpr 40
		.amdhsa_reserve_vcc 1
		.amdhsa_reserve_flat_scratch 0
		.amdhsa_float_round_mode_32 0
		.amdhsa_float_round_mode_16_64 0
		.amdhsa_float_denorm_mode_32 3
		.amdhsa_float_denorm_mode_16_64 3
		.amdhsa_dx10_clamp 1
		.amdhsa_ieee_mode 1
		.amdhsa_fp16_overflow 0
		.amdhsa_workgroup_processor_mode 1
		.amdhsa_memory_ordered 1
		.amdhsa_forward_progress 1
		.amdhsa_shared_vgpr_count 0
		.amdhsa_exception_fp_ieee_invalid_op 0
		.amdhsa_exception_fp_denorm_src 0
		.amdhsa_exception_fp_ieee_div_zero 0
		.amdhsa_exception_fp_ieee_overflow 0
		.amdhsa_exception_fp_ieee_underflow 0
		.amdhsa_exception_fp_ieee_inexact 0
		.amdhsa_exception_int_div_zero 0
	.end_amdhsa_kernel
	.section	.text._ZL13mul_mat_vec_fI6__halffLi1ELi128ELb1ELb0EEvPKT_PKfPKi31ggml_cuda_mm_fusion_args_devicePfi15HIP_vector_typeIjLj3EEiiiSB_iiiSB_iiii,"axG",@progbits,_ZL13mul_mat_vec_fI6__halffLi1ELi128ELb1ELb0EEvPKT_PKfPKi31ggml_cuda_mm_fusion_args_devicePfi15HIP_vector_typeIjLj3EEiiiSB_iiiSB_iiii,comdat
.Lfunc_end198:
	.size	_ZL13mul_mat_vec_fI6__halffLi1ELi128ELb1ELb0EEvPKT_PKfPKi31ggml_cuda_mm_fusion_args_devicePfi15HIP_vector_typeIjLj3EEiiiSB_iiiSB_iiii, .Lfunc_end198-_ZL13mul_mat_vec_fI6__halffLi1ELi128ELb1ELb0EEvPKT_PKfPKi31ggml_cuda_mm_fusion_args_devicePfi15HIP_vector_typeIjLj3EEiiiSB_iiiSB_iiii
                                        ; -- End function
	.set _ZL13mul_mat_vec_fI6__halffLi1ELi128ELb1ELb0EEvPKT_PKfPKi31ggml_cuda_mm_fusion_args_devicePfi15HIP_vector_typeIjLj3EEiiiSB_iiiSB_iiii.num_vgpr, 16
	.set _ZL13mul_mat_vec_fI6__halffLi1ELi128ELb1ELb0EEvPKT_PKfPKi31ggml_cuda_mm_fusion_args_devicePfi15HIP_vector_typeIjLj3EEiiiSB_iiiSB_iiii.num_agpr, 0
	.set _ZL13mul_mat_vec_fI6__halffLi1ELi128ELb1ELb0EEvPKT_PKfPKi31ggml_cuda_mm_fusion_args_devicePfi15HIP_vector_typeIjLj3EEiiiSB_iiiSB_iiii.numbered_sgpr, 40
	.set _ZL13mul_mat_vec_fI6__halffLi1ELi128ELb1ELb0EEvPKT_PKfPKi31ggml_cuda_mm_fusion_args_devicePfi15HIP_vector_typeIjLj3EEiiiSB_iiiSB_iiii.num_named_barrier, 0
	.set _ZL13mul_mat_vec_fI6__halffLi1ELi128ELb1ELb0EEvPKT_PKfPKi31ggml_cuda_mm_fusion_args_devicePfi15HIP_vector_typeIjLj3EEiiiSB_iiiSB_iiii.private_seg_size, 0
	.set _ZL13mul_mat_vec_fI6__halffLi1ELi128ELb1ELb0EEvPKT_PKfPKi31ggml_cuda_mm_fusion_args_devicePfi15HIP_vector_typeIjLj3EEiiiSB_iiiSB_iiii.uses_vcc, 1
	.set _ZL13mul_mat_vec_fI6__halffLi1ELi128ELb1ELb0EEvPKT_PKfPKi31ggml_cuda_mm_fusion_args_devicePfi15HIP_vector_typeIjLj3EEiiiSB_iiiSB_iiii.uses_flat_scratch, 0
	.set _ZL13mul_mat_vec_fI6__halffLi1ELi128ELb1ELb0EEvPKT_PKfPKi31ggml_cuda_mm_fusion_args_devicePfi15HIP_vector_typeIjLj3EEiiiSB_iiiSB_iiii.has_dyn_sized_stack, 0
	.set _ZL13mul_mat_vec_fI6__halffLi1ELi128ELb1ELb0EEvPKT_PKfPKi31ggml_cuda_mm_fusion_args_devicePfi15HIP_vector_typeIjLj3EEiiiSB_iiiSB_iiii.has_recursion, 0
	.set _ZL13mul_mat_vec_fI6__halffLi1ELi128ELb1ELb0EEvPKT_PKfPKi31ggml_cuda_mm_fusion_args_devicePfi15HIP_vector_typeIjLj3EEiiiSB_iiiSB_iiii.has_indirect_call, 0
	.section	.AMDGPU.csdata,"",@progbits
; Kernel info:
; codeLenInByte = 2284
; TotalNumSgprs: 42
; NumVgprs: 16
; ScratchSize: 0
; MemoryBound: 0
; FloatMode: 240
; IeeeMode: 1
; LDSByteSize: 0 bytes/workgroup (compile time only)
; SGPRBlocks: 0
; VGPRBlocks: 1
; NumSGPRsForWavesPerEU: 42
; NumVGPRsForWavesPerEU: 16
; Occupancy: 16
; WaveLimiterHint : 1
; COMPUTE_PGM_RSRC2:SCRATCH_EN: 0
; COMPUTE_PGM_RSRC2:USER_SGPR: 6
; COMPUTE_PGM_RSRC2:TRAP_HANDLER: 0
; COMPUTE_PGM_RSRC2:TGID_X_EN: 1
; COMPUTE_PGM_RSRC2:TGID_Y_EN: 1
; COMPUTE_PGM_RSRC2:TGID_Z_EN: 1
; COMPUTE_PGM_RSRC2:TIDIG_COMP_CNT: 0
	.section	.text._ZL13mul_mat_vec_fI6__halffLi1ELi128ELb0ELb0EEvPKT_PKfPKi31ggml_cuda_mm_fusion_args_devicePfi15HIP_vector_typeIjLj3EEiiiSB_iiiSB_iiii,"axG",@progbits,_ZL13mul_mat_vec_fI6__halffLi1ELi128ELb0ELb0EEvPKT_PKfPKi31ggml_cuda_mm_fusion_args_devicePfi15HIP_vector_typeIjLj3EEiiiSB_iiiSB_iiii,comdat
	.globl	_ZL13mul_mat_vec_fI6__halffLi1ELi128ELb0ELb0EEvPKT_PKfPKi31ggml_cuda_mm_fusion_args_devicePfi15HIP_vector_typeIjLj3EEiiiSB_iiiSB_iiii ; -- Begin function _ZL13mul_mat_vec_fI6__halffLi1ELi128ELb0ELb0EEvPKT_PKfPKi31ggml_cuda_mm_fusion_args_devicePfi15HIP_vector_typeIjLj3EEiiiSB_iiiSB_iiii
	.p2align	8
	.type	_ZL13mul_mat_vec_fI6__halffLi1ELi128ELb0ELb0EEvPKT_PKfPKi31ggml_cuda_mm_fusion_args_devicePfi15HIP_vector_typeIjLj3EEiiiSB_iiiSB_iiii,@function
_ZL13mul_mat_vec_fI6__halffLi1ELi128ELb0ELb0EEvPKT_PKfPKi31ggml_cuda_mm_fusion_args_devicePfi15HIP_vector_typeIjLj3EEiiiSB_iiiSB_iiii: ; @_ZL13mul_mat_vec_fI6__halffLi1ELi128ELb0ELb0EEvPKT_PKfPKi31ggml_cuda_mm_fusion_args_devicePfi15HIP_vector_typeIjLj3EEiiiSB_iiiSB_iiii
; %bb.0:
	s_clause 0x2
	s_load_dwordx2 s[2:3], s[4:5], 0x10
	s_load_dwordx4 s[20:23], s[4:5], 0x40
	s_load_dwordx4 s[12:15], s[4:5], 0x80
	s_waitcnt lgkmcnt(0)
	s_cmp_eq_u64 s[2:3], 0
	s_cselect_b32 s9, -1, 0
	s_cmp_lg_u64 s[2:3], 0
	s_cselect_b32 s10, -1, 0
	s_and_b32 vcc_lo, exec_lo, s9
	s_cbranch_vccnz .LBB199_2
; %bb.1:
	s_mul_i32 s0, s15, s8
	s_mov_b32 s1, 0
	s_add_i32 s0, s0, s7
	s_lshl_b64 s[16:17], s[0:1], 2
	s_add_u32 s2, s2, s16
	s_addc_u32 s3, s3, s17
	s_load_dword s24, s[2:3], 0x0
	s_load_dword s25, s[4:5], 0x50
	s_cbranch_execz .LBB199_3
	s_branch .LBB199_4
.LBB199_2:
                                        ; implicit-def: $sgpr24
	s_load_dword s25, s[4:5], 0x50
.LBB199_3:
	s_load_dwordx2 s[0:1], s[4:5], 0x5c
	s_waitcnt lgkmcnt(0)
	s_mul_hi_u32 s0, s0, s7
	s_add_i32 s0, s7, s0
	s_lshr_b32 s24, s0, s1
.LBB199_4:
	s_load_dwordx4 s[16:19], s[4:5], 0x68
	s_andn2_b32 vcc_lo, exec_lo, s10
	s_mov_b32 s26, s7
	s_cbranch_vccnz .LBB199_6
; %bb.5:
	s_mul_hi_u32 s0, s21, s7
	s_add_i32 s0, s7, s0
	s_lshr_b32 s0, s0, s22
	s_mul_i32 s0, s0, s23
	s_sub_i32 s26, s7, s0
.LBB199_6:
	s_load_dword s1, s[4:5], 0x78
	v_cmp_gt_u32_e32 vcc_lo, 32, v0
	v_lshl_add_u32 v5, v0, 2, 0
	s_and_saveexec_b32 s0, vcc_lo
; %bb.7:
	v_mov_b32_e32 v1, 0
	ds_write_b32 v5, v1
; %bb.8:
	s_or_b32 exec_lo, exec_lo, s0
	v_mov_b32_e32 v6, 0
	s_and_b32 s0, exec_lo, s9
	s_mov_b32 s3, 0
	s_cselect_b32 s2, s8, 0
	s_mov_b32 s15, exec_lo
	s_waitcnt lgkmcnt(0)
	s_barrier
	buffer_gl0_inv
	v_cmpx_gt_i32_e64 s20, v0
	s_cbranch_execz .LBB199_12
; %bb.9:
	s_load_dwordx4 s[8:11], s[4:5], 0x0
	s_mul_hi_u32 s0, s19, s2
	s_mul_i32 s16, s24, s16
	s_mul_i32 s24, s26, s17
	;; [unrolled: 1-line block ×3, first 2 shown]
	s_add_i32 s0, s2, s0
	s_ashr_i32 s25, s24, 31
	s_mul_hi_i32 s27, s2, s13
	s_mul_i32 s26, s2, s13
	s_lshr_b32 s19, s0, s1
	s_lshl_b64 s[0:1], s[24:25], 2
	v_lshlrev_b32_e32 v1, 3, v0
	s_ashr_i32 s17, s16, 31
	s_ashr_i32 s23, s22, 31
	s_lshl_b64 s[26:27], s[26:27], 2
	s_mul_hi_i32 s13, s19, s12
	s_mul_i32 s12, s19, s12
	v_lshlrev_b32_e32 v3, 2, v0
	v_mov_b32_e32 v6, 0
	v_mov_b32_e32 v7, v0
	s_waitcnt lgkmcnt(0)
	s_add_u32 s0, s10, s0
	s_addc_u32 s1, s11, s1
	s_add_u32 s0, s0, s26
	s_addc_u32 s1, s1, s27
	v_add_co_u32 v1, s0, s0, v1
	v_add_co_ci_u32_e64 v2, null, s1, 0, s0
	s_lshl_b64 s[10:11], s[12:13], 1
	v_add_co_u32 v1, s0, v1, 4
	v_add_co_ci_u32_e64 v2, null, 0, v2, s0
	s_lshl_b64 s[0:1], s[16:17], 1
	s_lshl_b64 s[12:13], s[22:23], 1
	s_add_u32 s0, s8, s0
	s_addc_u32 s1, s9, s1
	s_add_u32 s0, s0, s12
	s_addc_u32 s1, s1, s13
	;; [unrolled: 2-line block ×3, first 2 shown]
	v_add_co_u32 v3, s0, s0, v3
	v_add_co_ci_u32_e64 v4, null, s1, 0, s0
	.p2align	6
.LBB199_10:                             ; =>This Inner Loop Header: Depth=1
	global_load_dword v10, v[3:4], off
	global_load_dwordx2 v[8:9], v[1:2], off offset:-4
	v_add_nc_u32_e32 v7, 0x80, v7
	v_add_co_u32 v1, s0, 0x400, v1
	v_add_co_ci_u32_e64 v2, null, 0, v2, s0
	v_add_co_u32 v3, s0, 0x200, v3
	v_cmp_le_i32_e64 s1, s20, v7
	v_add_co_ci_u32_e64 v4, null, 0, v4, s0
	s_or_b32 s3, s1, s3
	s_waitcnt vmcnt(0)
	v_fma_mix_f32 v6, v8, v10, v6 op_sel_hi:[0,1,0]
	v_fma_mix_f32 v6, v9, v10, v6 op_sel:[0,1,0] op_sel_hi:[0,1,0]
	s_andn2_b32 exec_lo, exec_lo, s3
	s_cbranch_execnz .LBB199_10
; %bb.11:
	s_or_b32 exec_lo, exec_lo, s3
.LBB199_12:
	s_or_b32 exec_lo, exec_lo, s15
	v_mbcnt_lo_u32_b32 v2, -1, 0
	v_xor_b32_e32 v1, 16, v2
	v_xor_b32_e32 v3, 8, v2
	v_cmp_gt_i32_e64 s0, 32, v1
	v_cndmask_b32_e64 v1, v2, v1, s0
	v_cmp_gt_i32_e64 s0, 32, v3
	v_lshlrev_b32_e32 v1, 2, v1
	v_cndmask_b32_e64 v3, v2, v3, s0
	ds_bpermute_b32 v4, v1, v6
	v_lshlrev_b32_e32 v3, 2, v3
	s_waitcnt lgkmcnt(0)
	v_add_f32_e32 v6, v6, v4
	v_xor_b32_e32 v4, 4, v2
	ds_bpermute_b32 v7, v3, v6
	v_cmp_gt_i32_e64 s0, 32, v4
	v_cndmask_b32_e64 v4, v2, v4, s0
	v_lshlrev_b32_e32 v4, 2, v4
	s_waitcnt lgkmcnt(0)
	v_add_f32_e32 v7, v6, v7
	v_xor_b32_e32 v6, 2, v2
	ds_bpermute_b32 v8, v4, v7
	v_cmp_gt_i32_e64 s0, 32, v6
	v_cndmask_b32_e64 v6, v2, v6, s0
	;; [unrolled: 7-line block ×3, first 2 shown]
	v_lshlrev_b32_e32 v7, 2, v2
	s_waitcnt lgkmcnt(0)
	v_add_f32_e32 v2, v8, v9
	v_lshrrev_b32_e32 v9, 3, v0
	ds_bpermute_b32 v8, v7, v2
	v_and_b32_e32 v9, 0x7c, v9
	v_add_nc_u32_e32 v9, 0, v9
	s_waitcnt lgkmcnt(0)
	v_add_f32_e32 v2, v2, v8
	ds_write_b32 v9, v2
	s_waitcnt lgkmcnt(0)
	s_barrier
	buffer_gl0_inv
	s_and_saveexec_b32 s0, vcc_lo
	s_cbranch_execz .LBB199_14
; %bb.13:
	ds_read_b32 v2, v5
	s_waitcnt lgkmcnt(0)
	ds_bpermute_b32 v1, v1, v2
	s_waitcnt lgkmcnt(0)
	v_add_f32_e32 v1, v2, v1
	ds_bpermute_b32 v2, v3, v1
	s_waitcnt lgkmcnt(0)
	v_add_f32_e32 v1, v1, v2
	;; [unrolled: 3-line block ×5, first 2 shown]
.LBB199_14:
	s_or_b32 exec_lo, exec_lo, s0
	s_barrier
	buffer_gl0_inv
	s_mov_b32 s0, exec_lo
	v_cmpx_eq_u32_e32 0, v0
	s_cbranch_execz .LBB199_16
; %bb.15:
	s_load_dwordx2 s[0:1], s[4:5], 0x38
	s_mul_hi_i32 s3, s14, s2
	s_mul_i32 s2, s14, s2
	s_mul_i32 s4, s18, s7
	s_lshl_b64 s[2:3], s[2:3], 2
	s_ashr_i32 s5, s4, 31
	v_mov_b32_e32 v0, 0
	s_waitcnt lgkmcnt(0)
	s_add_u32 s2, s0, s2
	s_addc_u32 s3, s1, s3
	s_lshl_b64 s[0:1], s[4:5], 2
	s_add_u32 s2, s2, s0
	s_addc_u32 s3, s3, s1
	s_ashr_i32 s7, s6, 31
	s_lshl_b64 s[0:1], s[6:7], 2
	s_add_u32 s0, s2, s0
	s_addc_u32 s1, s3, s1
	global_store_dword v0, v2, s[0:1]
.LBB199_16:
	s_endpgm
	.section	.rodata,"a",@progbits
	.p2align	6, 0x0
	.amdhsa_kernel _ZL13mul_mat_vec_fI6__halffLi1ELi128ELb0ELb0EEvPKT_PKfPKi31ggml_cuda_mm_fusion_args_devicePfi15HIP_vector_typeIjLj3EEiiiSB_iiiSB_iiii
		.amdhsa_group_segment_fixed_size 0
		.amdhsa_private_segment_fixed_size 0
		.amdhsa_kernarg_size 144
		.amdhsa_user_sgpr_count 6
		.amdhsa_user_sgpr_private_segment_buffer 1
		.amdhsa_user_sgpr_dispatch_ptr 0
		.amdhsa_user_sgpr_queue_ptr 0
		.amdhsa_user_sgpr_kernarg_segment_ptr 1
		.amdhsa_user_sgpr_dispatch_id 0
		.amdhsa_user_sgpr_flat_scratch_init 0
		.amdhsa_user_sgpr_private_segment_size 0
		.amdhsa_wavefront_size32 1
		.amdhsa_uses_dynamic_stack 0
		.amdhsa_system_sgpr_private_segment_wavefront_offset 0
		.amdhsa_system_sgpr_workgroup_id_x 1
		.amdhsa_system_sgpr_workgroup_id_y 1
		.amdhsa_system_sgpr_workgroup_id_z 1
		.amdhsa_system_sgpr_workgroup_info 0
		.amdhsa_system_vgpr_workitem_id 0
		.amdhsa_next_free_vgpr 11
		.amdhsa_next_free_sgpr 28
		.amdhsa_reserve_vcc 1
		.amdhsa_reserve_flat_scratch 0
		.amdhsa_float_round_mode_32 0
		.amdhsa_float_round_mode_16_64 0
		.amdhsa_float_denorm_mode_32 3
		.amdhsa_float_denorm_mode_16_64 3
		.amdhsa_dx10_clamp 1
		.amdhsa_ieee_mode 1
		.amdhsa_fp16_overflow 0
		.amdhsa_workgroup_processor_mode 1
		.amdhsa_memory_ordered 1
		.amdhsa_forward_progress 1
		.amdhsa_shared_vgpr_count 0
		.amdhsa_exception_fp_ieee_invalid_op 0
		.amdhsa_exception_fp_denorm_src 0
		.amdhsa_exception_fp_ieee_div_zero 0
		.amdhsa_exception_fp_ieee_overflow 0
		.amdhsa_exception_fp_ieee_underflow 0
		.amdhsa_exception_fp_ieee_inexact 0
		.amdhsa_exception_int_div_zero 0
	.end_amdhsa_kernel
	.section	.text._ZL13mul_mat_vec_fI6__halffLi1ELi128ELb0ELb0EEvPKT_PKfPKi31ggml_cuda_mm_fusion_args_devicePfi15HIP_vector_typeIjLj3EEiiiSB_iiiSB_iiii,"axG",@progbits,_ZL13mul_mat_vec_fI6__halffLi1ELi128ELb0ELb0EEvPKT_PKfPKi31ggml_cuda_mm_fusion_args_devicePfi15HIP_vector_typeIjLj3EEiiiSB_iiiSB_iiii,comdat
.Lfunc_end199:
	.size	_ZL13mul_mat_vec_fI6__halffLi1ELi128ELb0ELb0EEvPKT_PKfPKi31ggml_cuda_mm_fusion_args_devicePfi15HIP_vector_typeIjLj3EEiiiSB_iiiSB_iiii, .Lfunc_end199-_ZL13mul_mat_vec_fI6__halffLi1ELi128ELb0ELb0EEvPKT_PKfPKi31ggml_cuda_mm_fusion_args_devicePfi15HIP_vector_typeIjLj3EEiiiSB_iiiSB_iiii
                                        ; -- End function
	.set _ZL13mul_mat_vec_fI6__halffLi1ELi128ELb0ELb0EEvPKT_PKfPKi31ggml_cuda_mm_fusion_args_devicePfi15HIP_vector_typeIjLj3EEiiiSB_iiiSB_iiii.num_vgpr, 11
	.set _ZL13mul_mat_vec_fI6__halffLi1ELi128ELb0ELb0EEvPKT_PKfPKi31ggml_cuda_mm_fusion_args_devicePfi15HIP_vector_typeIjLj3EEiiiSB_iiiSB_iiii.num_agpr, 0
	.set _ZL13mul_mat_vec_fI6__halffLi1ELi128ELb0ELb0EEvPKT_PKfPKi31ggml_cuda_mm_fusion_args_devicePfi15HIP_vector_typeIjLj3EEiiiSB_iiiSB_iiii.numbered_sgpr, 28
	.set _ZL13mul_mat_vec_fI6__halffLi1ELi128ELb0ELb0EEvPKT_PKfPKi31ggml_cuda_mm_fusion_args_devicePfi15HIP_vector_typeIjLj3EEiiiSB_iiiSB_iiii.num_named_barrier, 0
	.set _ZL13mul_mat_vec_fI6__halffLi1ELi128ELb0ELb0EEvPKT_PKfPKi31ggml_cuda_mm_fusion_args_devicePfi15HIP_vector_typeIjLj3EEiiiSB_iiiSB_iiii.private_seg_size, 0
	.set _ZL13mul_mat_vec_fI6__halffLi1ELi128ELb0ELb0EEvPKT_PKfPKi31ggml_cuda_mm_fusion_args_devicePfi15HIP_vector_typeIjLj3EEiiiSB_iiiSB_iiii.uses_vcc, 1
	.set _ZL13mul_mat_vec_fI6__halffLi1ELi128ELb0ELb0EEvPKT_PKfPKi31ggml_cuda_mm_fusion_args_devicePfi15HIP_vector_typeIjLj3EEiiiSB_iiiSB_iiii.uses_flat_scratch, 0
	.set _ZL13mul_mat_vec_fI6__halffLi1ELi128ELb0ELb0EEvPKT_PKfPKi31ggml_cuda_mm_fusion_args_devicePfi15HIP_vector_typeIjLj3EEiiiSB_iiiSB_iiii.has_dyn_sized_stack, 0
	.set _ZL13mul_mat_vec_fI6__halffLi1ELi128ELb0ELb0EEvPKT_PKfPKi31ggml_cuda_mm_fusion_args_devicePfi15HIP_vector_typeIjLj3EEiiiSB_iiiSB_iiii.has_recursion, 0
	.set _ZL13mul_mat_vec_fI6__halffLi1ELi128ELb0ELb0EEvPKT_PKfPKi31ggml_cuda_mm_fusion_args_devicePfi15HIP_vector_typeIjLj3EEiiiSB_iiiSB_iiii.has_indirect_call, 0
	.section	.AMDGPU.csdata,"",@progbits
; Kernel info:
; codeLenInByte = 1084
; TotalNumSgprs: 30
; NumVgprs: 11
; ScratchSize: 0
; MemoryBound: 0
; FloatMode: 240
; IeeeMode: 1
; LDSByteSize: 0 bytes/workgroup (compile time only)
; SGPRBlocks: 0
; VGPRBlocks: 1
; NumSGPRsForWavesPerEU: 30
; NumVGPRsForWavesPerEU: 11
; Occupancy: 16
; WaveLimiterHint : 0
; COMPUTE_PGM_RSRC2:SCRATCH_EN: 0
; COMPUTE_PGM_RSRC2:USER_SGPR: 6
; COMPUTE_PGM_RSRC2:TRAP_HANDLER: 0
; COMPUTE_PGM_RSRC2:TGID_X_EN: 1
; COMPUTE_PGM_RSRC2:TGID_Y_EN: 1
; COMPUTE_PGM_RSRC2:TGID_Z_EN: 1
; COMPUTE_PGM_RSRC2:TIDIG_COMP_CNT: 0
	.section	.text._ZL13mul_mat_vec_fI6__halffLi1ELi160ELb1ELb0EEvPKT_PKfPKi31ggml_cuda_mm_fusion_args_devicePfi15HIP_vector_typeIjLj3EEiiiSB_iiiSB_iiii,"axG",@progbits,_ZL13mul_mat_vec_fI6__halffLi1ELi160ELb1ELb0EEvPKT_PKfPKi31ggml_cuda_mm_fusion_args_devicePfi15HIP_vector_typeIjLj3EEiiiSB_iiiSB_iiii,comdat
	.globl	_ZL13mul_mat_vec_fI6__halffLi1ELi160ELb1ELb0EEvPKT_PKfPKi31ggml_cuda_mm_fusion_args_devicePfi15HIP_vector_typeIjLj3EEiiiSB_iiiSB_iiii ; -- Begin function _ZL13mul_mat_vec_fI6__halffLi1ELi160ELb1ELb0EEvPKT_PKfPKi31ggml_cuda_mm_fusion_args_devicePfi15HIP_vector_typeIjLj3EEiiiSB_iiiSB_iiii
	.p2align	8
	.type	_ZL13mul_mat_vec_fI6__halffLi1ELi160ELb1ELb0EEvPKT_PKfPKi31ggml_cuda_mm_fusion_args_devicePfi15HIP_vector_typeIjLj3EEiiiSB_iiiSB_iiii,@function
_ZL13mul_mat_vec_fI6__halffLi1ELi160ELb1ELb0EEvPKT_PKfPKi31ggml_cuda_mm_fusion_args_devicePfi15HIP_vector_typeIjLj3EEiiiSB_iiiSB_iiii: ; @_ZL13mul_mat_vec_fI6__halffLi1ELi160ELb1ELb0EEvPKT_PKfPKi31ggml_cuda_mm_fusion_args_devicePfi15HIP_vector_typeIjLj3EEiiiSB_iiiSB_iiii
; %bb.0:
	s_clause 0x3
	s_load_dwordx8 s[12:19], s[4:5], 0x0
	s_load_dwordx4 s[24:27], s[4:5], 0x20
	s_load_dwordx4 s[36:39], s[4:5], 0x40
	;; [unrolled: 1-line block ×3, first 2 shown]
	s_mov_b32 s0, s7
	s_waitcnt lgkmcnt(0)
	s_cmp_eq_u64 s[16:17], 0
	s_cselect_b32 s11, -1, 0
	s_cmp_lg_u64 s[16:17], 0
	s_cselect_b32 s1, -1, 0
	s_and_b32 vcc_lo, exec_lo, s11
	s_cbranch_vccnz .LBB200_2
; %bb.1:
	s_mul_i32 s2, s31, s8
	s_mov_b32 s3, 0
	s_add_i32 s2, s2, s0
	s_lshl_b64 s[20:21], s[2:3], 2
	s_add_u32 s16, s16, s20
	s_addc_u32 s17, s17, s21
	s_load_dword s7, s[16:17], 0x0
	s_load_dword s16, s[4:5], 0x50
	s_waitcnt lgkmcnt(0)
	s_mov_b32 s3, s7
	s_cbranch_execz .LBB200_3
	s_branch .LBB200_4
.LBB200_2:
                                        ; implicit-def: $sgpr7
	s_load_dword s16, s[4:5], 0x50
	s_mov_b32 s3, s7
.LBB200_3:
	s_load_dwordx2 s[2:3], s[4:5], 0x5c
	s_mov_b32 s7, s0
	s_waitcnt lgkmcnt(0)
	s_mul_hi_u32 s2, s2, s0
	s_add_i32 s2, s0, s2
	s_lshr_b32 s3, s2, s3
.LBB200_4:
	s_load_dwordx4 s[20:23], s[4:5], 0x68
	s_andn2_b32 vcc_lo, exec_lo, s1
	s_mov_b32 s17, s0
	s_cbranch_vccnz .LBB200_6
; %bb.5:
	s_mul_hi_u32 s1, s37, s0
	s_add_i32 s1, s0, s1
	s_lshr_b32 s1, s1, s38
	s_mul_i32 s1, s1, s39
	s_sub_i32 s17, s0, s1
.LBB200_6:
	s_load_dword s31, s[4:5], 0x78
	s_cmp_lg_u64 s[24:25], 0
	v_cmp_gt_u32_e64 s2, 32, v0
	v_lshl_add_u32 v8, v0, 2, 0
	s_cselect_b32 s1, -1, 0
	s_cmp_eq_u64 s[24:25], 0
	s_cselect_b32 s9, -1, 0
	s_and_saveexec_b32 s10, s2
	s_cbranch_execz .LBB200_9
; %bb.7:
	v_mov_b32_e32 v1, 0
	s_andn2_b32 vcc_lo, exec_lo, s1
	ds_write_b32 v8, v1
	s_cbranch_vccnz .LBB200_9
; %bb.8:
	ds_write_b32 v8, v1 offset:128
.LBB200_9:
	s_or_b32 exec_lo, exec_lo, s10
	v_mov_b32_e32 v7, 0
	v_mov_b32_e32 v9, 0
	s_and_b32 s11, exec_lo, s11
	s_mov_b32 s10, 0
	s_cselect_b32 s11, s8, 0
	s_mov_b32 s8, exec_lo
	s_waitcnt lgkmcnt(0)
	s_barrier
	buffer_gl0_inv
	v_cmpx_gt_i32_e64 s36, v0
	s_cbranch_execz .LBB200_16
; %bb.10:
	s_mul_hi_u32 s23, s23, s11
	s_mul_i32 s3, s3, s20
	s_add_i32 s23, s11, s23
	s_mul_i32 s16, s16, s6
	s_lshr_b32 s20, s23, s31
	s_ashr_i32 s31, s16, 31
	s_mul_hi_i32 s23, s20, s28
	s_mul_i32 s20, s20, s28
	s_ashr_i32 s28, s3, 31
	s_add_u32 s16, s20, s16
	s_addc_u32 s23, s23, s31
	s_mul_i32 s20, s17, s21
	s_add_u32 s16, s16, s3
	s_addc_u32 s17, s23, s28
	s_ashr_i32 s21, s20, 31
	s_and_b32 s3, s1, exec_lo
	s_cselect_b32 s3, s25, 0
	s_cselect_b32 s23, s24, 0
	;; [unrolled: 1-line block ×4, first 2 shown]
	v_lshlrev_b32_e32 v5, 2, v0
	s_lshl_b64 s[24:25], s[24:25], 1
	v_lshlrev_b32_e32 v3, 3, v0
	s_add_u32 s23, s23, s24
	s_addc_u32 s3, s3, s25
	s_mul_hi_i32 s25, s11, s29
	s_mul_i32 s24, s11, s29
	v_add_co_u32 v1, s23, s23, v5
	s_lshl_b64 s[20:21], s[20:21], 2
	s_lshl_b64 s[24:25], s[24:25], 2
	v_add_co_ci_u32_e64 v2, null, s3, 0, s23
	s_add_u32 s3, s14, s20
	s_addc_u32 s14, s15, s21
	s_add_u32 s3, s3, s24
	s_addc_u32 s14, s14, s25
	v_add_co_u32 v3, s3, s3, v3
	v_add_co_ci_u32_e64 v4, null, s14, 0, s3
	s_lshl_b64 s[14:15], s[16:17], 1
	v_add_co_u32 v3, vcc_lo, v3, 4
	s_add_u32 s3, s12, s14
	s_addc_u32 s12, s13, s15
	v_add_co_u32 v5, s3, s3, v5
	v_mov_b32_e32 v7, 0
	v_add_co_ci_u32_e64 v4, null, 0, v4, vcc_lo
	v_add_co_ci_u32_e64 v6, null, s12, 0, s3
	v_mov_b32_e32 v10, v0
	v_mov_b32_e32 v9, 0
	s_inst_prefetch 0x1
	s_branch .LBB200_13
	.p2align	6
.LBB200_11:                             ;   in Loop: Header=BB200_13 Depth=1
	global_load_dword v12, v[1:2], off
	s_waitcnt vmcnt(0)
	v_cvt_f32_f16_e32 v13, v12
	v_cvt_f32_f16_sdwa v12, v12 dst_sel:DWORD dst_unused:UNUSED_PAD src0_sel:WORD_1
.LBB200_12:                             ;   in Loop: Header=BB200_13 Depth=1
	global_load_dwordx2 v[14:15], v[3:4], off offset:-4
	v_add_nc_u32_e32 v10, 0xa0, v10
	v_add_co_u32 v1, vcc_lo, 0x280, v1
	v_add_co_ci_u32_e64 v2, null, 0, v2, vcc_lo
	v_add_co_u32 v3, vcc_lo, 0x500, v3
	v_add_co_ci_u32_e64 v4, null, 0, v4, vcc_lo
	v_cmp_le_i32_e32 vcc_lo, s36, v10
	v_add_co_u32 v5, s3, 0x280, v5
	v_add_co_ci_u32_e64 v6, null, 0, v6, s3
	s_or_b32 s10, vcc_lo, s10
	s_waitcnt vmcnt(0)
	v_fma_f32 v13, v14, v13, v7
	v_fma_mix_f32 v9, v14, v11, v9 op_sel_hi:[0,1,0]
	v_fmac_f32_e32 v13, v15, v12
	v_fma_mix_f32 v9, v15, v11, v9 op_sel:[0,1,0] op_sel_hi:[0,1,0]
	v_cndmask_b32_e64 v7, v7, v13, s1
	s_andn2_b32 exec_lo, exec_lo, s10
	s_cbranch_execz .LBB200_15
.LBB200_13:                             ; =>This Inner Loop Header: Depth=1
	global_load_dword v11, v[5:6], off
	s_andn2_b32 vcc_lo, exec_lo, s1
	s_cbranch_vccz .LBB200_11
; %bb.14:                               ;   in Loop: Header=BB200_13 Depth=1
	v_mov_b32_e32 v12, 0
	v_mov_b32_e32 v13, 0
	s_branch .LBB200_12
.LBB200_15:
	s_inst_prefetch 0x2
	s_or_b32 exec_lo, exec_lo, s10
.LBB200_16:
	s_or_b32 exec_lo, exec_lo, s8
	v_mbcnt_lo_u32_b32 v1, -1, 0
	s_load_dword s10, s[4:5], 0x30
	s_mov_b32 s3, -1
	v_xor_b32_e32 v2, 16, v1
	v_xor_b32_e32 v3, 8, v1
	v_cmp_gt_i32_e32 vcc_lo, 32, v2
	v_cndmask_b32_e32 v2, v1, v2, vcc_lo
	v_cmp_gt_i32_e32 vcc_lo, 32, v3
	v_lshlrev_b32_e32 v2, 2, v2
	v_cndmask_b32_e32 v3, v1, v3, vcc_lo
	ds_bpermute_b32 v4, v2, v9
	v_lshlrev_b32_e32 v3, 2, v3
	s_waitcnt lgkmcnt(0)
	v_add_f32_e32 v5, v9, v4
	v_xor_b32_e32 v4, 4, v1
	ds_bpermute_b32 v6, v3, v5
	v_cmp_gt_i32_e32 vcc_lo, 32, v4
	v_cndmask_b32_e32 v4, v1, v4, vcc_lo
	v_lshlrev_b32_e32 v4, 2, v4
	s_waitcnt lgkmcnt(0)
	v_add_f32_e32 v6, v5, v6
	v_xor_b32_e32 v5, 2, v1
	ds_bpermute_b32 v9, v4, v6
	v_cmp_gt_i32_e32 vcc_lo, 32, v5
	v_cndmask_b32_e32 v5, v1, v5, vcc_lo
	;; [unrolled: 7-line block ×3, first 2 shown]
	s_and_b32 vcc_lo, exec_lo, s9
	v_lshlrev_b32_e32 v6, 2, v1
	s_waitcnt lgkmcnt(0)
	v_add_f32_e32 v1, v9, v10
	v_lshrrev_b32_e32 v10, 5, v0
	ds_bpermute_b32 v9, v6, v1
	s_waitcnt lgkmcnt(0)
	v_add_f32_e32 v1, v1, v9
	v_lshl_add_u32 v9, v10, 2, 0
	s_cbranch_vccz .LBB200_18
; %bb.17:
	s_mov_b32 s3, 0
	ds_write_b32 v9, v1
.LBB200_18:
	s_andn2_b32 vcc_lo, exec_lo, s3
	s_cbranch_vccnz .LBB200_20
; %bb.19:
	ds_bpermute_b32 v10, v2, v7
	s_waitcnt lgkmcnt(0)
	v_add_f32_e32 v7, v7, v10
	ds_bpermute_b32 v10, v3, v7
	s_waitcnt lgkmcnt(0)
	v_add_f32_e32 v7, v7, v10
	;; [unrolled: 3-line block ×5, first 2 shown]
	ds_write2_b32 v9, v1, v7 offset1:32
.LBB200_20:
	s_waitcnt lgkmcnt(0)
	s_barrier
	buffer_gl0_inv
	s_and_saveexec_b32 s3, s2
	s_cbranch_execz .LBB200_24
; %bb.21:
	ds_read_b32 v1, v8
	s_andn2_b32 vcc_lo, exec_lo, s1
	s_waitcnt lgkmcnt(0)
	ds_bpermute_b32 v9, v2, v1
	s_waitcnt lgkmcnt(0)
	v_add_f32_e32 v1, v1, v9
	ds_bpermute_b32 v9, v3, v1
	s_waitcnt lgkmcnt(0)
	v_add_f32_e32 v1, v1, v9
	;; [unrolled: 3-line block ×4, first 2 shown]
	ds_bpermute_b32 v9, v6, v1
	s_cbranch_vccnz .LBB200_23
; %bb.22:
	ds_read_b32 v7, v8 offset:128
	s_waitcnt lgkmcnt(0)
	ds_bpermute_b32 v2, v2, v7
	s_waitcnt lgkmcnt(0)
	v_add_f32_e32 v2, v7, v2
	ds_bpermute_b32 v3, v3, v2
	s_waitcnt lgkmcnt(0)
	v_add_f32_e32 v2, v2, v3
	;; [unrolled: 3-line block ×5, first 2 shown]
.LBB200_23:
	s_waitcnt lgkmcnt(0)
	v_add_f32_e32 v1, v1, v9
.LBB200_24:
	s_or_b32 exec_lo, exec_lo, s3
	s_barrier
	buffer_gl0_inv
	s_mov_b32 s2, exec_lo
	v_cmpx_eq_u32_e32 0, v0
	s_cbranch_execz .LBB200_48
; %bb.25:
	s_cmp_eq_u64 s[18:19], 0
	s_mul_i32 s8, s7, s22
	s_cselect_b32 s2, -1, 0
	s_ashr_i32 s9, s8, 31
	s_mul_hi_i32 s3, s30, s11
	s_and_b32 vcc_lo, exec_lo, s2
	s_mul_i32 s2, s30, s11
	s_cbranch_vccnz .LBB200_27
; %bb.26:
	s_cselect_b32 s7, 0, s19
	s_cselect_b32 s11, 0, s18
	s_lshl_b64 s[12:13], s[2:3], 2
	s_add_u32 s11, s11, s12
	s_addc_u32 s7, s7, s13
	s_lshl_b64 s[12:13], s[8:9], 2
	s_add_u32 s11, s11, s12
	s_addc_u32 s14, s7, s13
	s_ashr_i32 s7, s6, 31
	s_lshl_b64 s[12:13], s[6:7], 2
	s_add_u32 s12, s11, s12
	s_addc_u32 s13, s14, s13
	s_load_dword s7, s[12:13], 0x0
	s_waitcnt lgkmcnt(0)
	v_add_f32_e32 v1, s7, v1
.LBB200_27:
	s_andn2_b32 vcc_lo, exec_lo, s1
	s_cbranch_vccnz .LBB200_47
; %bb.28:
	s_cmp_lg_u64 s[26:27], 0
	s_cselect_b32 s7, -1, 0
	s_and_b32 s1, s7, s1
	s_andn2_b32 vcc_lo, exec_lo, s1
	s_cbranch_vccnz .LBB200_30
; %bb.29:
	s_and_b32 s1, s7, exec_lo
	s_cselect_b32 s1, s27, 0
	s_cselect_b32 s7, s26, 0
	s_lshl_b64 s[12:13], s[2:3], 2
	s_add_u32 s7, s7, s12
	s_addc_u32 s1, s1, s13
	s_lshl_b64 s[8:9], s[8:9], 2
	s_add_u32 s11, s7, s8
	s_addc_u32 s1, s1, s9
	s_ashr_i32 s7, s6, 31
	s_lshl_b64 s[8:9], s[6:7], 2
	s_add_u32 s8, s11, s8
	s_addc_u32 s9, s1, s9
	s_load_dword s1, s[8:9], 0x0
	s_waitcnt lgkmcnt(0)
	v_add_f32_e32 v7, s1, v7
.LBB200_30:
	s_cmp_lt_i32 s10, 2
	s_cbranch_scc1 .LBB200_35
; %bb.31:
	s_cmp_lt_i32 s10, 3
	s_cbranch_scc1 .LBB200_36
; %bb.32:
	v_mov_b32_e32 v0, v1
	s_cmp_eq_u32 s10, 3
	s_cbranch_scc0 .LBB200_34
; %bb.33:
	v_max_f32_e32 v0, v7, v7
	v_min_f32_e32 v0, 0x40e00000, v0
	v_mul_f32_e32 v2, 0xbfd9db23, v0
	v_mul_f32_e32 v3, 0x3fb8aa3b, v2
	v_cmp_ngt_f32_e32 vcc_lo, 0xc2ce8ed0, v2
	v_fma_f32 v4, 0x3fb8aa3b, v2, -v3
	v_rndne_f32_e32 v5, v3
	v_fmamk_f32 v4, v2, 0x32a5705f, v4
	v_sub_f32_e32 v3, v3, v5
	v_add_f32_e32 v3, v3, v4
	v_cvt_i32_f32_e32 v4, v5
	v_exp_f32_e32 v3, v3
	v_ldexp_f32 v3, v3, v4
	v_cndmask_b32_e32 v3, 0, v3, vcc_lo
	v_cmp_nlt_f32_e32 vcc_lo, 0x42b17218, v2
	v_cndmask_b32_e32 v2, 0x7f800000, v3, vcc_lo
	v_add_f32_e32 v2, 1.0, v2
	v_div_scale_f32 v3, null, v2, v2, v0
	v_div_scale_f32 v6, vcc_lo, v0, v2, v0
	v_rcp_f32_e32 v4, v3
	v_fma_f32 v5, -v3, v4, 1.0
	v_fmac_f32_e32 v4, v5, v4
	v_mul_f32_e32 v5, v6, v4
	v_fma_f32 v8, -v3, v5, v6
	v_fmac_f32_e32 v5, v8, v4
	v_max_f32_e32 v8, v1, v1
	v_fma_f32 v3, -v3, v5, v6
	v_min_f32_e32 v6, 0x40e00000, v8
	v_div_fmas_f32 v3, v3, v4, v5
	v_max_f32_e32 v4, 0xc0e00000, v6
	v_div_fixup_f32 v0, v3, v2, v0
	v_add_f32_e32 v2, 1.0, v4
	v_mul_f32_e32 v0, v2, v0
.LBB200_34:
	s_cbranch_execz .LBB200_37
	s_branch .LBB200_38
.LBB200_35:
                                        ; implicit-def: $vgpr0
	s_branch .LBB200_39
.LBB200_36:
                                        ; implicit-def: $vgpr0
.LBB200_37:
	v_mul_f32_e32 v0, 0xbfb8aa3b, v7
	v_cmp_nlt_f32_e32 vcc_lo, 0x42ce8ed0, v7
	v_rndne_f32_e32 v2, v0
	v_fma_f32 v3, 0xbfb8aa3b, v7, -v0
	v_sub_f32_e32 v0, v0, v2
	v_fmamk_f32 v3, v7, 0xb2a5705f, v3
	v_cvt_i32_f32_e32 v2, v2
	v_add_f32_e32 v0, v0, v3
	v_exp_f32_e32 v0, v0
	v_ldexp_f32 v0, v0, v2
	v_cndmask_b32_e32 v0, 0, v0, vcc_lo
	v_cmp_ngt_f32_e32 vcc_lo, 0xc2b17218, v7
	v_cndmask_b32_e32 v0, 0x7f800000, v0, vcc_lo
	v_add_f32_e32 v0, 1.0, v0
	v_div_scale_f32 v2, null, v0, v0, v7
	v_rcp_f32_e32 v3, v2
	v_fma_f32 v4, -v2, v3, 1.0
	v_fmac_f32_e32 v3, v4, v3
	v_div_scale_f32 v4, vcc_lo, v7, v0, v7
	v_mul_f32_e32 v5, v4, v3
	v_fma_f32 v6, -v2, v5, v4
	v_fmac_f32_e32 v5, v6, v3
	v_fma_f32 v2, -v2, v5, v4
	v_div_fmas_f32 v2, v2, v3, v5
	v_div_fixup_f32 v0, v2, v0, v7
	v_mul_f32_e32 v0, v1, v0
.LBB200_38:
	s_cbranch_execnz .LBB200_46
.LBB200_39:
	s_cmp_eq_u32 s10, 1
	s_cbranch_scc0 .LBB200_45
; %bb.40:
	v_mul_f32_e32 v0, 0x3d372713, v7
	v_mul_f32_e32 v2, 0x3f4c422a, v7
	v_fma_f32 v0, v7, v0, 1.0
	v_mul_f32_e32 v0, v2, v0
                                        ; implicit-def: $vgpr2
	v_cmp_ngt_f32_e64 s1, 0x3f200000, |v0|
	s_and_saveexec_b32 s7, s1
	s_xor_b32 s1, exec_lo, s7
	s_cbranch_execz .LBB200_42
; %bb.41:
	v_add_f32_e64 v2, |v0|, |v0|
	v_mul_f32_e32 v3, 0x3fb8aa3b, v2
	v_cmp_ngt_f32_e32 vcc_lo, 0xc2ce8ed0, v2
	v_rndne_f32_e32 v4, v3
	v_fma_f32 v5, 0x3fb8aa3b, v2, -v3
	v_sub_f32_e32 v3, v3, v4
	v_fmamk_f32 v5, v2, 0x32a5705f, v5
	v_cvt_i32_f32_e32 v4, v4
	v_add_f32_e32 v3, v3, v5
	v_exp_f32_e32 v3, v3
	v_ldexp_f32 v3, v3, v4
	v_cndmask_b32_e32 v3, 0, v3, vcc_lo
	v_cmp_nlt_f32_e32 vcc_lo, 0x42b17218, v2
	v_cndmask_b32_e32 v2, 0x7f800000, v3, vcc_lo
	v_add_f32_e32 v2, 1.0, v2
	v_rcp_f32_e32 v2, v2
	v_fma_f32 v2, v2, -2.0, 1.0
.LBB200_42:
	s_andn2_saveexec_b32 s1, s1
	s_cbranch_execz .LBB200_44
; %bb.43:
	v_mul_f32_e32 v2, v0, v0
	s_mov_b32 s7, 0xbbbac73d
	v_fmaak_f32 v3, s7, v2, 0x3ca908c9
	v_fmaak_f32 v3, v2, v3, 0xbd5c1c4e
	v_fmaak_f32 v3, v2, v3, 0x3e088382
	v_fmaak_f32 v3, v2, v3, 0xbeaaaa99
	v_mul_f32_e64 v3, |v0|, v3
	v_fma_f32 v2, v2, v3, |v0|
.LBB200_44:
	s_or_b32 exec_lo, exec_lo, s1
	v_bfi_b32 v0, 0x7fffffff, v2, v0
	v_mul_f32_e32 v2, 0.5, v7
	v_add_f32_e32 v0, 1.0, v0
	v_mul_f32_e32 v0, v2, v0
	v_mul_f32_e32 v1, v1, v0
.LBB200_45:
	v_mov_b32_e32 v0, v1
.LBB200_46:
	v_mov_b32_e32 v1, v0
.LBB200_47:
	s_load_dwordx2 s[4:5], s[4:5], 0x38
	s_mul_i32 s0, s22, s0
	s_lshl_b64 s[2:3], s[2:3], 2
	s_ashr_i32 s1, s0, 31
	v_mov_b32_e32 v0, 0
	s_waitcnt lgkmcnt(0)
	s_add_u32 s2, s4, s2
	s_addc_u32 s3, s5, s3
	s_lshl_b64 s[0:1], s[0:1], 2
	s_add_u32 s2, s2, s0
	s_addc_u32 s3, s3, s1
	s_ashr_i32 s7, s6, 31
	s_lshl_b64 s[0:1], s[6:7], 2
	s_add_u32 s0, s2, s0
	s_addc_u32 s1, s3, s1
	global_store_dword v0, v1, s[0:1]
.LBB200_48:
	s_endpgm
	.section	.rodata,"a",@progbits
	.p2align	6, 0x0
	.amdhsa_kernel _ZL13mul_mat_vec_fI6__halffLi1ELi160ELb1ELb0EEvPKT_PKfPKi31ggml_cuda_mm_fusion_args_devicePfi15HIP_vector_typeIjLj3EEiiiSB_iiiSB_iiii
		.amdhsa_group_segment_fixed_size 0
		.amdhsa_private_segment_fixed_size 0
		.amdhsa_kernarg_size 144
		.amdhsa_user_sgpr_count 6
		.amdhsa_user_sgpr_private_segment_buffer 1
		.amdhsa_user_sgpr_dispatch_ptr 0
		.amdhsa_user_sgpr_queue_ptr 0
		.amdhsa_user_sgpr_kernarg_segment_ptr 1
		.amdhsa_user_sgpr_dispatch_id 0
		.amdhsa_user_sgpr_flat_scratch_init 0
		.amdhsa_user_sgpr_private_segment_size 0
		.amdhsa_wavefront_size32 1
		.amdhsa_uses_dynamic_stack 0
		.amdhsa_system_sgpr_private_segment_wavefront_offset 0
		.amdhsa_system_sgpr_workgroup_id_x 1
		.amdhsa_system_sgpr_workgroup_id_y 1
		.amdhsa_system_sgpr_workgroup_id_z 1
		.amdhsa_system_sgpr_workgroup_info 0
		.amdhsa_system_vgpr_workitem_id 0
		.amdhsa_next_free_vgpr 16
		.amdhsa_next_free_sgpr 40
		.amdhsa_reserve_vcc 1
		.amdhsa_reserve_flat_scratch 0
		.amdhsa_float_round_mode_32 0
		.amdhsa_float_round_mode_16_64 0
		.amdhsa_float_denorm_mode_32 3
		.amdhsa_float_denorm_mode_16_64 3
		.amdhsa_dx10_clamp 1
		.amdhsa_ieee_mode 1
		.amdhsa_fp16_overflow 0
		.amdhsa_workgroup_processor_mode 1
		.amdhsa_memory_ordered 1
		.amdhsa_forward_progress 1
		.amdhsa_shared_vgpr_count 0
		.amdhsa_exception_fp_ieee_invalid_op 0
		.amdhsa_exception_fp_denorm_src 0
		.amdhsa_exception_fp_ieee_div_zero 0
		.amdhsa_exception_fp_ieee_overflow 0
		.amdhsa_exception_fp_ieee_underflow 0
		.amdhsa_exception_fp_ieee_inexact 0
		.amdhsa_exception_int_div_zero 0
	.end_amdhsa_kernel
	.section	.text._ZL13mul_mat_vec_fI6__halffLi1ELi160ELb1ELb0EEvPKT_PKfPKi31ggml_cuda_mm_fusion_args_devicePfi15HIP_vector_typeIjLj3EEiiiSB_iiiSB_iiii,"axG",@progbits,_ZL13mul_mat_vec_fI6__halffLi1ELi160ELb1ELb0EEvPKT_PKfPKi31ggml_cuda_mm_fusion_args_devicePfi15HIP_vector_typeIjLj3EEiiiSB_iiiSB_iiii,comdat
.Lfunc_end200:
	.size	_ZL13mul_mat_vec_fI6__halffLi1ELi160ELb1ELb0EEvPKT_PKfPKi31ggml_cuda_mm_fusion_args_devicePfi15HIP_vector_typeIjLj3EEiiiSB_iiiSB_iiii, .Lfunc_end200-_ZL13mul_mat_vec_fI6__halffLi1ELi160ELb1ELb0EEvPKT_PKfPKi31ggml_cuda_mm_fusion_args_devicePfi15HIP_vector_typeIjLj3EEiiiSB_iiiSB_iiii
                                        ; -- End function
	.set _ZL13mul_mat_vec_fI6__halffLi1ELi160ELb1ELb0EEvPKT_PKfPKi31ggml_cuda_mm_fusion_args_devicePfi15HIP_vector_typeIjLj3EEiiiSB_iiiSB_iiii.num_vgpr, 16
	.set _ZL13mul_mat_vec_fI6__halffLi1ELi160ELb1ELb0EEvPKT_PKfPKi31ggml_cuda_mm_fusion_args_devicePfi15HIP_vector_typeIjLj3EEiiiSB_iiiSB_iiii.num_agpr, 0
	.set _ZL13mul_mat_vec_fI6__halffLi1ELi160ELb1ELb0EEvPKT_PKfPKi31ggml_cuda_mm_fusion_args_devicePfi15HIP_vector_typeIjLj3EEiiiSB_iiiSB_iiii.numbered_sgpr, 40
	.set _ZL13mul_mat_vec_fI6__halffLi1ELi160ELb1ELb0EEvPKT_PKfPKi31ggml_cuda_mm_fusion_args_devicePfi15HIP_vector_typeIjLj3EEiiiSB_iiiSB_iiii.num_named_barrier, 0
	.set _ZL13mul_mat_vec_fI6__halffLi1ELi160ELb1ELb0EEvPKT_PKfPKi31ggml_cuda_mm_fusion_args_devicePfi15HIP_vector_typeIjLj3EEiiiSB_iiiSB_iiii.private_seg_size, 0
	.set _ZL13mul_mat_vec_fI6__halffLi1ELi160ELb1ELb0EEvPKT_PKfPKi31ggml_cuda_mm_fusion_args_devicePfi15HIP_vector_typeIjLj3EEiiiSB_iiiSB_iiii.uses_vcc, 1
	.set _ZL13mul_mat_vec_fI6__halffLi1ELi160ELb1ELb0EEvPKT_PKfPKi31ggml_cuda_mm_fusion_args_devicePfi15HIP_vector_typeIjLj3EEiiiSB_iiiSB_iiii.uses_flat_scratch, 0
	.set _ZL13mul_mat_vec_fI6__halffLi1ELi160ELb1ELb0EEvPKT_PKfPKi31ggml_cuda_mm_fusion_args_devicePfi15HIP_vector_typeIjLj3EEiiiSB_iiiSB_iiii.has_dyn_sized_stack, 0
	.set _ZL13mul_mat_vec_fI6__halffLi1ELi160ELb1ELb0EEvPKT_PKfPKi31ggml_cuda_mm_fusion_args_devicePfi15HIP_vector_typeIjLj3EEiiiSB_iiiSB_iiii.has_recursion, 0
	.set _ZL13mul_mat_vec_fI6__halffLi1ELi160ELb1ELb0EEvPKT_PKfPKi31ggml_cuda_mm_fusion_args_devicePfi15HIP_vector_typeIjLj3EEiiiSB_iiiSB_iiii.has_indirect_call, 0
	.section	.AMDGPU.csdata,"",@progbits
; Kernel info:
; codeLenInByte = 2284
; TotalNumSgprs: 42
; NumVgprs: 16
; ScratchSize: 0
; MemoryBound: 0
; FloatMode: 240
; IeeeMode: 1
; LDSByteSize: 0 bytes/workgroup (compile time only)
; SGPRBlocks: 0
; VGPRBlocks: 1
; NumSGPRsForWavesPerEU: 42
; NumVGPRsForWavesPerEU: 16
; Occupancy: 16
; WaveLimiterHint : 1
; COMPUTE_PGM_RSRC2:SCRATCH_EN: 0
; COMPUTE_PGM_RSRC2:USER_SGPR: 6
; COMPUTE_PGM_RSRC2:TRAP_HANDLER: 0
; COMPUTE_PGM_RSRC2:TGID_X_EN: 1
; COMPUTE_PGM_RSRC2:TGID_Y_EN: 1
; COMPUTE_PGM_RSRC2:TGID_Z_EN: 1
; COMPUTE_PGM_RSRC2:TIDIG_COMP_CNT: 0
	.section	.text._ZL13mul_mat_vec_fI6__halffLi1ELi160ELb0ELb0EEvPKT_PKfPKi31ggml_cuda_mm_fusion_args_devicePfi15HIP_vector_typeIjLj3EEiiiSB_iiiSB_iiii,"axG",@progbits,_ZL13mul_mat_vec_fI6__halffLi1ELi160ELb0ELb0EEvPKT_PKfPKi31ggml_cuda_mm_fusion_args_devicePfi15HIP_vector_typeIjLj3EEiiiSB_iiiSB_iiii,comdat
	.globl	_ZL13mul_mat_vec_fI6__halffLi1ELi160ELb0ELb0EEvPKT_PKfPKi31ggml_cuda_mm_fusion_args_devicePfi15HIP_vector_typeIjLj3EEiiiSB_iiiSB_iiii ; -- Begin function _ZL13mul_mat_vec_fI6__halffLi1ELi160ELb0ELb0EEvPKT_PKfPKi31ggml_cuda_mm_fusion_args_devicePfi15HIP_vector_typeIjLj3EEiiiSB_iiiSB_iiii
	.p2align	8
	.type	_ZL13mul_mat_vec_fI6__halffLi1ELi160ELb0ELb0EEvPKT_PKfPKi31ggml_cuda_mm_fusion_args_devicePfi15HIP_vector_typeIjLj3EEiiiSB_iiiSB_iiii,@function
_ZL13mul_mat_vec_fI6__halffLi1ELi160ELb0ELb0EEvPKT_PKfPKi31ggml_cuda_mm_fusion_args_devicePfi15HIP_vector_typeIjLj3EEiiiSB_iiiSB_iiii: ; @_ZL13mul_mat_vec_fI6__halffLi1ELi160ELb0ELb0EEvPKT_PKfPKi31ggml_cuda_mm_fusion_args_devicePfi15HIP_vector_typeIjLj3EEiiiSB_iiiSB_iiii
; %bb.0:
	s_clause 0x2
	s_load_dwordx2 s[2:3], s[4:5], 0x10
	s_load_dwordx4 s[20:23], s[4:5], 0x40
	s_load_dwordx4 s[12:15], s[4:5], 0x80
	s_waitcnt lgkmcnt(0)
	s_cmp_eq_u64 s[2:3], 0
	s_cselect_b32 s9, -1, 0
	s_cmp_lg_u64 s[2:3], 0
	s_cselect_b32 s10, -1, 0
	s_and_b32 vcc_lo, exec_lo, s9
	s_cbranch_vccnz .LBB201_2
; %bb.1:
	s_mul_i32 s0, s15, s8
	s_mov_b32 s1, 0
	s_add_i32 s0, s0, s7
	s_lshl_b64 s[16:17], s[0:1], 2
	s_add_u32 s2, s2, s16
	s_addc_u32 s3, s3, s17
	s_load_dword s24, s[2:3], 0x0
	s_load_dword s25, s[4:5], 0x50
	s_cbranch_execz .LBB201_3
	s_branch .LBB201_4
.LBB201_2:
                                        ; implicit-def: $sgpr24
	s_load_dword s25, s[4:5], 0x50
.LBB201_3:
	s_load_dwordx2 s[0:1], s[4:5], 0x5c
	s_waitcnt lgkmcnt(0)
	s_mul_hi_u32 s0, s0, s7
	s_add_i32 s0, s7, s0
	s_lshr_b32 s24, s0, s1
.LBB201_4:
	s_load_dwordx4 s[16:19], s[4:5], 0x68
	s_andn2_b32 vcc_lo, exec_lo, s10
	s_mov_b32 s26, s7
	s_cbranch_vccnz .LBB201_6
; %bb.5:
	s_mul_hi_u32 s0, s21, s7
	s_add_i32 s0, s7, s0
	s_lshr_b32 s0, s0, s22
	s_mul_i32 s0, s0, s23
	s_sub_i32 s26, s7, s0
.LBB201_6:
	s_load_dword s1, s[4:5], 0x78
	v_cmp_gt_u32_e32 vcc_lo, 32, v0
	v_lshl_add_u32 v5, v0, 2, 0
	s_and_saveexec_b32 s0, vcc_lo
; %bb.7:
	v_mov_b32_e32 v1, 0
	ds_write_b32 v5, v1
; %bb.8:
	s_or_b32 exec_lo, exec_lo, s0
	v_mov_b32_e32 v6, 0
	s_and_b32 s0, exec_lo, s9
	s_mov_b32 s3, 0
	s_cselect_b32 s2, s8, 0
	s_mov_b32 s15, exec_lo
	s_waitcnt lgkmcnt(0)
	s_barrier
	buffer_gl0_inv
	v_cmpx_gt_i32_e64 s20, v0
	s_cbranch_execz .LBB201_12
; %bb.9:
	s_load_dwordx4 s[8:11], s[4:5], 0x0
	s_mul_hi_u32 s0, s19, s2
	s_mul_i32 s16, s24, s16
	s_mul_i32 s24, s26, s17
	;; [unrolled: 1-line block ×3, first 2 shown]
	s_add_i32 s0, s2, s0
	s_ashr_i32 s25, s24, 31
	s_mul_hi_i32 s27, s2, s13
	s_mul_i32 s26, s2, s13
	s_lshr_b32 s19, s0, s1
	s_lshl_b64 s[0:1], s[24:25], 2
	v_lshlrev_b32_e32 v1, 3, v0
	s_ashr_i32 s17, s16, 31
	s_ashr_i32 s23, s22, 31
	s_lshl_b64 s[26:27], s[26:27], 2
	s_mul_hi_i32 s13, s19, s12
	s_mul_i32 s12, s19, s12
	v_lshlrev_b32_e32 v3, 2, v0
	v_mov_b32_e32 v6, 0
	v_mov_b32_e32 v7, v0
	s_waitcnt lgkmcnt(0)
	s_add_u32 s0, s10, s0
	s_addc_u32 s1, s11, s1
	s_add_u32 s0, s0, s26
	s_addc_u32 s1, s1, s27
	v_add_co_u32 v1, s0, s0, v1
	v_add_co_ci_u32_e64 v2, null, s1, 0, s0
	s_lshl_b64 s[10:11], s[12:13], 1
	v_add_co_u32 v1, s0, v1, 4
	v_add_co_ci_u32_e64 v2, null, 0, v2, s0
	s_lshl_b64 s[0:1], s[16:17], 1
	s_lshl_b64 s[12:13], s[22:23], 1
	s_add_u32 s0, s8, s0
	s_addc_u32 s1, s9, s1
	s_add_u32 s0, s0, s12
	s_addc_u32 s1, s1, s13
	;; [unrolled: 2-line block ×3, first 2 shown]
	v_add_co_u32 v3, s0, s0, v3
	v_add_co_ci_u32_e64 v4, null, s1, 0, s0
	.p2align	6
.LBB201_10:                             ; =>This Inner Loop Header: Depth=1
	global_load_dword v10, v[3:4], off
	global_load_dwordx2 v[8:9], v[1:2], off offset:-4
	v_add_nc_u32_e32 v7, 0xa0, v7
	v_add_co_u32 v1, s0, 0x500, v1
	v_add_co_ci_u32_e64 v2, null, 0, v2, s0
	v_add_co_u32 v3, s0, 0x280, v3
	v_cmp_le_i32_e64 s1, s20, v7
	v_add_co_ci_u32_e64 v4, null, 0, v4, s0
	s_or_b32 s3, s1, s3
	s_waitcnt vmcnt(0)
	v_fma_mix_f32 v6, v8, v10, v6 op_sel_hi:[0,1,0]
	v_fma_mix_f32 v6, v9, v10, v6 op_sel:[0,1,0] op_sel_hi:[0,1,0]
	s_andn2_b32 exec_lo, exec_lo, s3
	s_cbranch_execnz .LBB201_10
; %bb.11:
	s_or_b32 exec_lo, exec_lo, s3
.LBB201_12:
	s_or_b32 exec_lo, exec_lo, s15
	v_mbcnt_lo_u32_b32 v2, -1, 0
	v_xor_b32_e32 v1, 16, v2
	v_xor_b32_e32 v3, 8, v2
	v_cmp_gt_i32_e64 s0, 32, v1
	v_cndmask_b32_e64 v1, v2, v1, s0
	v_cmp_gt_i32_e64 s0, 32, v3
	v_lshlrev_b32_e32 v1, 2, v1
	v_cndmask_b32_e64 v3, v2, v3, s0
	ds_bpermute_b32 v4, v1, v6
	v_lshlrev_b32_e32 v3, 2, v3
	s_waitcnt lgkmcnt(0)
	v_add_f32_e32 v6, v6, v4
	v_xor_b32_e32 v4, 4, v2
	ds_bpermute_b32 v7, v3, v6
	v_cmp_gt_i32_e64 s0, 32, v4
	v_cndmask_b32_e64 v4, v2, v4, s0
	v_lshlrev_b32_e32 v4, 2, v4
	s_waitcnt lgkmcnt(0)
	v_add_f32_e32 v7, v6, v7
	v_xor_b32_e32 v6, 2, v2
	ds_bpermute_b32 v8, v4, v7
	v_cmp_gt_i32_e64 s0, 32, v6
	v_cndmask_b32_e64 v6, v2, v6, s0
	;; [unrolled: 7-line block ×3, first 2 shown]
	v_lshlrev_b32_e32 v7, 2, v2
	s_waitcnt lgkmcnt(0)
	v_add_f32_e32 v2, v8, v9
	v_lshrrev_b32_e32 v9, 3, v0
	ds_bpermute_b32 v8, v7, v2
	v_and_b32_e32 v9, 0x7c, v9
	v_add_nc_u32_e32 v9, 0, v9
	s_waitcnt lgkmcnt(0)
	v_add_f32_e32 v2, v2, v8
	ds_write_b32 v9, v2
	s_waitcnt lgkmcnt(0)
	s_barrier
	buffer_gl0_inv
	s_and_saveexec_b32 s0, vcc_lo
	s_cbranch_execz .LBB201_14
; %bb.13:
	ds_read_b32 v2, v5
	s_waitcnt lgkmcnt(0)
	ds_bpermute_b32 v1, v1, v2
	s_waitcnt lgkmcnt(0)
	v_add_f32_e32 v1, v2, v1
	ds_bpermute_b32 v2, v3, v1
	s_waitcnt lgkmcnt(0)
	v_add_f32_e32 v1, v1, v2
	;; [unrolled: 3-line block ×5, first 2 shown]
.LBB201_14:
	s_or_b32 exec_lo, exec_lo, s0
	s_barrier
	buffer_gl0_inv
	s_mov_b32 s0, exec_lo
	v_cmpx_eq_u32_e32 0, v0
	s_cbranch_execz .LBB201_16
; %bb.15:
	s_load_dwordx2 s[0:1], s[4:5], 0x38
	s_mul_hi_i32 s3, s14, s2
	s_mul_i32 s2, s14, s2
	s_mul_i32 s4, s18, s7
	s_lshl_b64 s[2:3], s[2:3], 2
	s_ashr_i32 s5, s4, 31
	v_mov_b32_e32 v0, 0
	s_waitcnt lgkmcnt(0)
	s_add_u32 s2, s0, s2
	s_addc_u32 s3, s1, s3
	s_lshl_b64 s[0:1], s[4:5], 2
	s_add_u32 s2, s2, s0
	s_addc_u32 s3, s3, s1
	s_ashr_i32 s7, s6, 31
	s_lshl_b64 s[0:1], s[6:7], 2
	s_add_u32 s0, s2, s0
	s_addc_u32 s1, s3, s1
	global_store_dword v0, v2, s[0:1]
.LBB201_16:
	s_endpgm
	.section	.rodata,"a",@progbits
	.p2align	6, 0x0
	.amdhsa_kernel _ZL13mul_mat_vec_fI6__halffLi1ELi160ELb0ELb0EEvPKT_PKfPKi31ggml_cuda_mm_fusion_args_devicePfi15HIP_vector_typeIjLj3EEiiiSB_iiiSB_iiii
		.amdhsa_group_segment_fixed_size 0
		.amdhsa_private_segment_fixed_size 0
		.amdhsa_kernarg_size 144
		.amdhsa_user_sgpr_count 6
		.amdhsa_user_sgpr_private_segment_buffer 1
		.amdhsa_user_sgpr_dispatch_ptr 0
		.amdhsa_user_sgpr_queue_ptr 0
		.amdhsa_user_sgpr_kernarg_segment_ptr 1
		.amdhsa_user_sgpr_dispatch_id 0
		.amdhsa_user_sgpr_flat_scratch_init 0
		.amdhsa_user_sgpr_private_segment_size 0
		.amdhsa_wavefront_size32 1
		.amdhsa_uses_dynamic_stack 0
		.amdhsa_system_sgpr_private_segment_wavefront_offset 0
		.amdhsa_system_sgpr_workgroup_id_x 1
		.amdhsa_system_sgpr_workgroup_id_y 1
		.amdhsa_system_sgpr_workgroup_id_z 1
		.amdhsa_system_sgpr_workgroup_info 0
		.amdhsa_system_vgpr_workitem_id 0
		.amdhsa_next_free_vgpr 11
		.amdhsa_next_free_sgpr 28
		.amdhsa_reserve_vcc 1
		.amdhsa_reserve_flat_scratch 0
		.amdhsa_float_round_mode_32 0
		.amdhsa_float_round_mode_16_64 0
		.amdhsa_float_denorm_mode_32 3
		.amdhsa_float_denorm_mode_16_64 3
		.amdhsa_dx10_clamp 1
		.amdhsa_ieee_mode 1
		.amdhsa_fp16_overflow 0
		.amdhsa_workgroup_processor_mode 1
		.amdhsa_memory_ordered 1
		.amdhsa_forward_progress 1
		.amdhsa_shared_vgpr_count 0
		.amdhsa_exception_fp_ieee_invalid_op 0
		.amdhsa_exception_fp_denorm_src 0
		.amdhsa_exception_fp_ieee_div_zero 0
		.amdhsa_exception_fp_ieee_overflow 0
		.amdhsa_exception_fp_ieee_underflow 0
		.amdhsa_exception_fp_ieee_inexact 0
		.amdhsa_exception_int_div_zero 0
	.end_amdhsa_kernel
	.section	.text._ZL13mul_mat_vec_fI6__halffLi1ELi160ELb0ELb0EEvPKT_PKfPKi31ggml_cuda_mm_fusion_args_devicePfi15HIP_vector_typeIjLj3EEiiiSB_iiiSB_iiii,"axG",@progbits,_ZL13mul_mat_vec_fI6__halffLi1ELi160ELb0ELb0EEvPKT_PKfPKi31ggml_cuda_mm_fusion_args_devicePfi15HIP_vector_typeIjLj3EEiiiSB_iiiSB_iiii,comdat
.Lfunc_end201:
	.size	_ZL13mul_mat_vec_fI6__halffLi1ELi160ELb0ELb0EEvPKT_PKfPKi31ggml_cuda_mm_fusion_args_devicePfi15HIP_vector_typeIjLj3EEiiiSB_iiiSB_iiii, .Lfunc_end201-_ZL13mul_mat_vec_fI6__halffLi1ELi160ELb0ELb0EEvPKT_PKfPKi31ggml_cuda_mm_fusion_args_devicePfi15HIP_vector_typeIjLj3EEiiiSB_iiiSB_iiii
                                        ; -- End function
	.set _ZL13mul_mat_vec_fI6__halffLi1ELi160ELb0ELb0EEvPKT_PKfPKi31ggml_cuda_mm_fusion_args_devicePfi15HIP_vector_typeIjLj3EEiiiSB_iiiSB_iiii.num_vgpr, 11
	.set _ZL13mul_mat_vec_fI6__halffLi1ELi160ELb0ELb0EEvPKT_PKfPKi31ggml_cuda_mm_fusion_args_devicePfi15HIP_vector_typeIjLj3EEiiiSB_iiiSB_iiii.num_agpr, 0
	.set _ZL13mul_mat_vec_fI6__halffLi1ELi160ELb0ELb0EEvPKT_PKfPKi31ggml_cuda_mm_fusion_args_devicePfi15HIP_vector_typeIjLj3EEiiiSB_iiiSB_iiii.numbered_sgpr, 28
	.set _ZL13mul_mat_vec_fI6__halffLi1ELi160ELb0ELb0EEvPKT_PKfPKi31ggml_cuda_mm_fusion_args_devicePfi15HIP_vector_typeIjLj3EEiiiSB_iiiSB_iiii.num_named_barrier, 0
	.set _ZL13mul_mat_vec_fI6__halffLi1ELi160ELb0ELb0EEvPKT_PKfPKi31ggml_cuda_mm_fusion_args_devicePfi15HIP_vector_typeIjLj3EEiiiSB_iiiSB_iiii.private_seg_size, 0
	.set _ZL13mul_mat_vec_fI6__halffLi1ELi160ELb0ELb0EEvPKT_PKfPKi31ggml_cuda_mm_fusion_args_devicePfi15HIP_vector_typeIjLj3EEiiiSB_iiiSB_iiii.uses_vcc, 1
	.set _ZL13mul_mat_vec_fI6__halffLi1ELi160ELb0ELb0EEvPKT_PKfPKi31ggml_cuda_mm_fusion_args_devicePfi15HIP_vector_typeIjLj3EEiiiSB_iiiSB_iiii.uses_flat_scratch, 0
	.set _ZL13mul_mat_vec_fI6__halffLi1ELi160ELb0ELb0EEvPKT_PKfPKi31ggml_cuda_mm_fusion_args_devicePfi15HIP_vector_typeIjLj3EEiiiSB_iiiSB_iiii.has_dyn_sized_stack, 0
	.set _ZL13mul_mat_vec_fI6__halffLi1ELi160ELb0ELb0EEvPKT_PKfPKi31ggml_cuda_mm_fusion_args_devicePfi15HIP_vector_typeIjLj3EEiiiSB_iiiSB_iiii.has_recursion, 0
	.set _ZL13mul_mat_vec_fI6__halffLi1ELi160ELb0ELb0EEvPKT_PKfPKi31ggml_cuda_mm_fusion_args_devicePfi15HIP_vector_typeIjLj3EEiiiSB_iiiSB_iiii.has_indirect_call, 0
	.section	.AMDGPU.csdata,"",@progbits
; Kernel info:
; codeLenInByte = 1084
; TotalNumSgprs: 30
; NumVgprs: 11
; ScratchSize: 0
; MemoryBound: 0
; FloatMode: 240
; IeeeMode: 1
; LDSByteSize: 0 bytes/workgroup (compile time only)
; SGPRBlocks: 0
; VGPRBlocks: 1
; NumSGPRsForWavesPerEU: 30
; NumVGPRsForWavesPerEU: 11
; Occupancy: 16
; WaveLimiterHint : 0
; COMPUTE_PGM_RSRC2:SCRATCH_EN: 0
; COMPUTE_PGM_RSRC2:USER_SGPR: 6
; COMPUTE_PGM_RSRC2:TRAP_HANDLER: 0
; COMPUTE_PGM_RSRC2:TGID_X_EN: 1
; COMPUTE_PGM_RSRC2:TGID_Y_EN: 1
; COMPUTE_PGM_RSRC2:TGID_Z_EN: 1
; COMPUTE_PGM_RSRC2:TIDIG_COMP_CNT: 0
	.section	.text._ZL13mul_mat_vec_fI6__halffLi1ELi192ELb1ELb0EEvPKT_PKfPKi31ggml_cuda_mm_fusion_args_devicePfi15HIP_vector_typeIjLj3EEiiiSB_iiiSB_iiii,"axG",@progbits,_ZL13mul_mat_vec_fI6__halffLi1ELi192ELb1ELb0EEvPKT_PKfPKi31ggml_cuda_mm_fusion_args_devicePfi15HIP_vector_typeIjLj3EEiiiSB_iiiSB_iiii,comdat
	.globl	_ZL13mul_mat_vec_fI6__halffLi1ELi192ELb1ELb0EEvPKT_PKfPKi31ggml_cuda_mm_fusion_args_devicePfi15HIP_vector_typeIjLj3EEiiiSB_iiiSB_iiii ; -- Begin function _ZL13mul_mat_vec_fI6__halffLi1ELi192ELb1ELb0EEvPKT_PKfPKi31ggml_cuda_mm_fusion_args_devicePfi15HIP_vector_typeIjLj3EEiiiSB_iiiSB_iiii
	.p2align	8
	.type	_ZL13mul_mat_vec_fI6__halffLi1ELi192ELb1ELb0EEvPKT_PKfPKi31ggml_cuda_mm_fusion_args_devicePfi15HIP_vector_typeIjLj3EEiiiSB_iiiSB_iiii,@function
_ZL13mul_mat_vec_fI6__halffLi1ELi192ELb1ELb0EEvPKT_PKfPKi31ggml_cuda_mm_fusion_args_devicePfi15HIP_vector_typeIjLj3EEiiiSB_iiiSB_iiii: ; @_ZL13mul_mat_vec_fI6__halffLi1ELi192ELb1ELb0EEvPKT_PKfPKi31ggml_cuda_mm_fusion_args_devicePfi15HIP_vector_typeIjLj3EEiiiSB_iiiSB_iiii
; %bb.0:
	s_clause 0x3
	s_load_dwordx8 s[12:19], s[4:5], 0x0
	s_load_dwordx4 s[24:27], s[4:5], 0x20
	s_load_dwordx4 s[36:39], s[4:5], 0x40
	;; [unrolled: 1-line block ×3, first 2 shown]
	s_mov_b32 s0, s7
	s_waitcnt lgkmcnt(0)
	s_cmp_eq_u64 s[16:17], 0
	s_cselect_b32 s11, -1, 0
	s_cmp_lg_u64 s[16:17], 0
	s_cselect_b32 s1, -1, 0
	s_and_b32 vcc_lo, exec_lo, s11
	s_cbranch_vccnz .LBB202_2
; %bb.1:
	s_mul_i32 s2, s31, s8
	s_mov_b32 s3, 0
	s_add_i32 s2, s2, s0
	s_lshl_b64 s[20:21], s[2:3], 2
	s_add_u32 s16, s16, s20
	s_addc_u32 s17, s17, s21
	s_load_dword s7, s[16:17], 0x0
	s_load_dword s16, s[4:5], 0x50
	s_waitcnt lgkmcnt(0)
	s_mov_b32 s3, s7
	s_cbranch_execz .LBB202_3
	s_branch .LBB202_4
.LBB202_2:
                                        ; implicit-def: $sgpr7
	s_load_dword s16, s[4:5], 0x50
	s_mov_b32 s3, s7
.LBB202_3:
	s_load_dwordx2 s[2:3], s[4:5], 0x5c
	s_mov_b32 s7, s0
	s_waitcnt lgkmcnt(0)
	s_mul_hi_u32 s2, s2, s0
	s_add_i32 s2, s0, s2
	s_lshr_b32 s3, s2, s3
.LBB202_4:
	s_load_dwordx4 s[20:23], s[4:5], 0x68
	s_andn2_b32 vcc_lo, exec_lo, s1
	s_mov_b32 s17, s0
	s_cbranch_vccnz .LBB202_6
; %bb.5:
	s_mul_hi_u32 s1, s37, s0
	s_add_i32 s1, s0, s1
	s_lshr_b32 s1, s1, s38
	s_mul_i32 s1, s1, s39
	s_sub_i32 s17, s0, s1
.LBB202_6:
	s_load_dword s31, s[4:5], 0x78
	s_cmp_lg_u64 s[24:25], 0
	v_cmp_gt_u32_e64 s2, 32, v0
	v_lshl_add_u32 v8, v0, 2, 0
	s_cselect_b32 s1, -1, 0
	s_cmp_eq_u64 s[24:25], 0
	s_cselect_b32 s9, -1, 0
	s_and_saveexec_b32 s10, s2
	s_cbranch_execz .LBB202_9
; %bb.7:
	v_mov_b32_e32 v1, 0
	s_andn2_b32 vcc_lo, exec_lo, s1
	ds_write_b32 v8, v1
	s_cbranch_vccnz .LBB202_9
; %bb.8:
	ds_write_b32 v8, v1 offset:128
.LBB202_9:
	s_or_b32 exec_lo, exec_lo, s10
	v_mov_b32_e32 v7, 0
	v_mov_b32_e32 v9, 0
	s_and_b32 s11, exec_lo, s11
	s_mov_b32 s10, 0
	s_cselect_b32 s11, s8, 0
	s_mov_b32 s8, exec_lo
	s_waitcnt lgkmcnt(0)
	s_barrier
	buffer_gl0_inv
	v_cmpx_gt_i32_e64 s36, v0
	s_cbranch_execz .LBB202_16
; %bb.10:
	s_mul_hi_u32 s23, s23, s11
	s_mul_i32 s3, s3, s20
	s_add_i32 s23, s11, s23
	s_mul_i32 s16, s16, s6
	s_lshr_b32 s20, s23, s31
	s_ashr_i32 s31, s16, 31
	s_mul_hi_i32 s23, s20, s28
	s_mul_i32 s20, s20, s28
	s_ashr_i32 s28, s3, 31
	s_add_u32 s16, s20, s16
	s_addc_u32 s23, s23, s31
	s_mul_i32 s20, s17, s21
	s_add_u32 s16, s16, s3
	s_addc_u32 s17, s23, s28
	s_ashr_i32 s21, s20, 31
	s_and_b32 s3, s1, exec_lo
	s_cselect_b32 s3, s25, 0
	s_cselect_b32 s23, s24, 0
	;; [unrolled: 1-line block ×4, first 2 shown]
	v_lshlrev_b32_e32 v5, 2, v0
	s_lshl_b64 s[24:25], s[24:25], 1
	v_lshlrev_b32_e32 v3, 3, v0
	s_add_u32 s23, s23, s24
	s_addc_u32 s3, s3, s25
	s_mul_hi_i32 s25, s11, s29
	s_mul_i32 s24, s11, s29
	v_add_co_u32 v1, s23, s23, v5
	s_lshl_b64 s[20:21], s[20:21], 2
	s_lshl_b64 s[24:25], s[24:25], 2
	v_add_co_ci_u32_e64 v2, null, s3, 0, s23
	s_add_u32 s3, s14, s20
	s_addc_u32 s14, s15, s21
	s_add_u32 s3, s3, s24
	s_addc_u32 s14, s14, s25
	v_add_co_u32 v3, s3, s3, v3
	v_add_co_ci_u32_e64 v4, null, s14, 0, s3
	s_lshl_b64 s[14:15], s[16:17], 1
	v_add_co_u32 v3, vcc_lo, v3, 4
	s_add_u32 s3, s12, s14
	s_addc_u32 s12, s13, s15
	v_add_co_u32 v5, s3, s3, v5
	v_mov_b32_e32 v7, 0
	v_add_co_ci_u32_e64 v4, null, 0, v4, vcc_lo
	v_add_co_ci_u32_e64 v6, null, s12, 0, s3
	v_mov_b32_e32 v10, v0
	v_mov_b32_e32 v9, 0
	s_inst_prefetch 0x1
	s_branch .LBB202_13
	.p2align	6
.LBB202_11:                             ;   in Loop: Header=BB202_13 Depth=1
	global_load_dword v12, v[1:2], off
	s_waitcnt vmcnt(0)
	v_cvt_f32_f16_e32 v13, v12
	v_cvt_f32_f16_sdwa v12, v12 dst_sel:DWORD dst_unused:UNUSED_PAD src0_sel:WORD_1
.LBB202_12:                             ;   in Loop: Header=BB202_13 Depth=1
	global_load_dwordx2 v[14:15], v[3:4], off offset:-4
	v_add_nc_u32_e32 v10, 0xc0, v10
	v_add_co_u32 v1, vcc_lo, 0x300, v1
	v_add_co_ci_u32_e64 v2, null, 0, v2, vcc_lo
	v_add_co_u32 v3, vcc_lo, 0x600, v3
	v_add_co_ci_u32_e64 v4, null, 0, v4, vcc_lo
	v_cmp_le_i32_e32 vcc_lo, s36, v10
	v_add_co_u32 v5, s3, 0x300, v5
	v_add_co_ci_u32_e64 v6, null, 0, v6, s3
	s_or_b32 s10, vcc_lo, s10
	s_waitcnt vmcnt(0)
	v_fma_f32 v13, v14, v13, v7
	v_fma_mix_f32 v9, v14, v11, v9 op_sel_hi:[0,1,0]
	v_fmac_f32_e32 v13, v15, v12
	v_fma_mix_f32 v9, v15, v11, v9 op_sel:[0,1,0] op_sel_hi:[0,1,0]
	v_cndmask_b32_e64 v7, v7, v13, s1
	s_andn2_b32 exec_lo, exec_lo, s10
	s_cbranch_execz .LBB202_15
.LBB202_13:                             ; =>This Inner Loop Header: Depth=1
	global_load_dword v11, v[5:6], off
	s_andn2_b32 vcc_lo, exec_lo, s1
	s_cbranch_vccz .LBB202_11
; %bb.14:                               ;   in Loop: Header=BB202_13 Depth=1
	v_mov_b32_e32 v12, 0
	v_mov_b32_e32 v13, 0
	s_branch .LBB202_12
.LBB202_15:
	s_inst_prefetch 0x2
	s_or_b32 exec_lo, exec_lo, s10
.LBB202_16:
	s_or_b32 exec_lo, exec_lo, s8
	v_mbcnt_lo_u32_b32 v1, -1, 0
	s_load_dword s10, s[4:5], 0x30
	s_mov_b32 s3, -1
	v_xor_b32_e32 v2, 16, v1
	v_xor_b32_e32 v3, 8, v1
	v_cmp_gt_i32_e32 vcc_lo, 32, v2
	v_cndmask_b32_e32 v2, v1, v2, vcc_lo
	v_cmp_gt_i32_e32 vcc_lo, 32, v3
	v_lshlrev_b32_e32 v2, 2, v2
	v_cndmask_b32_e32 v3, v1, v3, vcc_lo
	ds_bpermute_b32 v4, v2, v9
	v_lshlrev_b32_e32 v3, 2, v3
	s_waitcnt lgkmcnt(0)
	v_add_f32_e32 v5, v9, v4
	v_xor_b32_e32 v4, 4, v1
	ds_bpermute_b32 v6, v3, v5
	v_cmp_gt_i32_e32 vcc_lo, 32, v4
	v_cndmask_b32_e32 v4, v1, v4, vcc_lo
	v_lshlrev_b32_e32 v4, 2, v4
	s_waitcnt lgkmcnt(0)
	v_add_f32_e32 v6, v5, v6
	v_xor_b32_e32 v5, 2, v1
	ds_bpermute_b32 v9, v4, v6
	v_cmp_gt_i32_e32 vcc_lo, 32, v5
	v_cndmask_b32_e32 v5, v1, v5, vcc_lo
	;; [unrolled: 7-line block ×3, first 2 shown]
	s_and_b32 vcc_lo, exec_lo, s9
	v_lshlrev_b32_e32 v6, 2, v1
	s_waitcnt lgkmcnt(0)
	v_add_f32_e32 v1, v9, v10
	v_lshrrev_b32_e32 v10, 5, v0
	ds_bpermute_b32 v9, v6, v1
	s_waitcnt lgkmcnt(0)
	v_add_f32_e32 v1, v1, v9
	v_lshl_add_u32 v9, v10, 2, 0
	s_cbranch_vccz .LBB202_18
; %bb.17:
	s_mov_b32 s3, 0
	ds_write_b32 v9, v1
.LBB202_18:
	s_andn2_b32 vcc_lo, exec_lo, s3
	s_cbranch_vccnz .LBB202_20
; %bb.19:
	ds_bpermute_b32 v10, v2, v7
	s_waitcnt lgkmcnt(0)
	v_add_f32_e32 v7, v7, v10
	ds_bpermute_b32 v10, v3, v7
	s_waitcnt lgkmcnt(0)
	v_add_f32_e32 v7, v7, v10
	;; [unrolled: 3-line block ×5, first 2 shown]
	ds_write2_b32 v9, v1, v7 offset1:32
.LBB202_20:
	s_waitcnt lgkmcnt(0)
	s_barrier
	buffer_gl0_inv
	s_and_saveexec_b32 s3, s2
	s_cbranch_execz .LBB202_24
; %bb.21:
	ds_read_b32 v1, v8
	s_andn2_b32 vcc_lo, exec_lo, s1
	s_waitcnt lgkmcnt(0)
	ds_bpermute_b32 v9, v2, v1
	s_waitcnt lgkmcnt(0)
	v_add_f32_e32 v1, v1, v9
	ds_bpermute_b32 v9, v3, v1
	s_waitcnt lgkmcnt(0)
	v_add_f32_e32 v1, v1, v9
	;; [unrolled: 3-line block ×4, first 2 shown]
	ds_bpermute_b32 v9, v6, v1
	s_cbranch_vccnz .LBB202_23
; %bb.22:
	ds_read_b32 v7, v8 offset:128
	s_waitcnt lgkmcnt(0)
	ds_bpermute_b32 v2, v2, v7
	s_waitcnt lgkmcnt(0)
	v_add_f32_e32 v2, v7, v2
	ds_bpermute_b32 v3, v3, v2
	s_waitcnt lgkmcnt(0)
	v_add_f32_e32 v2, v2, v3
	;; [unrolled: 3-line block ×5, first 2 shown]
.LBB202_23:
	s_waitcnt lgkmcnt(0)
	v_add_f32_e32 v1, v1, v9
.LBB202_24:
	s_or_b32 exec_lo, exec_lo, s3
	s_barrier
	buffer_gl0_inv
	s_mov_b32 s2, exec_lo
	v_cmpx_eq_u32_e32 0, v0
	s_cbranch_execz .LBB202_48
; %bb.25:
	s_cmp_eq_u64 s[18:19], 0
	s_mul_i32 s8, s7, s22
	s_cselect_b32 s2, -1, 0
	s_ashr_i32 s9, s8, 31
	s_mul_hi_i32 s3, s30, s11
	s_and_b32 vcc_lo, exec_lo, s2
	s_mul_i32 s2, s30, s11
	s_cbranch_vccnz .LBB202_27
; %bb.26:
	s_cselect_b32 s7, 0, s19
	s_cselect_b32 s11, 0, s18
	s_lshl_b64 s[12:13], s[2:3], 2
	s_add_u32 s11, s11, s12
	s_addc_u32 s7, s7, s13
	s_lshl_b64 s[12:13], s[8:9], 2
	s_add_u32 s11, s11, s12
	s_addc_u32 s14, s7, s13
	s_ashr_i32 s7, s6, 31
	s_lshl_b64 s[12:13], s[6:7], 2
	s_add_u32 s12, s11, s12
	s_addc_u32 s13, s14, s13
	s_load_dword s7, s[12:13], 0x0
	s_waitcnt lgkmcnt(0)
	v_add_f32_e32 v1, s7, v1
.LBB202_27:
	s_andn2_b32 vcc_lo, exec_lo, s1
	s_cbranch_vccnz .LBB202_47
; %bb.28:
	s_cmp_lg_u64 s[26:27], 0
	s_cselect_b32 s7, -1, 0
	s_and_b32 s1, s7, s1
	s_andn2_b32 vcc_lo, exec_lo, s1
	s_cbranch_vccnz .LBB202_30
; %bb.29:
	s_and_b32 s1, s7, exec_lo
	s_cselect_b32 s1, s27, 0
	s_cselect_b32 s7, s26, 0
	s_lshl_b64 s[12:13], s[2:3], 2
	s_add_u32 s7, s7, s12
	s_addc_u32 s1, s1, s13
	s_lshl_b64 s[8:9], s[8:9], 2
	s_add_u32 s11, s7, s8
	s_addc_u32 s1, s1, s9
	s_ashr_i32 s7, s6, 31
	s_lshl_b64 s[8:9], s[6:7], 2
	s_add_u32 s8, s11, s8
	s_addc_u32 s9, s1, s9
	s_load_dword s1, s[8:9], 0x0
	s_waitcnt lgkmcnt(0)
	v_add_f32_e32 v7, s1, v7
.LBB202_30:
	s_cmp_lt_i32 s10, 2
	s_cbranch_scc1 .LBB202_35
; %bb.31:
	s_cmp_lt_i32 s10, 3
	s_cbranch_scc1 .LBB202_36
; %bb.32:
	v_mov_b32_e32 v0, v1
	s_cmp_eq_u32 s10, 3
	s_cbranch_scc0 .LBB202_34
; %bb.33:
	v_max_f32_e32 v0, v7, v7
	v_min_f32_e32 v0, 0x40e00000, v0
	v_mul_f32_e32 v2, 0xbfd9db23, v0
	v_mul_f32_e32 v3, 0x3fb8aa3b, v2
	v_cmp_ngt_f32_e32 vcc_lo, 0xc2ce8ed0, v2
	v_fma_f32 v4, 0x3fb8aa3b, v2, -v3
	v_rndne_f32_e32 v5, v3
	v_fmamk_f32 v4, v2, 0x32a5705f, v4
	v_sub_f32_e32 v3, v3, v5
	v_add_f32_e32 v3, v3, v4
	v_cvt_i32_f32_e32 v4, v5
	v_exp_f32_e32 v3, v3
	v_ldexp_f32 v3, v3, v4
	v_cndmask_b32_e32 v3, 0, v3, vcc_lo
	v_cmp_nlt_f32_e32 vcc_lo, 0x42b17218, v2
	v_cndmask_b32_e32 v2, 0x7f800000, v3, vcc_lo
	v_add_f32_e32 v2, 1.0, v2
	v_div_scale_f32 v3, null, v2, v2, v0
	v_div_scale_f32 v6, vcc_lo, v0, v2, v0
	v_rcp_f32_e32 v4, v3
	v_fma_f32 v5, -v3, v4, 1.0
	v_fmac_f32_e32 v4, v5, v4
	v_mul_f32_e32 v5, v6, v4
	v_fma_f32 v8, -v3, v5, v6
	v_fmac_f32_e32 v5, v8, v4
	v_max_f32_e32 v8, v1, v1
	v_fma_f32 v3, -v3, v5, v6
	v_min_f32_e32 v6, 0x40e00000, v8
	v_div_fmas_f32 v3, v3, v4, v5
	v_max_f32_e32 v4, 0xc0e00000, v6
	v_div_fixup_f32 v0, v3, v2, v0
	v_add_f32_e32 v2, 1.0, v4
	v_mul_f32_e32 v0, v2, v0
.LBB202_34:
	s_cbranch_execz .LBB202_37
	s_branch .LBB202_38
.LBB202_35:
                                        ; implicit-def: $vgpr0
	s_branch .LBB202_39
.LBB202_36:
                                        ; implicit-def: $vgpr0
.LBB202_37:
	v_mul_f32_e32 v0, 0xbfb8aa3b, v7
	v_cmp_nlt_f32_e32 vcc_lo, 0x42ce8ed0, v7
	v_rndne_f32_e32 v2, v0
	v_fma_f32 v3, 0xbfb8aa3b, v7, -v0
	v_sub_f32_e32 v0, v0, v2
	v_fmamk_f32 v3, v7, 0xb2a5705f, v3
	v_cvt_i32_f32_e32 v2, v2
	v_add_f32_e32 v0, v0, v3
	v_exp_f32_e32 v0, v0
	v_ldexp_f32 v0, v0, v2
	v_cndmask_b32_e32 v0, 0, v0, vcc_lo
	v_cmp_ngt_f32_e32 vcc_lo, 0xc2b17218, v7
	v_cndmask_b32_e32 v0, 0x7f800000, v0, vcc_lo
	v_add_f32_e32 v0, 1.0, v0
	v_div_scale_f32 v2, null, v0, v0, v7
	v_rcp_f32_e32 v3, v2
	v_fma_f32 v4, -v2, v3, 1.0
	v_fmac_f32_e32 v3, v4, v3
	v_div_scale_f32 v4, vcc_lo, v7, v0, v7
	v_mul_f32_e32 v5, v4, v3
	v_fma_f32 v6, -v2, v5, v4
	v_fmac_f32_e32 v5, v6, v3
	v_fma_f32 v2, -v2, v5, v4
	v_div_fmas_f32 v2, v2, v3, v5
	v_div_fixup_f32 v0, v2, v0, v7
	v_mul_f32_e32 v0, v1, v0
.LBB202_38:
	s_cbranch_execnz .LBB202_46
.LBB202_39:
	s_cmp_eq_u32 s10, 1
	s_cbranch_scc0 .LBB202_45
; %bb.40:
	v_mul_f32_e32 v0, 0x3d372713, v7
	v_mul_f32_e32 v2, 0x3f4c422a, v7
	v_fma_f32 v0, v7, v0, 1.0
	v_mul_f32_e32 v0, v2, v0
                                        ; implicit-def: $vgpr2
	v_cmp_ngt_f32_e64 s1, 0x3f200000, |v0|
	s_and_saveexec_b32 s7, s1
	s_xor_b32 s1, exec_lo, s7
	s_cbranch_execz .LBB202_42
; %bb.41:
	v_add_f32_e64 v2, |v0|, |v0|
	v_mul_f32_e32 v3, 0x3fb8aa3b, v2
	v_cmp_ngt_f32_e32 vcc_lo, 0xc2ce8ed0, v2
	v_rndne_f32_e32 v4, v3
	v_fma_f32 v5, 0x3fb8aa3b, v2, -v3
	v_sub_f32_e32 v3, v3, v4
	v_fmamk_f32 v5, v2, 0x32a5705f, v5
	v_cvt_i32_f32_e32 v4, v4
	v_add_f32_e32 v3, v3, v5
	v_exp_f32_e32 v3, v3
	v_ldexp_f32 v3, v3, v4
	v_cndmask_b32_e32 v3, 0, v3, vcc_lo
	v_cmp_nlt_f32_e32 vcc_lo, 0x42b17218, v2
	v_cndmask_b32_e32 v2, 0x7f800000, v3, vcc_lo
	v_add_f32_e32 v2, 1.0, v2
	v_rcp_f32_e32 v2, v2
	v_fma_f32 v2, v2, -2.0, 1.0
.LBB202_42:
	s_andn2_saveexec_b32 s1, s1
	s_cbranch_execz .LBB202_44
; %bb.43:
	v_mul_f32_e32 v2, v0, v0
	s_mov_b32 s7, 0xbbbac73d
	v_fmaak_f32 v3, s7, v2, 0x3ca908c9
	v_fmaak_f32 v3, v2, v3, 0xbd5c1c4e
	;; [unrolled: 1-line block ×4, first 2 shown]
	v_mul_f32_e64 v3, |v0|, v3
	v_fma_f32 v2, v2, v3, |v0|
.LBB202_44:
	s_or_b32 exec_lo, exec_lo, s1
	v_bfi_b32 v0, 0x7fffffff, v2, v0
	v_mul_f32_e32 v2, 0.5, v7
	v_add_f32_e32 v0, 1.0, v0
	v_mul_f32_e32 v0, v2, v0
	v_mul_f32_e32 v1, v1, v0
.LBB202_45:
	v_mov_b32_e32 v0, v1
.LBB202_46:
	v_mov_b32_e32 v1, v0
.LBB202_47:
	s_load_dwordx2 s[4:5], s[4:5], 0x38
	s_mul_i32 s0, s22, s0
	s_lshl_b64 s[2:3], s[2:3], 2
	s_ashr_i32 s1, s0, 31
	v_mov_b32_e32 v0, 0
	s_waitcnt lgkmcnt(0)
	s_add_u32 s2, s4, s2
	s_addc_u32 s3, s5, s3
	s_lshl_b64 s[0:1], s[0:1], 2
	s_add_u32 s2, s2, s0
	s_addc_u32 s3, s3, s1
	s_ashr_i32 s7, s6, 31
	s_lshl_b64 s[0:1], s[6:7], 2
	s_add_u32 s0, s2, s0
	s_addc_u32 s1, s3, s1
	global_store_dword v0, v1, s[0:1]
.LBB202_48:
	s_endpgm
	.section	.rodata,"a",@progbits
	.p2align	6, 0x0
	.amdhsa_kernel _ZL13mul_mat_vec_fI6__halffLi1ELi192ELb1ELb0EEvPKT_PKfPKi31ggml_cuda_mm_fusion_args_devicePfi15HIP_vector_typeIjLj3EEiiiSB_iiiSB_iiii
		.amdhsa_group_segment_fixed_size 0
		.amdhsa_private_segment_fixed_size 0
		.amdhsa_kernarg_size 144
		.amdhsa_user_sgpr_count 6
		.amdhsa_user_sgpr_private_segment_buffer 1
		.amdhsa_user_sgpr_dispatch_ptr 0
		.amdhsa_user_sgpr_queue_ptr 0
		.amdhsa_user_sgpr_kernarg_segment_ptr 1
		.amdhsa_user_sgpr_dispatch_id 0
		.amdhsa_user_sgpr_flat_scratch_init 0
		.amdhsa_user_sgpr_private_segment_size 0
		.amdhsa_wavefront_size32 1
		.amdhsa_uses_dynamic_stack 0
		.amdhsa_system_sgpr_private_segment_wavefront_offset 0
		.amdhsa_system_sgpr_workgroup_id_x 1
		.amdhsa_system_sgpr_workgroup_id_y 1
		.amdhsa_system_sgpr_workgroup_id_z 1
		.amdhsa_system_sgpr_workgroup_info 0
		.amdhsa_system_vgpr_workitem_id 0
		.amdhsa_next_free_vgpr 16
		.amdhsa_next_free_sgpr 40
		.amdhsa_reserve_vcc 1
		.amdhsa_reserve_flat_scratch 0
		.amdhsa_float_round_mode_32 0
		.amdhsa_float_round_mode_16_64 0
		.amdhsa_float_denorm_mode_32 3
		.amdhsa_float_denorm_mode_16_64 3
		.amdhsa_dx10_clamp 1
		.amdhsa_ieee_mode 1
		.amdhsa_fp16_overflow 0
		.amdhsa_workgroup_processor_mode 1
		.amdhsa_memory_ordered 1
		.amdhsa_forward_progress 1
		.amdhsa_shared_vgpr_count 0
		.amdhsa_exception_fp_ieee_invalid_op 0
		.amdhsa_exception_fp_denorm_src 0
		.amdhsa_exception_fp_ieee_div_zero 0
		.amdhsa_exception_fp_ieee_overflow 0
		.amdhsa_exception_fp_ieee_underflow 0
		.amdhsa_exception_fp_ieee_inexact 0
		.amdhsa_exception_int_div_zero 0
	.end_amdhsa_kernel
	.section	.text._ZL13mul_mat_vec_fI6__halffLi1ELi192ELb1ELb0EEvPKT_PKfPKi31ggml_cuda_mm_fusion_args_devicePfi15HIP_vector_typeIjLj3EEiiiSB_iiiSB_iiii,"axG",@progbits,_ZL13mul_mat_vec_fI6__halffLi1ELi192ELb1ELb0EEvPKT_PKfPKi31ggml_cuda_mm_fusion_args_devicePfi15HIP_vector_typeIjLj3EEiiiSB_iiiSB_iiii,comdat
.Lfunc_end202:
	.size	_ZL13mul_mat_vec_fI6__halffLi1ELi192ELb1ELb0EEvPKT_PKfPKi31ggml_cuda_mm_fusion_args_devicePfi15HIP_vector_typeIjLj3EEiiiSB_iiiSB_iiii, .Lfunc_end202-_ZL13mul_mat_vec_fI6__halffLi1ELi192ELb1ELb0EEvPKT_PKfPKi31ggml_cuda_mm_fusion_args_devicePfi15HIP_vector_typeIjLj3EEiiiSB_iiiSB_iiii
                                        ; -- End function
	.set _ZL13mul_mat_vec_fI6__halffLi1ELi192ELb1ELb0EEvPKT_PKfPKi31ggml_cuda_mm_fusion_args_devicePfi15HIP_vector_typeIjLj3EEiiiSB_iiiSB_iiii.num_vgpr, 16
	.set _ZL13mul_mat_vec_fI6__halffLi1ELi192ELb1ELb0EEvPKT_PKfPKi31ggml_cuda_mm_fusion_args_devicePfi15HIP_vector_typeIjLj3EEiiiSB_iiiSB_iiii.num_agpr, 0
	.set _ZL13mul_mat_vec_fI6__halffLi1ELi192ELb1ELb0EEvPKT_PKfPKi31ggml_cuda_mm_fusion_args_devicePfi15HIP_vector_typeIjLj3EEiiiSB_iiiSB_iiii.numbered_sgpr, 40
	.set _ZL13mul_mat_vec_fI6__halffLi1ELi192ELb1ELb0EEvPKT_PKfPKi31ggml_cuda_mm_fusion_args_devicePfi15HIP_vector_typeIjLj3EEiiiSB_iiiSB_iiii.num_named_barrier, 0
	.set _ZL13mul_mat_vec_fI6__halffLi1ELi192ELb1ELb0EEvPKT_PKfPKi31ggml_cuda_mm_fusion_args_devicePfi15HIP_vector_typeIjLj3EEiiiSB_iiiSB_iiii.private_seg_size, 0
	.set _ZL13mul_mat_vec_fI6__halffLi1ELi192ELb1ELb0EEvPKT_PKfPKi31ggml_cuda_mm_fusion_args_devicePfi15HIP_vector_typeIjLj3EEiiiSB_iiiSB_iiii.uses_vcc, 1
	.set _ZL13mul_mat_vec_fI6__halffLi1ELi192ELb1ELb0EEvPKT_PKfPKi31ggml_cuda_mm_fusion_args_devicePfi15HIP_vector_typeIjLj3EEiiiSB_iiiSB_iiii.uses_flat_scratch, 0
	.set _ZL13mul_mat_vec_fI6__halffLi1ELi192ELb1ELb0EEvPKT_PKfPKi31ggml_cuda_mm_fusion_args_devicePfi15HIP_vector_typeIjLj3EEiiiSB_iiiSB_iiii.has_dyn_sized_stack, 0
	.set _ZL13mul_mat_vec_fI6__halffLi1ELi192ELb1ELb0EEvPKT_PKfPKi31ggml_cuda_mm_fusion_args_devicePfi15HIP_vector_typeIjLj3EEiiiSB_iiiSB_iiii.has_recursion, 0
	.set _ZL13mul_mat_vec_fI6__halffLi1ELi192ELb1ELb0EEvPKT_PKfPKi31ggml_cuda_mm_fusion_args_devicePfi15HIP_vector_typeIjLj3EEiiiSB_iiiSB_iiii.has_indirect_call, 0
	.section	.AMDGPU.csdata,"",@progbits
; Kernel info:
; codeLenInByte = 2284
; TotalNumSgprs: 42
; NumVgprs: 16
; ScratchSize: 0
; MemoryBound: 0
; FloatMode: 240
; IeeeMode: 1
; LDSByteSize: 0 bytes/workgroup (compile time only)
; SGPRBlocks: 0
; VGPRBlocks: 1
; NumSGPRsForWavesPerEU: 42
; NumVGPRsForWavesPerEU: 16
; Occupancy: 16
; WaveLimiterHint : 1
; COMPUTE_PGM_RSRC2:SCRATCH_EN: 0
; COMPUTE_PGM_RSRC2:USER_SGPR: 6
; COMPUTE_PGM_RSRC2:TRAP_HANDLER: 0
; COMPUTE_PGM_RSRC2:TGID_X_EN: 1
; COMPUTE_PGM_RSRC2:TGID_Y_EN: 1
; COMPUTE_PGM_RSRC2:TGID_Z_EN: 1
; COMPUTE_PGM_RSRC2:TIDIG_COMP_CNT: 0
	.section	.text._ZL13mul_mat_vec_fI6__halffLi1ELi192ELb0ELb0EEvPKT_PKfPKi31ggml_cuda_mm_fusion_args_devicePfi15HIP_vector_typeIjLj3EEiiiSB_iiiSB_iiii,"axG",@progbits,_ZL13mul_mat_vec_fI6__halffLi1ELi192ELb0ELb0EEvPKT_PKfPKi31ggml_cuda_mm_fusion_args_devicePfi15HIP_vector_typeIjLj3EEiiiSB_iiiSB_iiii,comdat
	.globl	_ZL13mul_mat_vec_fI6__halffLi1ELi192ELb0ELb0EEvPKT_PKfPKi31ggml_cuda_mm_fusion_args_devicePfi15HIP_vector_typeIjLj3EEiiiSB_iiiSB_iiii ; -- Begin function _ZL13mul_mat_vec_fI6__halffLi1ELi192ELb0ELb0EEvPKT_PKfPKi31ggml_cuda_mm_fusion_args_devicePfi15HIP_vector_typeIjLj3EEiiiSB_iiiSB_iiii
	.p2align	8
	.type	_ZL13mul_mat_vec_fI6__halffLi1ELi192ELb0ELb0EEvPKT_PKfPKi31ggml_cuda_mm_fusion_args_devicePfi15HIP_vector_typeIjLj3EEiiiSB_iiiSB_iiii,@function
_ZL13mul_mat_vec_fI6__halffLi1ELi192ELb0ELb0EEvPKT_PKfPKi31ggml_cuda_mm_fusion_args_devicePfi15HIP_vector_typeIjLj3EEiiiSB_iiiSB_iiii: ; @_ZL13mul_mat_vec_fI6__halffLi1ELi192ELb0ELb0EEvPKT_PKfPKi31ggml_cuda_mm_fusion_args_devicePfi15HIP_vector_typeIjLj3EEiiiSB_iiiSB_iiii
; %bb.0:
	s_clause 0x2
	s_load_dwordx2 s[2:3], s[4:5], 0x10
	s_load_dwordx4 s[20:23], s[4:5], 0x40
	s_load_dwordx4 s[12:15], s[4:5], 0x80
	s_waitcnt lgkmcnt(0)
	s_cmp_eq_u64 s[2:3], 0
	s_cselect_b32 s9, -1, 0
	s_cmp_lg_u64 s[2:3], 0
	s_cselect_b32 s10, -1, 0
	s_and_b32 vcc_lo, exec_lo, s9
	s_cbranch_vccnz .LBB203_2
; %bb.1:
	s_mul_i32 s0, s15, s8
	s_mov_b32 s1, 0
	s_add_i32 s0, s0, s7
	s_lshl_b64 s[16:17], s[0:1], 2
	s_add_u32 s2, s2, s16
	s_addc_u32 s3, s3, s17
	s_load_dword s24, s[2:3], 0x0
	s_load_dword s25, s[4:5], 0x50
	s_cbranch_execz .LBB203_3
	s_branch .LBB203_4
.LBB203_2:
                                        ; implicit-def: $sgpr24
	s_load_dword s25, s[4:5], 0x50
.LBB203_3:
	s_load_dwordx2 s[0:1], s[4:5], 0x5c
	s_waitcnt lgkmcnt(0)
	s_mul_hi_u32 s0, s0, s7
	s_add_i32 s0, s7, s0
	s_lshr_b32 s24, s0, s1
.LBB203_4:
	s_load_dwordx4 s[16:19], s[4:5], 0x68
	s_andn2_b32 vcc_lo, exec_lo, s10
	s_mov_b32 s26, s7
	s_cbranch_vccnz .LBB203_6
; %bb.5:
	s_mul_hi_u32 s0, s21, s7
	s_add_i32 s0, s7, s0
	s_lshr_b32 s0, s0, s22
	s_mul_i32 s0, s0, s23
	s_sub_i32 s26, s7, s0
.LBB203_6:
	s_load_dword s1, s[4:5], 0x78
	v_cmp_gt_u32_e32 vcc_lo, 32, v0
	v_lshl_add_u32 v5, v0, 2, 0
	s_and_saveexec_b32 s0, vcc_lo
; %bb.7:
	v_mov_b32_e32 v1, 0
	ds_write_b32 v5, v1
; %bb.8:
	s_or_b32 exec_lo, exec_lo, s0
	v_mov_b32_e32 v6, 0
	s_and_b32 s0, exec_lo, s9
	s_mov_b32 s3, 0
	s_cselect_b32 s2, s8, 0
	s_mov_b32 s15, exec_lo
	s_waitcnt lgkmcnt(0)
	s_barrier
	buffer_gl0_inv
	v_cmpx_gt_i32_e64 s20, v0
	s_cbranch_execz .LBB203_12
; %bb.9:
	s_load_dwordx4 s[8:11], s[4:5], 0x0
	s_mul_hi_u32 s0, s19, s2
	s_mul_i32 s16, s24, s16
	s_mul_i32 s24, s26, s17
	;; [unrolled: 1-line block ×3, first 2 shown]
	s_add_i32 s0, s2, s0
	s_ashr_i32 s25, s24, 31
	s_mul_hi_i32 s27, s2, s13
	s_mul_i32 s26, s2, s13
	s_lshr_b32 s19, s0, s1
	s_lshl_b64 s[0:1], s[24:25], 2
	v_lshlrev_b32_e32 v1, 3, v0
	s_ashr_i32 s17, s16, 31
	s_ashr_i32 s23, s22, 31
	s_lshl_b64 s[26:27], s[26:27], 2
	s_mul_hi_i32 s13, s19, s12
	s_mul_i32 s12, s19, s12
	v_lshlrev_b32_e32 v3, 2, v0
	v_mov_b32_e32 v6, 0
	v_mov_b32_e32 v7, v0
	s_waitcnt lgkmcnt(0)
	s_add_u32 s0, s10, s0
	s_addc_u32 s1, s11, s1
	s_add_u32 s0, s0, s26
	s_addc_u32 s1, s1, s27
	v_add_co_u32 v1, s0, s0, v1
	v_add_co_ci_u32_e64 v2, null, s1, 0, s0
	s_lshl_b64 s[10:11], s[12:13], 1
	v_add_co_u32 v1, s0, v1, 4
	v_add_co_ci_u32_e64 v2, null, 0, v2, s0
	s_lshl_b64 s[0:1], s[16:17], 1
	s_lshl_b64 s[12:13], s[22:23], 1
	s_add_u32 s0, s8, s0
	s_addc_u32 s1, s9, s1
	s_add_u32 s0, s0, s12
	s_addc_u32 s1, s1, s13
	;; [unrolled: 2-line block ×3, first 2 shown]
	v_add_co_u32 v3, s0, s0, v3
	v_add_co_ci_u32_e64 v4, null, s1, 0, s0
	.p2align	6
.LBB203_10:                             ; =>This Inner Loop Header: Depth=1
	global_load_dword v10, v[3:4], off
	global_load_dwordx2 v[8:9], v[1:2], off offset:-4
	v_add_nc_u32_e32 v7, 0xc0, v7
	v_add_co_u32 v1, s0, 0x600, v1
	v_add_co_ci_u32_e64 v2, null, 0, v2, s0
	v_add_co_u32 v3, s0, 0x300, v3
	v_cmp_le_i32_e64 s1, s20, v7
	v_add_co_ci_u32_e64 v4, null, 0, v4, s0
	s_or_b32 s3, s1, s3
	s_waitcnt vmcnt(0)
	v_fma_mix_f32 v6, v8, v10, v6 op_sel_hi:[0,1,0]
	v_fma_mix_f32 v6, v9, v10, v6 op_sel:[0,1,0] op_sel_hi:[0,1,0]
	s_andn2_b32 exec_lo, exec_lo, s3
	s_cbranch_execnz .LBB203_10
; %bb.11:
	s_or_b32 exec_lo, exec_lo, s3
.LBB203_12:
	s_or_b32 exec_lo, exec_lo, s15
	v_mbcnt_lo_u32_b32 v2, -1, 0
	v_xor_b32_e32 v1, 16, v2
	v_xor_b32_e32 v3, 8, v2
	v_cmp_gt_i32_e64 s0, 32, v1
	v_cndmask_b32_e64 v1, v2, v1, s0
	v_cmp_gt_i32_e64 s0, 32, v3
	v_lshlrev_b32_e32 v1, 2, v1
	v_cndmask_b32_e64 v3, v2, v3, s0
	ds_bpermute_b32 v4, v1, v6
	v_lshlrev_b32_e32 v3, 2, v3
	s_waitcnt lgkmcnt(0)
	v_add_f32_e32 v6, v6, v4
	v_xor_b32_e32 v4, 4, v2
	ds_bpermute_b32 v7, v3, v6
	v_cmp_gt_i32_e64 s0, 32, v4
	v_cndmask_b32_e64 v4, v2, v4, s0
	v_lshlrev_b32_e32 v4, 2, v4
	s_waitcnt lgkmcnt(0)
	v_add_f32_e32 v7, v6, v7
	v_xor_b32_e32 v6, 2, v2
	ds_bpermute_b32 v8, v4, v7
	v_cmp_gt_i32_e64 s0, 32, v6
	v_cndmask_b32_e64 v6, v2, v6, s0
	;; [unrolled: 7-line block ×3, first 2 shown]
	v_lshlrev_b32_e32 v7, 2, v2
	s_waitcnt lgkmcnt(0)
	v_add_f32_e32 v2, v8, v9
	v_lshrrev_b32_e32 v9, 3, v0
	ds_bpermute_b32 v8, v7, v2
	v_and_b32_e32 v9, 0x7c, v9
	v_add_nc_u32_e32 v9, 0, v9
	s_waitcnt lgkmcnt(0)
	v_add_f32_e32 v2, v2, v8
	ds_write_b32 v9, v2
	s_waitcnt lgkmcnt(0)
	s_barrier
	buffer_gl0_inv
	s_and_saveexec_b32 s0, vcc_lo
	s_cbranch_execz .LBB203_14
; %bb.13:
	ds_read_b32 v2, v5
	s_waitcnt lgkmcnt(0)
	ds_bpermute_b32 v1, v1, v2
	s_waitcnt lgkmcnt(0)
	v_add_f32_e32 v1, v2, v1
	ds_bpermute_b32 v2, v3, v1
	s_waitcnt lgkmcnt(0)
	v_add_f32_e32 v1, v1, v2
	ds_bpermute_b32 v2, v4, v1
	s_waitcnt lgkmcnt(0)
	v_add_f32_e32 v1, v1, v2
	ds_bpermute_b32 v2, v6, v1
	s_waitcnt lgkmcnt(0)
	v_add_f32_e32 v1, v1, v2
	ds_bpermute_b32 v2, v7, v1
	s_waitcnt lgkmcnt(0)
	v_add_f32_e32 v2, v1, v2
.LBB203_14:
	s_or_b32 exec_lo, exec_lo, s0
	s_barrier
	buffer_gl0_inv
	s_mov_b32 s0, exec_lo
	v_cmpx_eq_u32_e32 0, v0
	s_cbranch_execz .LBB203_16
; %bb.15:
	s_load_dwordx2 s[0:1], s[4:5], 0x38
	s_mul_hi_i32 s3, s14, s2
	s_mul_i32 s2, s14, s2
	s_mul_i32 s4, s18, s7
	s_lshl_b64 s[2:3], s[2:3], 2
	s_ashr_i32 s5, s4, 31
	v_mov_b32_e32 v0, 0
	s_waitcnt lgkmcnt(0)
	s_add_u32 s2, s0, s2
	s_addc_u32 s3, s1, s3
	s_lshl_b64 s[0:1], s[4:5], 2
	s_add_u32 s2, s2, s0
	s_addc_u32 s3, s3, s1
	s_ashr_i32 s7, s6, 31
	s_lshl_b64 s[0:1], s[6:7], 2
	s_add_u32 s0, s2, s0
	s_addc_u32 s1, s3, s1
	global_store_dword v0, v2, s[0:1]
.LBB203_16:
	s_endpgm
	.section	.rodata,"a",@progbits
	.p2align	6, 0x0
	.amdhsa_kernel _ZL13mul_mat_vec_fI6__halffLi1ELi192ELb0ELb0EEvPKT_PKfPKi31ggml_cuda_mm_fusion_args_devicePfi15HIP_vector_typeIjLj3EEiiiSB_iiiSB_iiii
		.amdhsa_group_segment_fixed_size 0
		.amdhsa_private_segment_fixed_size 0
		.amdhsa_kernarg_size 144
		.amdhsa_user_sgpr_count 6
		.amdhsa_user_sgpr_private_segment_buffer 1
		.amdhsa_user_sgpr_dispatch_ptr 0
		.amdhsa_user_sgpr_queue_ptr 0
		.amdhsa_user_sgpr_kernarg_segment_ptr 1
		.amdhsa_user_sgpr_dispatch_id 0
		.amdhsa_user_sgpr_flat_scratch_init 0
		.amdhsa_user_sgpr_private_segment_size 0
		.amdhsa_wavefront_size32 1
		.amdhsa_uses_dynamic_stack 0
		.amdhsa_system_sgpr_private_segment_wavefront_offset 0
		.amdhsa_system_sgpr_workgroup_id_x 1
		.amdhsa_system_sgpr_workgroup_id_y 1
		.amdhsa_system_sgpr_workgroup_id_z 1
		.amdhsa_system_sgpr_workgroup_info 0
		.amdhsa_system_vgpr_workitem_id 0
		.amdhsa_next_free_vgpr 11
		.amdhsa_next_free_sgpr 28
		.amdhsa_reserve_vcc 1
		.amdhsa_reserve_flat_scratch 0
		.amdhsa_float_round_mode_32 0
		.amdhsa_float_round_mode_16_64 0
		.amdhsa_float_denorm_mode_32 3
		.amdhsa_float_denorm_mode_16_64 3
		.amdhsa_dx10_clamp 1
		.amdhsa_ieee_mode 1
		.amdhsa_fp16_overflow 0
		.amdhsa_workgroup_processor_mode 1
		.amdhsa_memory_ordered 1
		.amdhsa_forward_progress 1
		.amdhsa_shared_vgpr_count 0
		.amdhsa_exception_fp_ieee_invalid_op 0
		.amdhsa_exception_fp_denorm_src 0
		.amdhsa_exception_fp_ieee_div_zero 0
		.amdhsa_exception_fp_ieee_overflow 0
		.amdhsa_exception_fp_ieee_underflow 0
		.amdhsa_exception_fp_ieee_inexact 0
		.amdhsa_exception_int_div_zero 0
	.end_amdhsa_kernel
	.section	.text._ZL13mul_mat_vec_fI6__halffLi1ELi192ELb0ELb0EEvPKT_PKfPKi31ggml_cuda_mm_fusion_args_devicePfi15HIP_vector_typeIjLj3EEiiiSB_iiiSB_iiii,"axG",@progbits,_ZL13mul_mat_vec_fI6__halffLi1ELi192ELb0ELb0EEvPKT_PKfPKi31ggml_cuda_mm_fusion_args_devicePfi15HIP_vector_typeIjLj3EEiiiSB_iiiSB_iiii,comdat
.Lfunc_end203:
	.size	_ZL13mul_mat_vec_fI6__halffLi1ELi192ELb0ELb0EEvPKT_PKfPKi31ggml_cuda_mm_fusion_args_devicePfi15HIP_vector_typeIjLj3EEiiiSB_iiiSB_iiii, .Lfunc_end203-_ZL13mul_mat_vec_fI6__halffLi1ELi192ELb0ELb0EEvPKT_PKfPKi31ggml_cuda_mm_fusion_args_devicePfi15HIP_vector_typeIjLj3EEiiiSB_iiiSB_iiii
                                        ; -- End function
	.set _ZL13mul_mat_vec_fI6__halffLi1ELi192ELb0ELb0EEvPKT_PKfPKi31ggml_cuda_mm_fusion_args_devicePfi15HIP_vector_typeIjLj3EEiiiSB_iiiSB_iiii.num_vgpr, 11
	.set _ZL13mul_mat_vec_fI6__halffLi1ELi192ELb0ELb0EEvPKT_PKfPKi31ggml_cuda_mm_fusion_args_devicePfi15HIP_vector_typeIjLj3EEiiiSB_iiiSB_iiii.num_agpr, 0
	.set _ZL13mul_mat_vec_fI6__halffLi1ELi192ELb0ELb0EEvPKT_PKfPKi31ggml_cuda_mm_fusion_args_devicePfi15HIP_vector_typeIjLj3EEiiiSB_iiiSB_iiii.numbered_sgpr, 28
	.set _ZL13mul_mat_vec_fI6__halffLi1ELi192ELb0ELb0EEvPKT_PKfPKi31ggml_cuda_mm_fusion_args_devicePfi15HIP_vector_typeIjLj3EEiiiSB_iiiSB_iiii.num_named_barrier, 0
	.set _ZL13mul_mat_vec_fI6__halffLi1ELi192ELb0ELb0EEvPKT_PKfPKi31ggml_cuda_mm_fusion_args_devicePfi15HIP_vector_typeIjLj3EEiiiSB_iiiSB_iiii.private_seg_size, 0
	.set _ZL13mul_mat_vec_fI6__halffLi1ELi192ELb0ELb0EEvPKT_PKfPKi31ggml_cuda_mm_fusion_args_devicePfi15HIP_vector_typeIjLj3EEiiiSB_iiiSB_iiii.uses_vcc, 1
	.set _ZL13mul_mat_vec_fI6__halffLi1ELi192ELb0ELb0EEvPKT_PKfPKi31ggml_cuda_mm_fusion_args_devicePfi15HIP_vector_typeIjLj3EEiiiSB_iiiSB_iiii.uses_flat_scratch, 0
	.set _ZL13mul_mat_vec_fI6__halffLi1ELi192ELb0ELb0EEvPKT_PKfPKi31ggml_cuda_mm_fusion_args_devicePfi15HIP_vector_typeIjLj3EEiiiSB_iiiSB_iiii.has_dyn_sized_stack, 0
	.set _ZL13mul_mat_vec_fI6__halffLi1ELi192ELb0ELb0EEvPKT_PKfPKi31ggml_cuda_mm_fusion_args_devicePfi15HIP_vector_typeIjLj3EEiiiSB_iiiSB_iiii.has_recursion, 0
	.set _ZL13mul_mat_vec_fI6__halffLi1ELi192ELb0ELb0EEvPKT_PKfPKi31ggml_cuda_mm_fusion_args_devicePfi15HIP_vector_typeIjLj3EEiiiSB_iiiSB_iiii.has_indirect_call, 0
	.section	.AMDGPU.csdata,"",@progbits
; Kernel info:
; codeLenInByte = 1084
; TotalNumSgprs: 30
; NumVgprs: 11
; ScratchSize: 0
; MemoryBound: 0
; FloatMode: 240
; IeeeMode: 1
; LDSByteSize: 0 bytes/workgroup (compile time only)
; SGPRBlocks: 0
; VGPRBlocks: 1
; NumSGPRsForWavesPerEU: 30
; NumVGPRsForWavesPerEU: 11
; Occupancy: 16
; WaveLimiterHint : 0
; COMPUTE_PGM_RSRC2:SCRATCH_EN: 0
; COMPUTE_PGM_RSRC2:USER_SGPR: 6
; COMPUTE_PGM_RSRC2:TRAP_HANDLER: 0
; COMPUTE_PGM_RSRC2:TGID_X_EN: 1
; COMPUTE_PGM_RSRC2:TGID_Y_EN: 1
; COMPUTE_PGM_RSRC2:TGID_Z_EN: 1
; COMPUTE_PGM_RSRC2:TIDIG_COMP_CNT: 0
	.section	.text._ZL13mul_mat_vec_fI6__halffLi1ELi224ELb1ELb0EEvPKT_PKfPKi31ggml_cuda_mm_fusion_args_devicePfi15HIP_vector_typeIjLj3EEiiiSB_iiiSB_iiii,"axG",@progbits,_ZL13mul_mat_vec_fI6__halffLi1ELi224ELb1ELb0EEvPKT_PKfPKi31ggml_cuda_mm_fusion_args_devicePfi15HIP_vector_typeIjLj3EEiiiSB_iiiSB_iiii,comdat
	.globl	_ZL13mul_mat_vec_fI6__halffLi1ELi224ELb1ELb0EEvPKT_PKfPKi31ggml_cuda_mm_fusion_args_devicePfi15HIP_vector_typeIjLj3EEiiiSB_iiiSB_iiii ; -- Begin function _ZL13mul_mat_vec_fI6__halffLi1ELi224ELb1ELb0EEvPKT_PKfPKi31ggml_cuda_mm_fusion_args_devicePfi15HIP_vector_typeIjLj3EEiiiSB_iiiSB_iiii
	.p2align	8
	.type	_ZL13mul_mat_vec_fI6__halffLi1ELi224ELb1ELb0EEvPKT_PKfPKi31ggml_cuda_mm_fusion_args_devicePfi15HIP_vector_typeIjLj3EEiiiSB_iiiSB_iiii,@function
_ZL13mul_mat_vec_fI6__halffLi1ELi224ELb1ELb0EEvPKT_PKfPKi31ggml_cuda_mm_fusion_args_devicePfi15HIP_vector_typeIjLj3EEiiiSB_iiiSB_iiii: ; @_ZL13mul_mat_vec_fI6__halffLi1ELi224ELb1ELb0EEvPKT_PKfPKi31ggml_cuda_mm_fusion_args_devicePfi15HIP_vector_typeIjLj3EEiiiSB_iiiSB_iiii
; %bb.0:
	s_clause 0x3
	s_load_dwordx8 s[12:19], s[4:5], 0x0
	s_load_dwordx4 s[24:27], s[4:5], 0x20
	s_load_dwordx4 s[36:39], s[4:5], 0x40
	;; [unrolled: 1-line block ×3, first 2 shown]
	s_mov_b32 s0, s7
	s_waitcnt lgkmcnt(0)
	s_cmp_eq_u64 s[16:17], 0
	s_cselect_b32 s11, -1, 0
	s_cmp_lg_u64 s[16:17], 0
	s_cselect_b32 s1, -1, 0
	s_and_b32 vcc_lo, exec_lo, s11
	s_cbranch_vccnz .LBB204_2
; %bb.1:
	s_mul_i32 s2, s31, s8
	s_mov_b32 s3, 0
	s_add_i32 s2, s2, s0
	s_lshl_b64 s[20:21], s[2:3], 2
	s_add_u32 s16, s16, s20
	s_addc_u32 s17, s17, s21
	s_load_dword s7, s[16:17], 0x0
	s_load_dword s16, s[4:5], 0x50
	s_waitcnt lgkmcnt(0)
	s_mov_b32 s3, s7
	s_cbranch_execz .LBB204_3
	s_branch .LBB204_4
.LBB204_2:
                                        ; implicit-def: $sgpr7
	s_load_dword s16, s[4:5], 0x50
	s_mov_b32 s3, s7
.LBB204_3:
	s_load_dwordx2 s[2:3], s[4:5], 0x5c
	s_mov_b32 s7, s0
	s_waitcnt lgkmcnt(0)
	s_mul_hi_u32 s2, s2, s0
	s_add_i32 s2, s0, s2
	s_lshr_b32 s3, s2, s3
.LBB204_4:
	s_load_dwordx4 s[20:23], s[4:5], 0x68
	s_andn2_b32 vcc_lo, exec_lo, s1
	s_mov_b32 s17, s0
	s_cbranch_vccnz .LBB204_6
; %bb.5:
	s_mul_hi_u32 s1, s37, s0
	s_add_i32 s1, s0, s1
	s_lshr_b32 s1, s1, s38
	s_mul_i32 s1, s1, s39
	s_sub_i32 s17, s0, s1
.LBB204_6:
	s_load_dword s31, s[4:5], 0x78
	s_cmp_lg_u64 s[24:25], 0
	v_cmp_gt_u32_e64 s2, 32, v0
	v_lshl_add_u32 v8, v0, 2, 0
	s_cselect_b32 s1, -1, 0
	s_cmp_eq_u64 s[24:25], 0
	s_cselect_b32 s9, -1, 0
	s_and_saveexec_b32 s10, s2
	s_cbranch_execz .LBB204_9
; %bb.7:
	v_mov_b32_e32 v1, 0
	s_andn2_b32 vcc_lo, exec_lo, s1
	ds_write_b32 v8, v1
	s_cbranch_vccnz .LBB204_9
; %bb.8:
	ds_write_b32 v8, v1 offset:128
.LBB204_9:
	s_or_b32 exec_lo, exec_lo, s10
	v_mov_b32_e32 v7, 0
	v_mov_b32_e32 v9, 0
	s_and_b32 s11, exec_lo, s11
	s_mov_b32 s10, 0
	s_cselect_b32 s11, s8, 0
	s_mov_b32 s8, exec_lo
	s_waitcnt lgkmcnt(0)
	s_barrier
	buffer_gl0_inv
	v_cmpx_gt_i32_e64 s36, v0
	s_cbranch_execz .LBB204_16
; %bb.10:
	s_mul_hi_u32 s23, s23, s11
	s_mul_i32 s3, s3, s20
	s_add_i32 s23, s11, s23
	s_mul_i32 s16, s16, s6
	s_lshr_b32 s20, s23, s31
	s_ashr_i32 s31, s16, 31
	s_mul_hi_i32 s23, s20, s28
	s_mul_i32 s20, s20, s28
	s_ashr_i32 s28, s3, 31
	s_add_u32 s16, s20, s16
	s_addc_u32 s23, s23, s31
	s_mul_i32 s20, s17, s21
	s_add_u32 s16, s16, s3
	s_addc_u32 s17, s23, s28
	s_ashr_i32 s21, s20, 31
	s_and_b32 s3, s1, exec_lo
	s_cselect_b32 s3, s25, 0
	s_cselect_b32 s23, s24, 0
	;; [unrolled: 1-line block ×4, first 2 shown]
	v_lshlrev_b32_e32 v5, 2, v0
	s_lshl_b64 s[24:25], s[24:25], 1
	v_lshlrev_b32_e32 v3, 3, v0
	s_add_u32 s23, s23, s24
	s_addc_u32 s3, s3, s25
	s_mul_hi_i32 s25, s11, s29
	s_mul_i32 s24, s11, s29
	v_add_co_u32 v1, s23, s23, v5
	s_lshl_b64 s[20:21], s[20:21], 2
	s_lshl_b64 s[24:25], s[24:25], 2
	v_add_co_ci_u32_e64 v2, null, s3, 0, s23
	s_add_u32 s3, s14, s20
	s_addc_u32 s14, s15, s21
	s_add_u32 s3, s3, s24
	s_addc_u32 s14, s14, s25
	v_add_co_u32 v3, s3, s3, v3
	v_add_co_ci_u32_e64 v4, null, s14, 0, s3
	s_lshl_b64 s[14:15], s[16:17], 1
	v_add_co_u32 v3, vcc_lo, v3, 4
	s_add_u32 s3, s12, s14
	s_addc_u32 s12, s13, s15
	v_add_co_u32 v5, s3, s3, v5
	v_mov_b32_e32 v7, 0
	v_add_co_ci_u32_e64 v4, null, 0, v4, vcc_lo
	v_add_co_ci_u32_e64 v6, null, s12, 0, s3
	v_mov_b32_e32 v10, v0
	v_mov_b32_e32 v9, 0
	s_inst_prefetch 0x1
	s_branch .LBB204_13
	.p2align	6
.LBB204_11:                             ;   in Loop: Header=BB204_13 Depth=1
	global_load_dword v12, v[1:2], off
	s_waitcnt vmcnt(0)
	v_cvt_f32_f16_e32 v13, v12
	v_cvt_f32_f16_sdwa v12, v12 dst_sel:DWORD dst_unused:UNUSED_PAD src0_sel:WORD_1
.LBB204_12:                             ;   in Loop: Header=BB204_13 Depth=1
	global_load_dwordx2 v[14:15], v[3:4], off offset:-4
	v_add_nc_u32_e32 v10, 0xe0, v10
	v_add_co_u32 v1, vcc_lo, 0x380, v1
	v_add_co_ci_u32_e64 v2, null, 0, v2, vcc_lo
	v_add_co_u32 v3, vcc_lo, 0x700, v3
	v_add_co_ci_u32_e64 v4, null, 0, v4, vcc_lo
	v_cmp_le_i32_e32 vcc_lo, s36, v10
	v_add_co_u32 v5, s3, 0x380, v5
	v_add_co_ci_u32_e64 v6, null, 0, v6, s3
	s_or_b32 s10, vcc_lo, s10
	s_waitcnt vmcnt(0)
	v_fma_f32 v13, v14, v13, v7
	v_fma_mix_f32 v9, v14, v11, v9 op_sel_hi:[0,1,0]
	v_fmac_f32_e32 v13, v15, v12
	v_fma_mix_f32 v9, v15, v11, v9 op_sel:[0,1,0] op_sel_hi:[0,1,0]
	v_cndmask_b32_e64 v7, v7, v13, s1
	s_andn2_b32 exec_lo, exec_lo, s10
	s_cbranch_execz .LBB204_15
.LBB204_13:                             ; =>This Inner Loop Header: Depth=1
	global_load_dword v11, v[5:6], off
	s_andn2_b32 vcc_lo, exec_lo, s1
	s_cbranch_vccz .LBB204_11
; %bb.14:                               ;   in Loop: Header=BB204_13 Depth=1
	v_mov_b32_e32 v12, 0
	v_mov_b32_e32 v13, 0
	s_branch .LBB204_12
.LBB204_15:
	s_inst_prefetch 0x2
	s_or_b32 exec_lo, exec_lo, s10
.LBB204_16:
	s_or_b32 exec_lo, exec_lo, s8
	v_mbcnt_lo_u32_b32 v1, -1, 0
	s_load_dword s10, s[4:5], 0x30
	s_mov_b32 s3, -1
	v_xor_b32_e32 v2, 16, v1
	v_xor_b32_e32 v3, 8, v1
	v_cmp_gt_i32_e32 vcc_lo, 32, v2
	v_cndmask_b32_e32 v2, v1, v2, vcc_lo
	v_cmp_gt_i32_e32 vcc_lo, 32, v3
	v_lshlrev_b32_e32 v2, 2, v2
	v_cndmask_b32_e32 v3, v1, v3, vcc_lo
	ds_bpermute_b32 v4, v2, v9
	v_lshlrev_b32_e32 v3, 2, v3
	s_waitcnt lgkmcnt(0)
	v_add_f32_e32 v5, v9, v4
	v_xor_b32_e32 v4, 4, v1
	ds_bpermute_b32 v6, v3, v5
	v_cmp_gt_i32_e32 vcc_lo, 32, v4
	v_cndmask_b32_e32 v4, v1, v4, vcc_lo
	v_lshlrev_b32_e32 v4, 2, v4
	s_waitcnt lgkmcnt(0)
	v_add_f32_e32 v6, v5, v6
	v_xor_b32_e32 v5, 2, v1
	ds_bpermute_b32 v9, v4, v6
	v_cmp_gt_i32_e32 vcc_lo, 32, v5
	v_cndmask_b32_e32 v5, v1, v5, vcc_lo
	;; [unrolled: 7-line block ×3, first 2 shown]
	s_and_b32 vcc_lo, exec_lo, s9
	v_lshlrev_b32_e32 v6, 2, v1
	s_waitcnt lgkmcnt(0)
	v_add_f32_e32 v1, v9, v10
	v_lshrrev_b32_e32 v10, 5, v0
	ds_bpermute_b32 v9, v6, v1
	s_waitcnt lgkmcnt(0)
	v_add_f32_e32 v1, v1, v9
	v_lshl_add_u32 v9, v10, 2, 0
	s_cbranch_vccz .LBB204_18
; %bb.17:
	s_mov_b32 s3, 0
	ds_write_b32 v9, v1
.LBB204_18:
	s_andn2_b32 vcc_lo, exec_lo, s3
	s_cbranch_vccnz .LBB204_20
; %bb.19:
	ds_bpermute_b32 v10, v2, v7
	s_waitcnt lgkmcnt(0)
	v_add_f32_e32 v7, v7, v10
	ds_bpermute_b32 v10, v3, v7
	s_waitcnt lgkmcnt(0)
	v_add_f32_e32 v7, v7, v10
	;; [unrolled: 3-line block ×5, first 2 shown]
	ds_write2_b32 v9, v1, v7 offset1:32
.LBB204_20:
	s_waitcnt lgkmcnt(0)
	s_barrier
	buffer_gl0_inv
	s_and_saveexec_b32 s3, s2
	s_cbranch_execz .LBB204_24
; %bb.21:
	ds_read_b32 v1, v8
	s_andn2_b32 vcc_lo, exec_lo, s1
	s_waitcnt lgkmcnt(0)
	ds_bpermute_b32 v9, v2, v1
	s_waitcnt lgkmcnt(0)
	v_add_f32_e32 v1, v1, v9
	ds_bpermute_b32 v9, v3, v1
	s_waitcnt lgkmcnt(0)
	v_add_f32_e32 v1, v1, v9
	;; [unrolled: 3-line block ×4, first 2 shown]
	ds_bpermute_b32 v9, v6, v1
	s_cbranch_vccnz .LBB204_23
; %bb.22:
	ds_read_b32 v7, v8 offset:128
	s_waitcnt lgkmcnt(0)
	ds_bpermute_b32 v2, v2, v7
	s_waitcnt lgkmcnt(0)
	v_add_f32_e32 v2, v7, v2
	ds_bpermute_b32 v3, v3, v2
	s_waitcnt lgkmcnt(0)
	v_add_f32_e32 v2, v2, v3
	;; [unrolled: 3-line block ×5, first 2 shown]
.LBB204_23:
	s_waitcnt lgkmcnt(0)
	v_add_f32_e32 v1, v1, v9
.LBB204_24:
	s_or_b32 exec_lo, exec_lo, s3
	s_barrier
	buffer_gl0_inv
	s_mov_b32 s2, exec_lo
	v_cmpx_eq_u32_e32 0, v0
	s_cbranch_execz .LBB204_48
; %bb.25:
	s_cmp_eq_u64 s[18:19], 0
	s_mul_i32 s8, s7, s22
	s_cselect_b32 s2, -1, 0
	s_ashr_i32 s9, s8, 31
	s_mul_hi_i32 s3, s30, s11
	s_and_b32 vcc_lo, exec_lo, s2
	s_mul_i32 s2, s30, s11
	s_cbranch_vccnz .LBB204_27
; %bb.26:
	s_cselect_b32 s7, 0, s19
	s_cselect_b32 s11, 0, s18
	s_lshl_b64 s[12:13], s[2:3], 2
	s_add_u32 s11, s11, s12
	s_addc_u32 s7, s7, s13
	s_lshl_b64 s[12:13], s[8:9], 2
	s_add_u32 s11, s11, s12
	s_addc_u32 s14, s7, s13
	s_ashr_i32 s7, s6, 31
	s_lshl_b64 s[12:13], s[6:7], 2
	s_add_u32 s12, s11, s12
	s_addc_u32 s13, s14, s13
	s_load_dword s7, s[12:13], 0x0
	s_waitcnt lgkmcnt(0)
	v_add_f32_e32 v1, s7, v1
.LBB204_27:
	s_andn2_b32 vcc_lo, exec_lo, s1
	s_cbranch_vccnz .LBB204_47
; %bb.28:
	s_cmp_lg_u64 s[26:27], 0
	s_cselect_b32 s7, -1, 0
	s_and_b32 s1, s7, s1
	s_andn2_b32 vcc_lo, exec_lo, s1
	s_cbranch_vccnz .LBB204_30
; %bb.29:
	s_and_b32 s1, s7, exec_lo
	s_cselect_b32 s1, s27, 0
	s_cselect_b32 s7, s26, 0
	s_lshl_b64 s[12:13], s[2:3], 2
	s_add_u32 s7, s7, s12
	s_addc_u32 s1, s1, s13
	s_lshl_b64 s[8:9], s[8:9], 2
	s_add_u32 s11, s7, s8
	s_addc_u32 s1, s1, s9
	s_ashr_i32 s7, s6, 31
	s_lshl_b64 s[8:9], s[6:7], 2
	s_add_u32 s8, s11, s8
	s_addc_u32 s9, s1, s9
	s_load_dword s1, s[8:9], 0x0
	s_waitcnt lgkmcnt(0)
	v_add_f32_e32 v7, s1, v7
.LBB204_30:
	s_cmp_lt_i32 s10, 2
	s_cbranch_scc1 .LBB204_35
; %bb.31:
	s_cmp_lt_i32 s10, 3
	s_cbranch_scc1 .LBB204_36
; %bb.32:
	v_mov_b32_e32 v0, v1
	s_cmp_eq_u32 s10, 3
	s_cbranch_scc0 .LBB204_34
; %bb.33:
	v_max_f32_e32 v0, v7, v7
	v_min_f32_e32 v0, 0x40e00000, v0
	v_mul_f32_e32 v2, 0xbfd9db23, v0
	v_mul_f32_e32 v3, 0x3fb8aa3b, v2
	v_cmp_ngt_f32_e32 vcc_lo, 0xc2ce8ed0, v2
	v_fma_f32 v4, 0x3fb8aa3b, v2, -v3
	v_rndne_f32_e32 v5, v3
	v_fmamk_f32 v4, v2, 0x32a5705f, v4
	v_sub_f32_e32 v3, v3, v5
	v_add_f32_e32 v3, v3, v4
	v_cvt_i32_f32_e32 v4, v5
	v_exp_f32_e32 v3, v3
	v_ldexp_f32 v3, v3, v4
	v_cndmask_b32_e32 v3, 0, v3, vcc_lo
	v_cmp_nlt_f32_e32 vcc_lo, 0x42b17218, v2
	v_cndmask_b32_e32 v2, 0x7f800000, v3, vcc_lo
	v_add_f32_e32 v2, 1.0, v2
	v_div_scale_f32 v3, null, v2, v2, v0
	v_div_scale_f32 v6, vcc_lo, v0, v2, v0
	v_rcp_f32_e32 v4, v3
	v_fma_f32 v5, -v3, v4, 1.0
	v_fmac_f32_e32 v4, v5, v4
	v_mul_f32_e32 v5, v6, v4
	v_fma_f32 v8, -v3, v5, v6
	v_fmac_f32_e32 v5, v8, v4
	v_max_f32_e32 v8, v1, v1
	v_fma_f32 v3, -v3, v5, v6
	v_min_f32_e32 v6, 0x40e00000, v8
	v_div_fmas_f32 v3, v3, v4, v5
	v_max_f32_e32 v4, 0xc0e00000, v6
	v_div_fixup_f32 v0, v3, v2, v0
	v_add_f32_e32 v2, 1.0, v4
	v_mul_f32_e32 v0, v2, v0
.LBB204_34:
	s_cbranch_execz .LBB204_37
	s_branch .LBB204_38
.LBB204_35:
                                        ; implicit-def: $vgpr0
	s_branch .LBB204_39
.LBB204_36:
                                        ; implicit-def: $vgpr0
.LBB204_37:
	v_mul_f32_e32 v0, 0xbfb8aa3b, v7
	v_cmp_nlt_f32_e32 vcc_lo, 0x42ce8ed0, v7
	v_rndne_f32_e32 v2, v0
	v_fma_f32 v3, 0xbfb8aa3b, v7, -v0
	v_sub_f32_e32 v0, v0, v2
	v_fmamk_f32 v3, v7, 0xb2a5705f, v3
	v_cvt_i32_f32_e32 v2, v2
	v_add_f32_e32 v0, v0, v3
	v_exp_f32_e32 v0, v0
	v_ldexp_f32 v0, v0, v2
	v_cndmask_b32_e32 v0, 0, v0, vcc_lo
	v_cmp_ngt_f32_e32 vcc_lo, 0xc2b17218, v7
	v_cndmask_b32_e32 v0, 0x7f800000, v0, vcc_lo
	v_add_f32_e32 v0, 1.0, v0
	v_div_scale_f32 v2, null, v0, v0, v7
	v_rcp_f32_e32 v3, v2
	v_fma_f32 v4, -v2, v3, 1.0
	v_fmac_f32_e32 v3, v4, v3
	v_div_scale_f32 v4, vcc_lo, v7, v0, v7
	v_mul_f32_e32 v5, v4, v3
	v_fma_f32 v6, -v2, v5, v4
	v_fmac_f32_e32 v5, v6, v3
	v_fma_f32 v2, -v2, v5, v4
	v_div_fmas_f32 v2, v2, v3, v5
	v_div_fixup_f32 v0, v2, v0, v7
	v_mul_f32_e32 v0, v1, v0
.LBB204_38:
	s_cbranch_execnz .LBB204_46
.LBB204_39:
	s_cmp_eq_u32 s10, 1
	s_cbranch_scc0 .LBB204_45
; %bb.40:
	v_mul_f32_e32 v0, 0x3d372713, v7
	v_mul_f32_e32 v2, 0x3f4c422a, v7
	v_fma_f32 v0, v7, v0, 1.0
	v_mul_f32_e32 v0, v2, v0
                                        ; implicit-def: $vgpr2
	v_cmp_ngt_f32_e64 s1, 0x3f200000, |v0|
	s_and_saveexec_b32 s7, s1
	s_xor_b32 s1, exec_lo, s7
	s_cbranch_execz .LBB204_42
; %bb.41:
	v_add_f32_e64 v2, |v0|, |v0|
	v_mul_f32_e32 v3, 0x3fb8aa3b, v2
	v_cmp_ngt_f32_e32 vcc_lo, 0xc2ce8ed0, v2
	v_rndne_f32_e32 v4, v3
	v_fma_f32 v5, 0x3fb8aa3b, v2, -v3
	v_sub_f32_e32 v3, v3, v4
	v_fmamk_f32 v5, v2, 0x32a5705f, v5
	v_cvt_i32_f32_e32 v4, v4
	v_add_f32_e32 v3, v3, v5
	v_exp_f32_e32 v3, v3
	v_ldexp_f32 v3, v3, v4
	v_cndmask_b32_e32 v3, 0, v3, vcc_lo
	v_cmp_nlt_f32_e32 vcc_lo, 0x42b17218, v2
	v_cndmask_b32_e32 v2, 0x7f800000, v3, vcc_lo
	v_add_f32_e32 v2, 1.0, v2
	v_rcp_f32_e32 v2, v2
	v_fma_f32 v2, v2, -2.0, 1.0
.LBB204_42:
	s_andn2_saveexec_b32 s1, s1
	s_cbranch_execz .LBB204_44
; %bb.43:
	v_mul_f32_e32 v2, v0, v0
	s_mov_b32 s7, 0xbbbac73d
	v_fmaak_f32 v3, s7, v2, 0x3ca908c9
	v_fmaak_f32 v3, v2, v3, 0xbd5c1c4e
	;; [unrolled: 1-line block ×4, first 2 shown]
	v_mul_f32_e64 v3, |v0|, v3
	v_fma_f32 v2, v2, v3, |v0|
.LBB204_44:
	s_or_b32 exec_lo, exec_lo, s1
	v_bfi_b32 v0, 0x7fffffff, v2, v0
	v_mul_f32_e32 v2, 0.5, v7
	v_add_f32_e32 v0, 1.0, v0
	v_mul_f32_e32 v0, v2, v0
	v_mul_f32_e32 v1, v1, v0
.LBB204_45:
	v_mov_b32_e32 v0, v1
.LBB204_46:
	v_mov_b32_e32 v1, v0
.LBB204_47:
	s_load_dwordx2 s[4:5], s[4:5], 0x38
	s_mul_i32 s0, s22, s0
	s_lshl_b64 s[2:3], s[2:3], 2
	s_ashr_i32 s1, s0, 31
	v_mov_b32_e32 v0, 0
	s_waitcnt lgkmcnt(0)
	s_add_u32 s2, s4, s2
	s_addc_u32 s3, s5, s3
	s_lshl_b64 s[0:1], s[0:1], 2
	s_add_u32 s2, s2, s0
	s_addc_u32 s3, s3, s1
	s_ashr_i32 s7, s6, 31
	s_lshl_b64 s[0:1], s[6:7], 2
	s_add_u32 s0, s2, s0
	s_addc_u32 s1, s3, s1
	global_store_dword v0, v1, s[0:1]
.LBB204_48:
	s_endpgm
	.section	.rodata,"a",@progbits
	.p2align	6, 0x0
	.amdhsa_kernel _ZL13mul_mat_vec_fI6__halffLi1ELi224ELb1ELb0EEvPKT_PKfPKi31ggml_cuda_mm_fusion_args_devicePfi15HIP_vector_typeIjLj3EEiiiSB_iiiSB_iiii
		.amdhsa_group_segment_fixed_size 0
		.amdhsa_private_segment_fixed_size 0
		.amdhsa_kernarg_size 144
		.amdhsa_user_sgpr_count 6
		.amdhsa_user_sgpr_private_segment_buffer 1
		.amdhsa_user_sgpr_dispatch_ptr 0
		.amdhsa_user_sgpr_queue_ptr 0
		.amdhsa_user_sgpr_kernarg_segment_ptr 1
		.amdhsa_user_sgpr_dispatch_id 0
		.amdhsa_user_sgpr_flat_scratch_init 0
		.amdhsa_user_sgpr_private_segment_size 0
		.amdhsa_wavefront_size32 1
		.amdhsa_uses_dynamic_stack 0
		.amdhsa_system_sgpr_private_segment_wavefront_offset 0
		.amdhsa_system_sgpr_workgroup_id_x 1
		.amdhsa_system_sgpr_workgroup_id_y 1
		.amdhsa_system_sgpr_workgroup_id_z 1
		.amdhsa_system_sgpr_workgroup_info 0
		.amdhsa_system_vgpr_workitem_id 0
		.amdhsa_next_free_vgpr 16
		.amdhsa_next_free_sgpr 40
		.amdhsa_reserve_vcc 1
		.amdhsa_reserve_flat_scratch 0
		.amdhsa_float_round_mode_32 0
		.amdhsa_float_round_mode_16_64 0
		.amdhsa_float_denorm_mode_32 3
		.amdhsa_float_denorm_mode_16_64 3
		.amdhsa_dx10_clamp 1
		.amdhsa_ieee_mode 1
		.amdhsa_fp16_overflow 0
		.amdhsa_workgroup_processor_mode 1
		.amdhsa_memory_ordered 1
		.amdhsa_forward_progress 1
		.amdhsa_shared_vgpr_count 0
		.amdhsa_exception_fp_ieee_invalid_op 0
		.amdhsa_exception_fp_denorm_src 0
		.amdhsa_exception_fp_ieee_div_zero 0
		.amdhsa_exception_fp_ieee_overflow 0
		.amdhsa_exception_fp_ieee_underflow 0
		.amdhsa_exception_fp_ieee_inexact 0
		.amdhsa_exception_int_div_zero 0
	.end_amdhsa_kernel
	.section	.text._ZL13mul_mat_vec_fI6__halffLi1ELi224ELb1ELb0EEvPKT_PKfPKi31ggml_cuda_mm_fusion_args_devicePfi15HIP_vector_typeIjLj3EEiiiSB_iiiSB_iiii,"axG",@progbits,_ZL13mul_mat_vec_fI6__halffLi1ELi224ELb1ELb0EEvPKT_PKfPKi31ggml_cuda_mm_fusion_args_devicePfi15HIP_vector_typeIjLj3EEiiiSB_iiiSB_iiii,comdat
.Lfunc_end204:
	.size	_ZL13mul_mat_vec_fI6__halffLi1ELi224ELb1ELb0EEvPKT_PKfPKi31ggml_cuda_mm_fusion_args_devicePfi15HIP_vector_typeIjLj3EEiiiSB_iiiSB_iiii, .Lfunc_end204-_ZL13mul_mat_vec_fI6__halffLi1ELi224ELb1ELb0EEvPKT_PKfPKi31ggml_cuda_mm_fusion_args_devicePfi15HIP_vector_typeIjLj3EEiiiSB_iiiSB_iiii
                                        ; -- End function
	.set _ZL13mul_mat_vec_fI6__halffLi1ELi224ELb1ELb0EEvPKT_PKfPKi31ggml_cuda_mm_fusion_args_devicePfi15HIP_vector_typeIjLj3EEiiiSB_iiiSB_iiii.num_vgpr, 16
	.set _ZL13mul_mat_vec_fI6__halffLi1ELi224ELb1ELb0EEvPKT_PKfPKi31ggml_cuda_mm_fusion_args_devicePfi15HIP_vector_typeIjLj3EEiiiSB_iiiSB_iiii.num_agpr, 0
	.set _ZL13mul_mat_vec_fI6__halffLi1ELi224ELb1ELb0EEvPKT_PKfPKi31ggml_cuda_mm_fusion_args_devicePfi15HIP_vector_typeIjLj3EEiiiSB_iiiSB_iiii.numbered_sgpr, 40
	.set _ZL13mul_mat_vec_fI6__halffLi1ELi224ELb1ELb0EEvPKT_PKfPKi31ggml_cuda_mm_fusion_args_devicePfi15HIP_vector_typeIjLj3EEiiiSB_iiiSB_iiii.num_named_barrier, 0
	.set _ZL13mul_mat_vec_fI6__halffLi1ELi224ELb1ELb0EEvPKT_PKfPKi31ggml_cuda_mm_fusion_args_devicePfi15HIP_vector_typeIjLj3EEiiiSB_iiiSB_iiii.private_seg_size, 0
	.set _ZL13mul_mat_vec_fI6__halffLi1ELi224ELb1ELb0EEvPKT_PKfPKi31ggml_cuda_mm_fusion_args_devicePfi15HIP_vector_typeIjLj3EEiiiSB_iiiSB_iiii.uses_vcc, 1
	.set _ZL13mul_mat_vec_fI6__halffLi1ELi224ELb1ELb0EEvPKT_PKfPKi31ggml_cuda_mm_fusion_args_devicePfi15HIP_vector_typeIjLj3EEiiiSB_iiiSB_iiii.uses_flat_scratch, 0
	.set _ZL13mul_mat_vec_fI6__halffLi1ELi224ELb1ELb0EEvPKT_PKfPKi31ggml_cuda_mm_fusion_args_devicePfi15HIP_vector_typeIjLj3EEiiiSB_iiiSB_iiii.has_dyn_sized_stack, 0
	.set _ZL13mul_mat_vec_fI6__halffLi1ELi224ELb1ELb0EEvPKT_PKfPKi31ggml_cuda_mm_fusion_args_devicePfi15HIP_vector_typeIjLj3EEiiiSB_iiiSB_iiii.has_recursion, 0
	.set _ZL13mul_mat_vec_fI6__halffLi1ELi224ELb1ELb0EEvPKT_PKfPKi31ggml_cuda_mm_fusion_args_devicePfi15HIP_vector_typeIjLj3EEiiiSB_iiiSB_iiii.has_indirect_call, 0
	.section	.AMDGPU.csdata,"",@progbits
; Kernel info:
; codeLenInByte = 2284
; TotalNumSgprs: 42
; NumVgprs: 16
; ScratchSize: 0
; MemoryBound: 0
; FloatMode: 240
; IeeeMode: 1
; LDSByteSize: 0 bytes/workgroup (compile time only)
; SGPRBlocks: 0
; VGPRBlocks: 1
; NumSGPRsForWavesPerEU: 42
; NumVGPRsForWavesPerEU: 16
; Occupancy: 16
; WaveLimiterHint : 1
; COMPUTE_PGM_RSRC2:SCRATCH_EN: 0
; COMPUTE_PGM_RSRC2:USER_SGPR: 6
; COMPUTE_PGM_RSRC2:TRAP_HANDLER: 0
; COMPUTE_PGM_RSRC2:TGID_X_EN: 1
; COMPUTE_PGM_RSRC2:TGID_Y_EN: 1
; COMPUTE_PGM_RSRC2:TGID_Z_EN: 1
; COMPUTE_PGM_RSRC2:TIDIG_COMP_CNT: 0
	.section	.text._ZL13mul_mat_vec_fI6__halffLi1ELi224ELb0ELb0EEvPKT_PKfPKi31ggml_cuda_mm_fusion_args_devicePfi15HIP_vector_typeIjLj3EEiiiSB_iiiSB_iiii,"axG",@progbits,_ZL13mul_mat_vec_fI6__halffLi1ELi224ELb0ELb0EEvPKT_PKfPKi31ggml_cuda_mm_fusion_args_devicePfi15HIP_vector_typeIjLj3EEiiiSB_iiiSB_iiii,comdat
	.globl	_ZL13mul_mat_vec_fI6__halffLi1ELi224ELb0ELb0EEvPKT_PKfPKi31ggml_cuda_mm_fusion_args_devicePfi15HIP_vector_typeIjLj3EEiiiSB_iiiSB_iiii ; -- Begin function _ZL13mul_mat_vec_fI6__halffLi1ELi224ELb0ELb0EEvPKT_PKfPKi31ggml_cuda_mm_fusion_args_devicePfi15HIP_vector_typeIjLj3EEiiiSB_iiiSB_iiii
	.p2align	8
	.type	_ZL13mul_mat_vec_fI6__halffLi1ELi224ELb0ELb0EEvPKT_PKfPKi31ggml_cuda_mm_fusion_args_devicePfi15HIP_vector_typeIjLj3EEiiiSB_iiiSB_iiii,@function
_ZL13mul_mat_vec_fI6__halffLi1ELi224ELb0ELb0EEvPKT_PKfPKi31ggml_cuda_mm_fusion_args_devicePfi15HIP_vector_typeIjLj3EEiiiSB_iiiSB_iiii: ; @_ZL13mul_mat_vec_fI6__halffLi1ELi224ELb0ELb0EEvPKT_PKfPKi31ggml_cuda_mm_fusion_args_devicePfi15HIP_vector_typeIjLj3EEiiiSB_iiiSB_iiii
; %bb.0:
	s_clause 0x2
	s_load_dwordx2 s[2:3], s[4:5], 0x10
	s_load_dwordx4 s[20:23], s[4:5], 0x40
	s_load_dwordx4 s[12:15], s[4:5], 0x80
	s_waitcnt lgkmcnt(0)
	s_cmp_eq_u64 s[2:3], 0
	s_cselect_b32 s9, -1, 0
	s_cmp_lg_u64 s[2:3], 0
	s_cselect_b32 s10, -1, 0
	s_and_b32 vcc_lo, exec_lo, s9
	s_cbranch_vccnz .LBB205_2
; %bb.1:
	s_mul_i32 s0, s15, s8
	s_mov_b32 s1, 0
	s_add_i32 s0, s0, s7
	s_lshl_b64 s[16:17], s[0:1], 2
	s_add_u32 s2, s2, s16
	s_addc_u32 s3, s3, s17
	s_load_dword s24, s[2:3], 0x0
	s_load_dword s25, s[4:5], 0x50
	s_cbranch_execz .LBB205_3
	s_branch .LBB205_4
.LBB205_2:
                                        ; implicit-def: $sgpr24
	s_load_dword s25, s[4:5], 0x50
.LBB205_3:
	s_load_dwordx2 s[0:1], s[4:5], 0x5c
	s_waitcnt lgkmcnt(0)
	s_mul_hi_u32 s0, s0, s7
	s_add_i32 s0, s7, s0
	s_lshr_b32 s24, s0, s1
.LBB205_4:
	s_load_dwordx4 s[16:19], s[4:5], 0x68
	s_andn2_b32 vcc_lo, exec_lo, s10
	s_mov_b32 s26, s7
	s_cbranch_vccnz .LBB205_6
; %bb.5:
	s_mul_hi_u32 s0, s21, s7
	s_add_i32 s0, s7, s0
	s_lshr_b32 s0, s0, s22
	s_mul_i32 s0, s0, s23
	s_sub_i32 s26, s7, s0
.LBB205_6:
	s_load_dword s1, s[4:5], 0x78
	v_cmp_gt_u32_e32 vcc_lo, 32, v0
	v_lshl_add_u32 v5, v0, 2, 0
	s_and_saveexec_b32 s0, vcc_lo
; %bb.7:
	v_mov_b32_e32 v1, 0
	ds_write_b32 v5, v1
; %bb.8:
	s_or_b32 exec_lo, exec_lo, s0
	v_mov_b32_e32 v6, 0
	s_and_b32 s0, exec_lo, s9
	s_mov_b32 s3, 0
	s_cselect_b32 s2, s8, 0
	s_mov_b32 s15, exec_lo
	s_waitcnt lgkmcnt(0)
	s_barrier
	buffer_gl0_inv
	v_cmpx_gt_i32_e64 s20, v0
	s_cbranch_execz .LBB205_12
; %bb.9:
	s_load_dwordx4 s[8:11], s[4:5], 0x0
	s_mul_hi_u32 s0, s19, s2
	s_mul_i32 s16, s24, s16
	s_mul_i32 s24, s26, s17
	;; [unrolled: 1-line block ×3, first 2 shown]
	s_add_i32 s0, s2, s0
	s_ashr_i32 s25, s24, 31
	s_mul_hi_i32 s27, s2, s13
	s_mul_i32 s26, s2, s13
	s_lshr_b32 s19, s0, s1
	s_lshl_b64 s[0:1], s[24:25], 2
	v_lshlrev_b32_e32 v1, 3, v0
	s_ashr_i32 s17, s16, 31
	s_ashr_i32 s23, s22, 31
	s_lshl_b64 s[26:27], s[26:27], 2
	s_mul_hi_i32 s13, s19, s12
	s_mul_i32 s12, s19, s12
	v_lshlrev_b32_e32 v3, 2, v0
	v_mov_b32_e32 v6, 0
	v_mov_b32_e32 v7, v0
	s_waitcnt lgkmcnt(0)
	s_add_u32 s0, s10, s0
	s_addc_u32 s1, s11, s1
	s_add_u32 s0, s0, s26
	s_addc_u32 s1, s1, s27
	v_add_co_u32 v1, s0, s0, v1
	v_add_co_ci_u32_e64 v2, null, s1, 0, s0
	s_lshl_b64 s[10:11], s[12:13], 1
	v_add_co_u32 v1, s0, v1, 4
	v_add_co_ci_u32_e64 v2, null, 0, v2, s0
	s_lshl_b64 s[0:1], s[16:17], 1
	s_lshl_b64 s[12:13], s[22:23], 1
	s_add_u32 s0, s8, s0
	s_addc_u32 s1, s9, s1
	s_add_u32 s0, s0, s12
	s_addc_u32 s1, s1, s13
	;; [unrolled: 2-line block ×3, first 2 shown]
	v_add_co_u32 v3, s0, s0, v3
	v_add_co_ci_u32_e64 v4, null, s1, 0, s0
	.p2align	6
.LBB205_10:                             ; =>This Inner Loop Header: Depth=1
	global_load_dword v10, v[3:4], off
	global_load_dwordx2 v[8:9], v[1:2], off offset:-4
	v_add_nc_u32_e32 v7, 0xe0, v7
	v_add_co_u32 v1, s0, 0x700, v1
	v_add_co_ci_u32_e64 v2, null, 0, v2, s0
	v_add_co_u32 v3, s0, 0x380, v3
	v_cmp_le_i32_e64 s1, s20, v7
	v_add_co_ci_u32_e64 v4, null, 0, v4, s0
	s_or_b32 s3, s1, s3
	s_waitcnt vmcnt(0)
	v_fma_mix_f32 v6, v8, v10, v6 op_sel_hi:[0,1,0]
	v_fma_mix_f32 v6, v9, v10, v6 op_sel:[0,1,0] op_sel_hi:[0,1,0]
	s_andn2_b32 exec_lo, exec_lo, s3
	s_cbranch_execnz .LBB205_10
; %bb.11:
	s_or_b32 exec_lo, exec_lo, s3
.LBB205_12:
	s_or_b32 exec_lo, exec_lo, s15
	v_mbcnt_lo_u32_b32 v2, -1, 0
	v_xor_b32_e32 v1, 16, v2
	v_xor_b32_e32 v3, 8, v2
	v_cmp_gt_i32_e64 s0, 32, v1
	v_cndmask_b32_e64 v1, v2, v1, s0
	v_cmp_gt_i32_e64 s0, 32, v3
	v_lshlrev_b32_e32 v1, 2, v1
	v_cndmask_b32_e64 v3, v2, v3, s0
	ds_bpermute_b32 v4, v1, v6
	v_lshlrev_b32_e32 v3, 2, v3
	s_waitcnt lgkmcnt(0)
	v_add_f32_e32 v6, v6, v4
	v_xor_b32_e32 v4, 4, v2
	ds_bpermute_b32 v7, v3, v6
	v_cmp_gt_i32_e64 s0, 32, v4
	v_cndmask_b32_e64 v4, v2, v4, s0
	v_lshlrev_b32_e32 v4, 2, v4
	s_waitcnt lgkmcnt(0)
	v_add_f32_e32 v7, v6, v7
	v_xor_b32_e32 v6, 2, v2
	ds_bpermute_b32 v8, v4, v7
	v_cmp_gt_i32_e64 s0, 32, v6
	v_cndmask_b32_e64 v6, v2, v6, s0
	;; [unrolled: 7-line block ×3, first 2 shown]
	v_lshlrev_b32_e32 v7, 2, v2
	s_waitcnt lgkmcnt(0)
	v_add_f32_e32 v2, v8, v9
	v_lshrrev_b32_e32 v9, 3, v0
	ds_bpermute_b32 v8, v7, v2
	v_and_b32_e32 v9, 0x7c, v9
	v_add_nc_u32_e32 v9, 0, v9
	s_waitcnt lgkmcnt(0)
	v_add_f32_e32 v2, v2, v8
	ds_write_b32 v9, v2
	s_waitcnt lgkmcnt(0)
	s_barrier
	buffer_gl0_inv
	s_and_saveexec_b32 s0, vcc_lo
	s_cbranch_execz .LBB205_14
; %bb.13:
	ds_read_b32 v2, v5
	s_waitcnt lgkmcnt(0)
	ds_bpermute_b32 v1, v1, v2
	s_waitcnt lgkmcnt(0)
	v_add_f32_e32 v1, v2, v1
	ds_bpermute_b32 v2, v3, v1
	s_waitcnt lgkmcnt(0)
	v_add_f32_e32 v1, v1, v2
	;; [unrolled: 3-line block ×5, first 2 shown]
.LBB205_14:
	s_or_b32 exec_lo, exec_lo, s0
	s_barrier
	buffer_gl0_inv
	s_mov_b32 s0, exec_lo
	v_cmpx_eq_u32_e32 0, v0
	s_cbranch_execz .LBB205_16
; %bb.15:
	s_load_dwordx2 s[0:1], s[4:5], 0x38
	s_mul_hi_i32 s3, s14, s2
	s_mul_i32 s2, s14, s2
	s_mul_i32 s4, s18, s7
	s_lshl_b64 s[2:3], s[2:3], 2
	s_ashr_i32 s5, s4, 31
	v_mov_b32_e32 v0, 0
	s_waitcnt lgkmcnt(0)
	s_add_u32 s2, s0, s2
	s_addc_u32 s3, s1, s3
	s_lshl_b64 s[0:1], s[4:5], 2
	s_add_u32 s2, s2, s0
	s_addc_u32 s3, s3, s1
	s_ashr_i32 s7, s6, 31
	s_lshl_b64 s[0:1], s[6:7], 2
	s_add_u32 s0, s2, s0
	s_addc_u32 s1, s3, s1
	global_store_dword v0, v2, s[0:1]
.LBB205_16:
	s_endpgm
	.section	.rodata,"a",@progbits
	.p2align	6, 0x0
	.amdhsa_kernel _ZL13mul_mat_vec_fI6__halffLi1ELi224ELb0ELb0EEvPKT_PKfPKi31ggml_cuda_mm_fusion_args_devicePfi15HIP_vector_typeIjLj3EEiiiSB_iiiSB_iiii
		.amdhsa_group_segment_fixed_size 0
		.amdhsa_private_segment_fixed_size 0
		.amdhsa_kernarg_size 144
		.amdhsa_user_sgpr_count 6
		.amdhsa_user_sgpr_private_segment_buffer 1
		.amdhsa_user_sgpr_dispatch_ptr 0
		.amdhsa_user_sgpr_queue_ptr 0
		.amdhsa_user_sgpr_kernarg_segment_ptr 1
		.amdhsa_user_sgpr_dispatch_id 0
		.amdhsa_user_sgpr_flat_scratch_init 0
		.amdhsa_user_sgpr_private_segment_size 0
		.amdhsa_wavefront_size32 1
		.amdhsa_uses_dynamic_stack 0
		.amdhsa_system_sgpr_private_segment_wavefront_offset 0
		.amdhsa_system_sgpr_workgroup_id_x 1
		.amdhsa_system_sgpr_workgroup_id_y 1
		.amdhsa_system_sgpr_workgroup_id_z 1
		.amdhsa_system_sgpr_workgroup_info 0
		.amdhsa_system_vgpr_workitem_id 0
		.amdhsa_next_free_vgpr 11
		.amdhsa_next_free_sgpr 28
		.amdhsa_reserve_vcc 1
		.amdhsa_reserve_flat_scratch 0
		.amdhsa_float_round_mode_32 0
		.amdhsa_float_round_mode_16_64 0
		.amdhsa_float_denorm_mode_32 3
		.amdhsa_float_denorm_mode_16_64 3
		.amdhsa_dx10_clamp 1
		.amdhsa_ieee_mode 1
		.amdhsa_fp16_overflow 0
		.amdhsa_workgroup_processor_mode 1
		.amdhsa_memory_ordered 1
		.amdhsa_forward_progress 1
		.amdhsa_shared_vgpr_count 0
		.amdhsa_exception_fp_ieee_invalid_op 0
		.amdhsa_exception_fp_denorm_src 0
		.amdhsa_exception_fp_ieee_div_zero 0
		.amdhsa_exception_fp_ieee_overflow 0
		.amdhsa_exception_fp_ieee_underflow 0
		.amdhsa_exception_fp_ieee_inexact 0
		.amdhsa_exception_int_div_zero 0
	.end_amdhsa_kernel
	.section	.text._ZL13mul_mat_vec_fI6__halffLi1ELi224ELb0ELb0EEvPKT_PKfPKi31ggml_cuda_mm_fusion_args_devicePfi15HIP_vector_typeIjLj3EEiiiSB_iiiSB_iiii,"axG",@progbits,_ZL13mul_mat_vec_fI6__halffLi1ELi224ELb0ELb0EEvPKT_PKfPKi31ggml_cuda_mm_fusion_args_devicePfi15HIP_vector_typeIjLj3EEiiiSB_iiiSB_iiii,comdat
.Lfunc_end205:
	.size	_ZL13mul_mat_vec_fI6__halffLi1ELi224ELb0ELb0EEvPKT_PKfPKi31ggml_cuda_mm_fusion_args_devicePfi15HIP_vector_typeIjLj3EEiiiSB_iiiSB_iiii, .Lfunc_end205-_ZL13mul_mat_vec_fI6__halffLi1ELi224ELb0ELb0EEvPKT_PKfPKi31ggml_cuda_mm_fusion_args_devicePfi15HIP_vector_typeIjLj3EEiiiSB_iiiSB_iiii
                                        ; -- End function
	.set _ZL13mul_mat_vec_fI6__halffLi1ELi224ELb0ELb0EEvPKT_PKfPKi31ggml_cuda_mm_fusion_args_devicePfi15HIP_vector_typeIjLj3EEiiiSB_iiiSB_iiii.num_vgpr, 11
	.set _ZL13mul_mat_vec_fI6__halffLi1ELi224ELb0ELb0EEvPKT_PKfPKi31ggml_cuda_mm_fusion_args_devicePfi15HIP_vector_typeIjLj3EEiiiSB_iiiSB_iiii.num_agpr, 0
	.set _ZL13mul_mat_vec_fI6__halffLi1ELi224ELb0ELb0EEvPKT_PKfPKi31ggml_cuda_mm_fusion_args_devicePfi15HIP_vector_typeIjLj3EEiiiSB_iiiSB_iiii.numbered_sgpr, 28
	.set _ZL13mul_mat_vec_fI6__halffLi1ELi224ELb0ELb0EEvPKT_PKfPKi31ggml_cuda_mm_fusion_args_devicePfi15HIP_vector_typeIjLj3EEiiiSB_iiiSB_iiii.num_named_barrier, 0
	.set _ZL13mul_mat_vec_fI6__halffLi1ELi224ELb0ELb0EEvPKT_PKfPKi31ggml_cuda_mm_fusion_args_devicePfi15HIP_vector_typeIjLj3EEiiiSB_iiiSB_iiii.private_seg_size, 0
	.set _ZL13mul_mat_vec_fI6__halffLi1ELi224ELb0ELb0EEvPKT_PKfPKi31ggml_cuda_mm_fusion_args_devicePfi15HIP_vector_typeIjLj3EEiiiSB_iiiSB_iiii.uses_vcc, 1
	.set _ZL13mul_mat_vec_fI6__halffLi1ELi224ELb0ELb0EEvPKT_PKfPKi31ggml_cuda_mm_fusion_args_devicePfi15HIP_vector_typeIjLj3EEiiiSB_iiiSB_iiii.uses_flat_scratch, 0
	.set _ZL13mul_mat_vec_fI6__halffLi1ELi224ELb0ELb0EEvPKT_PKfPKi31ggml_cuda_mm_fusion_args_devicePfi15HIP_vector_typeIjLj3EEiiiSB_iiiSB_iiii.has_dyn_sized_stack, 0
	.set _ZL13mul_mat_vec_fI6__halffLi1ELi224ELb0ELb0EEvPKT_PKfPKi31ggml_cuda_mm_fusion_args_devicePfi15HIP_vector_typeIjLj3EEiiiSB_iiiSB_iiii.has_recursion, 0
	.set _ZL13mul_mat_vec_fI6__halffLi1ELi224ELb0ELb0EEvPKT_PKfPKi31ggml_cuda_mm_fusion_args_devicePfi15HIP_vector_typeIjLj3EEiiiSB_iiiSB_iiii.has_indirect_call, 0
	.section	.AMDGPU.csdata,"",@progbits
; Kernel info:
; codeLenInByte = 1084
; TotalNumSgprs: 30
; NumVgprs: 11
; ScratchSize: 0
; MemoryBound: 0
; FloatMode: 240
; IeeeMode: 1
; LDSByteSize: 0 bytes/workgroup (compile time only)
; SGPRBlocks: 0
; VGPRBlocks: 1
; NumSGPRsForWavesPerEU: 30
; NumVGPRsForWavesPerEU: 11
; Occupancy: 16
; WaveLimiterHint : 0
; COMPUTE_PGM_RSRC2:SCRATCH_EN: 0
; COMPUTE_PGM_RSRC2:USER_SGPR: 6
; COMPUTE_PGM_RSRC2:TRAP_HANDLER: 0
; COMPUTE_PGM_RSRC2:TGID_X_EN: 1
; COMPUTE_PGM_RSRC2:TGID_Y_EN: 1
; COMPUTE_PGM_RSRC2:TGID_Z_EN: 1
; COMPUTE_PGM_RSRC2:TIDIG_COMP_CNT: 0
	.section	.text._ZL13mul_mat_vec_fI6__halffLi1ELi256ELb1ELb0EEvPKT_PKfPKi31ggml_cuda_mm_fusion_args_devicePfi15HIP_vector_typeIjLj3EEiiiSB_iiiSB_iiii,"axG",@progbits,_ZL13mul_mat_vec_fI6__halffLi1ELi256ELb1ELb0EEvPKT_PKfPKi31ggml_cuda_mm_fusion_args_devicePfi15HIP_vector_typeIjLj3EEiiiSB_iiiSB_iiii,comdat
	.globl	_ZL13mul_mat_vec_fI6__halffLi1ELi256ELb1ELb0EEvPKT_PKfPKi31ggml_cuda_mm_fusion_args_devicePfi15HIP_vector_typeIjLj3EEiiiSB_iiiSB_iiii ; -- Begin function _ZL13mul_mat_vec_fI6__halffLi1ELi256ELb1ELb0EEvPKT_PKfPKi31ggml_cuda_mm_fusion_args_devicePfi15HIP_vector_typeIjLj3EEiiiSB_iiiSB_iiii
	.p2align	8
	.type	_ZL13mul_mat_vec_fI6__halffLi1ELi256ELb1ELb0EEvPKT_PKfPKi31ggml_cuda_mm_fusion_args_devicePfi15HIP_vector_typeIjLj3EEiiiSB_iiiSB_iiii,@function
_ZL13mul_mat_vec_fI6__halffLi1ELi256ELb1ELb0EEvPKT_PKfPKi31ggml_cuda_mm_fusion_args_devicePfi15HIP_vector_typeIjLj3EEiiiSB_iiiSB_iiii: ; @_ZL13mul_mat_vec_fI6__halffLi1ELi256ELb1ELb0EEvPKT_PKfPKi31ggml_cuda_mm_fusion_args_devicePfi15HIP_vector_typeIjLj3EEiiiSB_iiiSB_iiii
; %bb.0:
	s_clause 0x3
	s_load_dwordx8 s[12:19], s[4:5], 0x0
	s_load_dwordx4 s[24:27], s[4:5], 0x20
	s_load_dwordx4 s[36:39], s[4:5], 0x40
	;; [unrolled: 1-line block ×3, first 2 shown]
	s_mov_b32 s0, s7
	s_waitcnt lgkmcnt(0)
	s_cmp_eq_u64 s[16:17], 0
	s_cselect_b32 s11, -1, 0
	s_cmp_lg_u64 s[16:17], 0
	s_cselect_b32 s1, -1, 0
	s_and_b32 vcc_lo, exec_lo, s11
	s_cbranch_vccnz .LBB206_2
; %bb.1:
	s_mul_i32 s2, s31, s8
	s_mov_b32 s3, 0
	s_add_i32 s2, s2, s0
	s_lshl_b64 s[20:21], s[2:3], 2
	s_add_u32 s16, s16, s20
	s_addc_u32 s17, s17, s21
	s_load_dword s7, s[16:17], 0x0
	s_load_dword s16, s[4:5], 0x50
	s_waitcnt lgkmcnt(0)
	s_mov_b32 s3, s7
	s_cbranch_execz .LBB206_3
	s_branch .LBB206_4
.LBB206_2:
                                        ; implicit-def: $sgpr7
	s_load_dword s16, s[4:5], 0x50
	s_mov_b32 s3, s7
.LBB206_3:
	s_load_dwordx2 s[2:3], s[4:5], 0x5c
	s_mov_b32 s7, s0
	s_waitcnt lgkmcnt(0)
	s_mul_hi_u32 s2, s2, s0
	s_add_i32 s2, s0, s2
	s_lshr_b32 s3, s2, s3
.LBB206_4:
	s_load_dwordx4 s[20:23], s[4:5], 0x68
	s_andn2_b32 vcc_lo, exec_lo, s1
	s_mov_b32 s17, s0
	s_cbranch_vccnz .LBB206_6
; %bb.5:
	s_mul_hi_u32 s1, s37, s0
	s_add_i32 s1, s0, s1
	s_lshr_b32 s1, s1, s38
	s_mul_i32 s1, s1, s39
	s_sub_i32 s17, s0, s1
.LBB206_6:
	s_load_dword s31, s[4:5], 0x78
	s_cmp_lg_u64 s[24:25], 0
	v_cmp_gt_u32_e64 s2, 32, v0
	v_lshl_add_u32 v8, v0, 2, 0
	s_cselect_b32 s1, -1, 0
	s_cmp_eq_u64 s[24:25], 0
	s_cselect_b32 s9, -1, 0
	s_and_saveexec_b32 s10, s2
	s_cbranch_execz .LBB206_9
; %bb.7:
	v_mov_b32_e32 v1, 0
	s_andn2_b32 vcc_lo, exec_lo, s1
	ds_write_b32 v8, v1
	s_cbranch_vccnz .LBB206_9
; %bb.8:
	ds_write_b32 v8, v1 offset:128
.LBB206_9:
	s_or_b32 exec_lo, exec_lo, s10
	v_mov_b32_e32 v7, 0
	v_mov_b32_e32 v9, 0
	s_and_b32 s11, exec_lo, s11
	s_mov_b32 s10, 0
	s_cselect_b32 s11, s8, 0
	s_mov_b32 s8, exec_lo
	s_waitcnt lgkmcnt(0)
	s_barrier
	buffer_gl0_inv
	v_cmpx_gt_i32_e64 s36, v0
	s_cbranch_execz .LBB206_16
; %bb.10:
	s_mul_hi_u32 s23, s23, s11
	s_mul_i32 s3, s3, s20
	s_add_i32 s23, s11, s23
	s_mul_i32 s16, s16, s6
	s_lshr_b32 s20, s23, s31
	s_ashr_i32 s31, s16, 31
	s_mul_hi_i32 s23, s20, s28
	s_mul_i32 s20, s20, s28
	s_ashr_i32 s28, s3, 31
	s_add_u32 s16, s20, s16
	s_addc_u32 s23, s23, s31
	s_mul_i32 s20, s17, s21
	s_add_u32 s16, s16, s3
	s_addc_u32 s17, s23, s28
	s_ashr_i32 s21, s20, 31
	s_and_b32 s3, s1, exec_lo
	s_cselect_b32 s3, s25, 0
	s_cselect_b32 s23, s24, 0
	;; [unrolled: 1-line block ×4, first 2 shown]
	v_lshlrev_b32_e32 v5, 2, v0
	s_lshl_b64 s[24:25], s[24:25], 1
	v_lshlrev_b32_e32 v3, 3, v0
	s_add_u32 s23, s23, s24
	s_addc_u32 s3, s3, s25
	s_mul_hi_i32 s25, s11, s29
	s_mul_i32 s24, s11, s29
	v_add_co_u32 v1, s23, s23, v5
	s_lshl_b64 s[20:21], s[20:21], 2
	s_lshl_b64 s[24:25], s[24:25], 2
	v_add_co_ci_u32_e64 v2, null, s3, 0, s23
	s_add_u32 s3, s14, s20
	s_addc_u32 s14, s15, s21
	s_add_u32 s3, s3, s24
	s_addc_u32 s14, s14, s25
	v_add_co_u32 v3, s3, s3, v3
	v_add_co_ci_u32_e64 v4, null, s14, 0, s3
	s_lshl_b64 s[14:15], s[16:17], 1
	v_add_co_u32 v3, vcc_lo, v3, 4
	s_add_u32 s3, s12, s14
	s_addc_u32 s12, s13, s15
	v_add_co_u32 v5, s3, s3, v5
	v_mov_b32_e32 v7, 0
	v_add_co_ci_u32_e64 v4, null, 0, v4, vcc_lo
	v_add_co_ci_u32_e64 v6, null, s12, 0, s3
	v_mov_b32_e32 v10, v0
	v_mov_b32_e32 v9, 0
	s_inst_prefetch 0x1
	s_branch .LBB206_13
	.p2align	6
.LBB206_11:                             ;   in Loop: Header=BB206_13 Depth=1
	global_load_dword v12, v[1:2], off
	s_waitcnt vmcnt(0)
	v_cvt_f32_f16_e32 v13, v12
	v_cvt_f32_f16_sdwa v12, v12 dst_sel:DWORD dst_unused:UNUSED_PAD src0_sel:WORD_1
.LBB206_12:                             ;   in Loop: Header=BB206_13 Depth=1
	global_load_dwordx2 v[14:15], v[3:4], off offset:-4
	v_add_nc_u32_e32 v10, 0x100, v10
	v_add_co_u32 v1, vcc_lo, 0x400, v1
	v_add_co_ci_u32_e64 v2, null, 0, v2, vcc_lo
	v_add_co_u32 v3, vcc_lo, 0x800, v3
	v_add_co_ci_u32_e64 v4, null, 0, v4, vcc_lo
	v_cmp_le_i32_e32 vcc_lo, s36, v10
	v_add_co_u32 v5, s3, 0x400, v5
	v_add_co_ci_u32_e64 v6, null, 0, v6, s3
	s_or_b32 s10, vcc_lo, s10
	s_waitcnt vmcnt(0)
	v_fma_f32 v13, v14, v13, v7
	v_fma_mix_f32 v9, v14, v11, v9 op_sel_hi:[0,1,0]
	v_fmac_f32_e32 v13, v15, v12
	v_fma_mix_f32 v9, v15, v11, v9 op_sel:[0,1,0] op_sel_hi:[0,1,0]
	v_cndmask_b32_e64 v7, v7, v13, s1
	s_andn2_b32 exec_lo, exec_lo, s10
	s_cbranch_execz .LBB206_15
.LBB206_13:                             ; =>This Inner Loop Header: Depth=1
	global_load_dword v11, v[5:6], off
	s_andn2_b32 vcc_lo, exec_lo, s1
	s_cbranch_vccz .LBB206_11
; %bb.14:                               ;   in Loop: Header=BB206_13 Depth=1
	v_mov_b32_e32 v12, 0
	v_mov_b32_e32 v13, 0
	s_branch .LBB206_12
.LBB206_15:
	s_inst_prefetch 0x2
	s_or_b32 exec_lo, exec_lo, s10
.LBB206_16:
	s_or_b32 exec_lo, exec_lo, s8
	v_mbcnt_lo_u32_b32 v1, -1, 0
	s_load_dword s10, s[4:5], 0x30
	s_mov_b32 s3, -1
	v_xor_b32_e32 v2, 16, v1
	v_xor_b32_e32 v3, 8, v1
	v_cmp_gt_i32_e32 vcc_lo, 32, v2
	v_cndmask_b32_e32 v2, v1, v2, vcc_lo
	v_cmp_gt_i32_e32 vcc_lo, 32, v3
	v_lshlrev_b32_e32 v2, 2, v2
	v_cndmask_b32_e32 v3, v1, v3, vcc_lo
	ds_bpermute_b32 v4, v2, v9
	v_lshlrev_b32_e32 v3, 2, v3
	s_waitcnt lgkmcnt(0)
	v_add_f32_e32 v5, v9, v4
	v_xor_b32_e32 v4, 4, v1
	ds_bpermute_b32 v6, v3, v5
	v_cmp_gt_i32_e32 vcc_lo, 32, v4
	v_cndmask_b32_e32 v4, v1, v4, vcc_lo
	v_lshlrev_b32_e32 v4, 2, v4
	s_waitcnt lgkmcnt(0)
	v_add_f32_e32 v6, v5, v6
	v_xor_b32_e32 v5, 2, v1
	ds_bpermute_b32 v9, v4, v6
	v_cmp_gt_i32_e32 vcc_lo, 32, v5
	v_cndmask_b32_e32 v5, v1, v5, vcc_lo
	;; [unrolled: 7-line block ×3, first 2 shown]
	s_and_b32 vcc_lo, exec_lo, s9
	v_lshlrev_b32_e32 v6, 2, v1
	s_waitcnt lgkmcnt(0)
	v_add_f32_e32 v1, v9, v10
	v_lshrrev_b32_e32 v10, 5, v0
	ds_bpermute_b32 v9, v6, v1
	s_waitcnt lgkmcnt(0)
	v_add_f32_e32 v1, v1, v9
	v_lshl_add_u32 v9, v10, 2, 0
	s_cbranch_vccz .LBB206_18
; %bb.17:
	s_mov_b32 s3, 0
	ds_write_b32 v9, v1
.LBB206_18:
	s_andn2_b32 vcc_lo, exec_lo, s3
	s_cbranch_vccnz .LBB206_20
; %bb.19:
	ds_bpermute_b32 v10, v2, v7
	s_waitcnt lgkmcnt(0)
	v_add_f32_e32 v7, v7, v10
	ds_bpermute_b32 v10, v3, v7
	s_waitcnt lgkmcnt(0)
	v_add_f32_e32 v7, v7, v10
	;; [unrolled: 3-line block ×5, first 2 shown]
	ds_write2_b32 v9, v1, v7 offset1:32
.LBB206_20:
	s_waitcnt lgkmcnt(0)
	s_barrier
	buffer_gl0_inv
	s_and_saveexec_b32 s3, s2
	s_cbranch_execz .LBB206_24
; %bb.21:
	ds_read_b32 v1, v8
	s_andn2_b32 vcc_lo, exec_lo, s1
	s_waitcnt lgkmcnt(0)
	ds_bpermute_b32 v9, v2, v1
	s_waitcnt lgkmcnt(0)
	v_add_f32_e32 v1, v1, v9
	ds_bpermute_b32 v9, v3, v1
	s_waitcnt lgkmcnt(0)
	v_add_f32_e32 v1, v1, v9
	ds_bpermute_b32 v9, v4, v1
	s_waitcnt lgkmcnt(0)
	v_add_f32_e32 v1, v1, v9
	ds_bpermute_b32 v9, v5, v1
	s_waitcnt lgkmcnt(0)
	v_add_f32_e32 v1, v1, v9
	ds_bpermute_b32 v9, v6, v1
	s_cbranch_vccnz .LBB206_23
; %bb.22:
	ds_read_b32 v7, v8 offset:128
	s_waitcnt lgkmcnt(0)
	ds_bpermute_b32 v2, v2, v7
	s_waitcnt lgkmcnt(0)
	v_add_f32_e32 v2, v7, v2
	ds_bpermute_b32 v3, v3, v2
	s_waitcnt lgkmcnt(0)
	v_add_f32_e32 v2, v2, v3
	;; [unrolled: 3-line block ×5, first 2 shown]
.LBB206_23:
	s_waitcnt lgkmcnt(0)
	v_add_f32_e32 v1, v1, v9
.LBB206_24:
	s_or_b32 exec_lo, exec_lo, s3
	s_barrier
	buffer_gl0_inv
	s_mov_b32 s2, exec_lo
	v_cmpx_eq_u32_e32 0, v0
	s_cbranch_execz .LBB206_48
; %bb.25:
	s_cmp_eq_u64 s[18:19], 0
	s_mul_i32 s8, s7, s22
	s_cselect_b32 s2, -1, 0
	s_ashr_i32 s9, s8, 31
	s_mul_hi_i32 s3, s30, s11
	s_and_b32 vcc_lo, exec_lo, s2
	s_mul_i32 s2, s30, s11
	s_cbranch_vccnz .LBB206_27
; %bb.26:
	s_cselect_b32 s7, 0, s19
	s_cselect_b32 s11, 0, s18
	s_lshl_b64 s[12:13], s[2:3], 2
	s_add_u32 s11, s11, s12
	s_addc_u32 s7, s7, s13
	s_lshl_b64 s[12:13], s[8:9], 2
	s_add_u32 s11, s11, s12
	s_addc_u32 s14, s7, s13
	s_ashr_i32 s7, s6, 31
	s_lshl_b64 s[12:13], s[6:7], 2
	s_add_u32 s12, s11, s12
	s_addc_u32 s13, s14, s13
	s_load_dword s7, s[12:13], 0x0
	s_waitcnt lgkmcnt(0)
	v_add_f32_e32 v1, s7, v1
.LBB206_27:
	s_andn2_b32 vcc_lo, exec_lo, s1
	s_cbranch_vccnz .LBB206_47
; %bb.28:
	s_cmp_lg_u64 s[26:27], 0
	s_cselect_b32 s7, -1, 0
	s_and_b32 s1, s7, s1
	s_andn2_b32 vcc_lo, exec_lo, s1
	s_cbranch_vccnz .LBB206_30
; %bb.29:
	s_and_b32 s1, s7, exec_lo
	s_cselect_b32 s1, s27, 0
	s_cselect_b32 s7, s26, 0
	s_lshl_b64 s[12:13], s[2:3], 2
	s_add_u32 s7, s7, s12
	s_addc_u32 s1, s1, s13
	s_lshl_b64 s[8:9], s[8:9], 2
	s_add_u32 s11, s7, s8
	s_addc_u32 s1, s1, s9
	s_ashr_i32 s7, s6, 31
	s_lshl_b64 s[8:9], s[6:7], 2
	s_add_u32 s8, s11, s8
	s_addc_u32 s9, s1, s9
	s_load_dword s1, s[8:9], 0x0
	s_waitcnt lgkmcnt(0)
	v_add_f32_e32 v7, s1, v7
.LBB206_30:
	s_cmp_lt_i32 s10, 2
	s_cbranch_scc1 .LBB206_35
; %bb.31:
	s_cmp_lt_i32 s10, 3
	s_cbranch_scc1 .LBB206_36
; %bb.32:
	v_mov_b32_e32 v0, v1
	s_cmp_eq_u32 s10, 3
	s_cbranch_scc0 .LBB206_34
; %bb.33:
	v_max_f32_e32 v0, v7, v7
	v_min_f32_e32 v0, 0x40e00000, v0
	v_mul_f32_e32 v2, 0xbfd9db23, v0
	v_mul_f32_e32 v3, 0x3fb8aa3b, v2
	v_cmp_ngt_f32_e32 vcc_lo, 0xc2ce8ed0, v2
	v_fma_f32 v4, 0x3fb8aa3b, v2, -v3
	v_rndne_f32_e32 v5, v3
	v_fmamk_f32 v4, v2, 0x32a5705f, v4
	v_sub_f32_e32 v3, v3, v5
	v_add_f32_e32 v3, v3, v4
	v_cvt_i32_f32_e32 v4, v5
	v_exp_f32_e32 v3, v3
	v_ldexp_f32 v3, v3, v4
	v_cndmask_b32_e32 v3, 0, v3, vcc_lo
	v_cmp_nlt_f32_e32 vcc_lo, 0x42b17218, v2
	v_cndmask_b32_e32 v2, 0x7f800000, v3, vcc_lo
	v_add_f32_e32 v2, 1.0, v2
	v_div_scale_f32 v3, null, v2, v2, v0
	v_div_scale_f32 v6, vcc_lo, v0, v2, v0
	v_rcp_f32_e32 v4, v3
	v_fma_f32 v5, -v3, v4, 1.0
	v_fmac_f32_e32 v4, v5, v4
	v_mul_f32_e32 v5, v6, v4
	v_fma_f32 v8, -v3, v5, v6
	v_fmac_f32_e32 v5, v8, v4
	v_max_f32_e32 v8, v1, v1
	v_fma_f32 v3, -v3, v5, v6
	v_min_f32_e32 v6, 0x40e00000, v8
	v_div_fmas_f32 v3, v3, v4, v5
	v_max_f32_e32 v4, 0xc0e00000, v6
	v_div_fixup_f32 v0, v3, v2, v0
	v_add_f32_e32 v2, 1.0, v4
	v_mul_f32_e32 v0, v2, v0
.LBB206_34:
	s_cbranch_execz .LBB206_37
	s_branch .LBB206_38
.LBB206_35:
                                        ; implicit-def: $vgpr0
	s_branch .LBB206_39
.LBB206_36:
                                        ; implicit-def: $vgpr0
.LBB206_37:
	v_mul_f32_e32 v0, 0xbfb8aa3b, v7
	v_cmp_nlt_f32_e32 vcc_lo, 0x42ce8ed0, v7
	v_rndne_f32_e32 v2, v0
	v_fma_f32 v3, 0xbfb8aa3b, v7, -v0
	v_sub_f32_e32 v0, v0, v2
	v_fmamk_f32 v3, v7, 0xb2a5705f, v3
	v_cvt_i32_f32_e32 v2, v2
	v_add_f32_e32 v0, v0, v3
	v_exp_f32_e32 v0, v0
	v_ldexp_f32 v0, v0, v2
	v_cndmask_b32_e32 v0, 0, v0, vcc_lo
	v_cmp_ngt_f32_e32 vcc_lo, 0xc2b17218, v7
	v_cndmask_b32_e32 v0, 0x7f800000, v0, vcc_lo
	v_add_f32_e32 v0, 1.0, v0
	v_div_scale_f32 v2, null, v0, v0, v7
	v_rcp_f32_e32 v3, v2
	v_fma_f32 v4, -v2, v3, 1.0
	v_fmac_f32_e32 v3, v4, v3
	v_div_scale_f32 v4, vcc_lo, v7, v0, v7
	v_mul_f32_e32 v5, v4, v3
	v_fma_f32 v6, -v2, v5, v4
	v_fmac_f32_e32 v5, v6, v3
	v_fma_f32 v2, -v2, v5, v4
	v_div_fmas_f32 v2, v2, v3, v5
	v_div_fixup_f32 v0, v2, v0, v7
	v_mul_f32_e32 v0, v1, v0
.LBB206_38:
	s_cbranch_execnz .LBB206_46
.LBB206_39:
	s_cmp_eq_u32 s10, 1
	s_cbranch_scc0 .LBB206_45
; %bb.40:
	v_mul_f32_e32 v0, 0x3d372713, v7
	v_mul_f32_e32 v2, 0x3f4c422a, v7
	v_fma_f32 v0, v7, v0, 1.0
	v_mul_f32_e32 v0, v2, v0
                                        ; implicit-def: $vgpr2
	v_cmp_ngt_f32_e64 s1, 0x3f200000, |v0|
	s_and_saveexec_b32 s7, s1
	s_xor_b32 s1, exec_lo, s7
	s_cbranch_execz .LBB206_42
; %bb.41:
	v_add_f32_e64 v2, |v0|, |v0|
	v_mul_f32_e32 v3, 0x3fb8aa3b, v2
	v_cmp_ngt_f32_e32 vcc_lo, 0xc2ce8ed0, v2
	v_rndne_f32_e32 v4, v3
	v_fma_f32 v5, 0x3fb8aa3b, v2, -v3
	v_sub_f32_e32 v3, v3, v4
	v_fmamk_f32 v5, v2, 0x32a5705f, v5
	v_cvt_i32_f32_e32 v4, v4
	v_add_f32_e32 v3, v3, v5
	v_exp_f32_e32 v3, v3
	v_ldexp_f32 v3, v3, v4
	v_cndmask_b32_e32 v3, 0, v3, vcc_lo
	v_cmp_nlt_f32_e32 vcc_lo, 0x42b17218, v2
	v_cndmask_b32_e32 v2, 0x7f800000, v3, vcc_lo
	v_add_f32_e32 v2, 1.0, v2
	v_rcp_f32_e32 v2, v2
	v_fma_f32 v2, v2, -2.0, 1.0
.LBB206_42:
	s_andn2_saveexec_b32 s1, s1
	s_cbranch_execz .LBB206_44
; %bb.43:
	v_mul_f32_e32 v2, v0, v0
	s_mov_b32 s7, 0xbbbac73d
	v_fmaak_f32 v3, s7, v2, 0x3ca908c9
	v_fmaak_f32 v3, v2, v3, 0xbd5c1c4e
	;; [unrolled: 1-line block ×4, first 2 shown]
	v_mul_f32_e64 v3, |v0|, v3
	v_fma_f32 v2, v2, v3, |v0|
.LBB206_44:
	s_or_b32 exec_lo, exec_lo, s1
	v_bfi_b32 v0, 0x7fffffff, v2, v0
	v_mul_f32_e32 v2, 0.5, v7
	v_add_f32_e32 v0, 1.0, v0
	v_mul_f32_e32 v0, v2, v0
	v_mul_f32_e32 v1, v1, v0
.LBB206_45:
	v_mov_b32_e32 v0, v1
.LBB206_46:
	v_mov_b32_e32 v1, v0
.LBB206_47:
	s_load_dwordx2 s[4:5], s[4:5], 0x38
	s_mul_i32 s0, s22, s0
	s_lshl_b64 s[2:3], s[2:3], 2
	s_ashr_i32 s1, s0, 31
	v_mov_b32_e32 v0, 0
	s_waitcnt lgkmcnt(0)
	s_add_u32 s2, s4, s2
	s_addc_u32 s3, s5, s3
	s_lshl_b64 s[0:1], s[0:1], 2
	s_add_u32 s2, s2, s0
	s_addc_u32 s3, s3, s1
	s_ashr_i32 s7, s6, 31
	s_lshl_b64 s[0:1], s[6:7], 2
	s_add_u32 s0, s2, s0
	s_addc_u32 s1, s3, s1
	global_store_dword v0, v1, s[0:1]
.LBB206_48:
	s_endpgm
	.section	.rodata,"a",@progbits
	.p2align	6, 0x0
	.amdhsa_kernel _ZL13mul_mat_vec_fI6__halffLi1ELi256ELb1ELb0EEvPKT_PKfPKi31ggml_cuda_mm_fusion_args_devicePfi15HIP_vector_typeIjLj3EEiiiSB_iiiSB_iiii
		.amdhsa_group_segment_fixed_size 0
		.amdhsa_private_segment_fixed_size 0
		.amdhsa_kernarg_size 144
		.amdhsa_user_sgpr_count 6
		.amdhsa_user_sgpr_private_segment_buffer 1
		.amdhsa_user_sgpr_dispatch_ptr 0
		.amdhsa_user_sgpr_queue_ptr 0
		.amdhsa_user_sgpr_kernarg_segment_ptr 1
		.amdhsa_user_sgpr_dispatch_id 0
		.amdhsa_user_sgpr_flat_scratch_init 0
		.amdhsa_user_sgpr_private_segment_size 0
		.amdhsa_wavefront_size32 1
		.amdhsa_uses_dynamic_stack 0
		.amdhsa_system_sgpr_private_segment_wavefront_offset 0
		.amdhsa_system_sgpr_workgroup_id_x 1
		.amdhsa_system_sgpr_workgroup_id_y 1
		.amdhsa_system_sgpr_workgroup_id_z 1
		.amdhsa_system_sgpr_workgroup_info 0
		.amdhsa_system_vgpr_workitem_id 0
		.amdhsa_next_free_vgpr 16
		.amdhsa_next_free_sgpr 40
		.amdhsa_reserve_vcc 1
		.amdhsa_reserve_flat_scratch 0
		.amdhsa_float_round_mode_32 0
		.amdhsa_float_round_mode_16_64 0
		.amdhsa_float_denorm_mode_32 3
		.amdhsa_float_denorm_mode_16_64 3
		.amdhsa_dx10_clamp 1
		.amdhsa_ieee_mode 1
		.amdhsa_fp16_overflow 0
		.amdhsa_workgroup_processor_mode 1
		.amdhsa_memory_ordered 1
		.amdhsa_forward_progress 1
		.amdhsa_shared_vgpr_count 0
		.amdhsa_exception_fp_ieee_invalid_op 0
		.amdhsa_exception_fp_denorm_src 0
		.amdhsa_exception_fp_ieee_div_zero 0
		.amdhsa_exception_fp_ieee_overflow 0
		.amdhsa_exception_fp_ieee_underflow 0
		.amdhsa_exception_fp_ieee_inexact 0
		.amdhsa_exception_int_div_zero 0
	.end_amdhsa_kernel
	.section	.text._ZL13mul_mat_vec_fI6__halffLi1ELi256ELb1ELb0EEvPKT_PKfPKi31ggml_cuda_mm_fusion_args_devicePfi15HIP_vector_typeIjLj3EEiiiSB_iiiSB_iiii,"axG",@progbits,_ZL13mul_mat_vec_fI6__halffLi1ELi256ELb1ELb0EEvPKT_PKfPKi31ggml_cuda_mm_fusion_args_devicePfi15HIP_vector_typeIjLj3EEiiiSB_iiiSB_iiii,comdat
.Lfunc_end206:
	.size	_ZL13mul_mat_vec_fI6__halffLi1ELi256ELb1ELb0EEvPKT_PKfPKi31ggml_cuda_mm_fusion_args_devicePfi15HIP_vector_typeIjLj3EEiiiSB_iiiSB_iiii, .Lfunc_end206-_ZL13mul_mat_vec_fI6__halffLi1ELi256ELb1ELb0EEvPKT_PKfPKi31ggml_cuda_mm_fusion_args_devicePfi15HIP_vector_typeIjLj3EEiiiSB_iiiSB_iiii
                                        ; -- End function
	.set _ZL13mul_mat_vec_fI6__halffLi1ELi256ELb1ELb0EEvPKT_PKfPKi31ggml_cuda_mm_fusion_args_devicePfi15HIP_vector_typeIjLj3EEiiiSB_iiiSB_iiii.num_vgpr, 16
	.set _ZL13mul_mat_vec_fI6__halffLi1ELi256ELb1ELb0EEvPKT_PKfPKi31ggml_cuda_mm_fusion_args_devicePfi15HIP_vector_typeIjLj3EEiiiSB_iiiSB_iiii.num_agpr, 0
	.set _ZL13mul_mat_vec_fI6__halffLi1ELi256ELb1ELb0EEvPKT_PKfPKi31ggml_cuda_mm_fusion_args_devicePfi15HIP_vector_typeIjLj3EEiiiSB_iiiSB_iiii.numbered_sgpr, 40
	.set _ZL13mul_mat_vec_fI6__halffLi1ELi256ELb1ELb0EEvPKT_PKfPKi31ggml_cuda_mm_fusion_args_devicePfi15HIP_vector_typeIjLj3EEiiiSB_iiiSB_iiii.num_named_barrier, 0
	.set _ZL13mul_mat_vec_fI6__halffLi1ELi256ELb1ELb0EEvPKT_PKfPKi31ggml_cuda_mm_fusion_args_devicePfi15HIP_vector_typeIjLj3EEiiiSB_iiiSB_iiii.private_seg_size, 0
	.set _ZL13mul_mat_vec_fI6__halffLi1ELi256ELb1ELb0EEvPKT_PKfPKi31ggml_cuda_mm_fusion_args_devicePfi15HIP_vector_typeIjLj3EEiiiSB_iiiSB_iiii.uses_vcc, 1
	.set _ZL13mul_mat_vec_fI6__halffLi1ELi256ELb1ELb0EEvPKT_PKfPKi31ggml_cuda_mm_fusion_args_devicePfi15HIP_vector_typeIjLj3EEiiiSB_iiiSB_iiii.uses_flat_scratch, 0
	.set _ZL13mul_mat_vec_fI6__halffLi1ELi256ELb1ELb0EEvPKT_PKfPKi31ggml_cuda_mm_fusion_args_devicePfi15HIP_vector_typeIjLj3EEiiiSB_iiiSB_iiii.has_dyn_sized_stack, 0
	.set _ZL13mul_mat_vec_fI6__halffLi1ELi256ELb1ELb0EEvPKT_PKfPKi31ggml_cuda_mm_fusion_args_devicePfi15HIP_vector_typeIjLj3EEiiiSB_iiiSB_iiii.has_recursion, 0
	.set _ZL13mul_mat_vec_fI6__halffLi1ELi256ELb1ELb0EEvPKT_PKfPKi31ggml_cuda_mm_fusion_args_devicePfi15HIP_vector_typeIjLj3EEiiiSB_iiiSB_iiii.has_indirect_call, 0
	.section	.AMDGPU.csdata,"",@progbits
; Kernel info:
; codeLenInByte = 2284
; TotalNumSgprs: 42
; NumVgprs: 16
; ScratchSize: 0
; MemoryBound: 0
; FloatMode: 240
; IeeeMode: 1
; LDSByteSize: 0 bytes/workgroup (compile time only)
; SGPRBlocks: 0
; VGPRBlocks: 1
; NumSGPRsForWavesPerEU: 42
; NumVGPRsForWavesPerEU: 16
; Occupancy: 16
; WaveLimiterHint : 1
; COMPUTE_PGM_RSRC2:SCRATCH_EN: 0
; COMPUTE_PGM_RSRC2:USER_SGPR: 6
; COMPUTE_PGM_RSRC2:TRAP_HANDLER: 0
; COMPUTE_PGM_RSRC2:TGID_X_EN: 1
; COMPUTE_PGM_RSRC2:TGID_Y_EN: 1
; COMPUTE_PGM_RSRC2:TGID_Z_EN: 1
; COMPUTE_PGM_RSRC2:TIDIG_COMP_CNT: 0
	.section	.text._ZL13mul_mat_vec_fI6__halffLi1ELi256ELb0ELb0EEvPKT_PKfPKi31ggml_cuda_mm_fusion_args_devicePfi15HIP_vector_typeIjLj3EEiiiSB_iiiSB_iiii,"axG",@progbits,_ZL13mul_mat_vec_fI6__halffLi1ELi256ELb0ELb0EEvPKT_PKfPKi31ggml_cuda_mm_fusion_args_devicePfi15HIP_vector_typeIjLj3EEiiiSB_iiiSB_iiii,comdat
	.globl	_ZL13mul_mat_vec_fI6__halffLi1ELi256ELb0ELb0EEvPKT_PKfPKi31ggml_cuda_mm_fusion_args_devicePfi15HIP_vector_typeIjLj3EEiiiSB_iiiSB_iiii ; -- Begin function _ZL13mul_mat_vec_fI6__halffLi1ELi256ELb0ELb0EEvPKT_PKfPKi31ggml_cuda_mm_fusion_args_devicePfi15HIP_vector_typeIjLj3EEiiiSB_iiiSB_iiii
	.p2align	8
	.type	_ZL13mul_mat_vec_fI6__halffLi1ELi256ELb0ELb0EEvPKT_PKfPKi31ggml_cuda_mm_fusion_args_devicePfi15HIP_vector_typeIjLj3EEiiiSB_iiiSB_iiii,@function
_ZL13mul_mat_vec_fI6__halffLi1ELi256ELb0ELb0EEvPKT_PKfPKi31ggml_cuda_mm_fusion_args_devicePfi15HIP_vector_typeIjLj3EEiiiSB_iiiSB_iiii: ; @_ZL13mul_mat_vec_fI6__halffLi1ELi256ELb0ELb0EEvPKT_PKfPKi31ggml_cuda_mm_fusion_args_devicePfi15HIP_vector_typeIjLj3EEiiiSB_iiiSB_iiii
; %bb.0:
	s_clause 0x2
	s_load_dwordx2 s[2:3], s[4:5], 0x10
	s_load_dwordx4 s[20:23], s[4:5], 0x40
	s_load_dwordx4 s[12:15], s[4:5], 0x80
	s_waitcnt lgkmcnt(0)
	s_cmp_eq_u64 s[2:3], 0
	s_cselect_b32 s9, -1, 0
	s_cmp_lg_u64 s[2:3], 0
	s_cselect_b32 s10, -1, 0
	s_and_b32 vcc_lo, exec_lo, s9
	s_cbranch_vccnz .LBB207_2
; %bb.1:
	s_mul_i32 s0, s15, s8
	s_mov_b32 s1, 0
	s_add_i32 s0, s0, s7
	s_lshl_b64 s[16:17], s[0:1], 2
	s_add_u32 s2, s2, s16
	s_addc_u32 s3, s3, s17
	s_load_dword s24, s[2:3], 0x0
	s_load_dword s25, s[4:5], 0x50
	s_cbranch_execz .LBB207_3
	s_branch .LBB207_4
.LBB207_2:
                                        ; implicit-def: $sgpr24
	s_load_dword s25, s[4:5], 0x50
.LBB207_3:
	s_load_dwordx2 s[0:1], s[4:5], 0x5c
	s_waitcnt lgkmcnt(0)
	s_mul_hi_u32 s0, s0, s7
	s_add_i32 s0, s7, s0
	s_lshr_b32 s24, s0, s1
.LBB207_4:
	s_load_dwordx4 s[16:19], s[4:5], 0x68
	s_andn2_b32 vcc_lo, exec_lo, s10
	s_mov_b32 s26, s7
	s_cbranch_vccnz .LBB207_6
; %bb.5:
	s_mul_hi_u32 s0, s21, s7
	s_add_i32 s0, s7, s0
	s_lshr_b32 s0, s0, s22
	s_mul_i32 s0, s0, s23
	s_sub_i32 s26, s7, s0
.LBB207_6:
	s_load_dword s1, s[4:5], 0x78
	v_cmp_gt_u32_e32 vcc_lo, 32, v0
	v_lshl_add_u32 v5, v0, 2, 0
	s_and_saveexec_b32 s0, vcc_lo
; %bb.7:
	v_mov_b32_e32 v1, 0
	ds_write_b32 v5, v1
; %bb.8:
	s_or_b32 exec_lo, exec_lo, s0
	v_mov_b32_e32 v6, 0
	s_and_b32 s0, exec_lo, s9
	s_mov_b32 s3, 0
	s_cselect_b32 s2, s8, 0
	s_mov_b32 s15, exec_lo
	s_waitcnt lgkmcnt(0)
	s_barrier
	buffer_gl0_inv
	v_cmpx_gt_i32_e64 s20, v0
	s_cbranch_execz .LBB207_12
; %bb.9:
	s_load_dwordx4 s[8:11], s[4:5], 0x0
	s_mul_hi_u32 s0, s19, s2
	s_mul_i32 s16, s24, s16
	s_mul_i32 s24, s26, s17
	;; [unrolled: 1-line block ×3, first 2 shown]
	s_add_i32 s0, s2, s0
	s_ashr_i32 s25, s24, 31
	s_mul_hi_i32 s27, s2, s13
	s_mul_i32 s26, s2, s13
	s_lshr_b32 s19, s0, s1
	s_lshl_b64 s[0:1], s[24:25], 2
	v_lshlrev_b32_e32 v1, 3, v0
	s_ashr_i32 s17, s16, 31
	s_ashr_i32 s23, s22, 31
	s_lshl_b64 s[26:27], s[26:27], 2
	s_mul_hi_i32 s13, s19, s12
	s_mul_i32 s12, s19, s12
	v_lshlrev_b32_e32 v3, 2, v0
	v_mov_b32_e32 v6, 0
	v_mov_b32_e32 v7, v0
	s_waitcnt lgkmcnt(0)
	s_add_u32 s0, s10, s0
	s_addc_u32 s1, s11, s1
	s_add_u32 s0, s0, s26
	s_addc_u32 s1, s1, s27
	v_add_co_u32 v1, s0, s0, v1
	v_add_co_ci_u32_e64 v2, null, s1, 0, s0
	s_lshl_b64 s[10:11], s[12:13], 1
	v_add_co_u32 v1, s0, v1, 4
	v_add_co_ci_u32_e64 v2, null, 0, v2, s0
	s_lshl_b64 s[0:1], s[16:17], 1
	s_lshl_b64 s[12:13], s[22:23], 1
	s_add_u32 s0, s8, s0
	s_addc_u32 s1, s9, s1
	s_add_u32 s0, s0, s12
	s_addc_u32 s1, s1, s13
	;; [unrolled: 2-line block ×3, first 2 shown]
	v_add_co_u32 v3, s0, s0, v3
	v_add_co_ci_u32_e64 v4, null, s1, 0, s0
	.p2align	6
.LBB207_10:                             ; =>This Inner Loop Header: Depth=1
	global_load_dword v10, v[3:4], off
	global_load_dwordx2 v[8:9], v[1:2], off offset:-4
	v_add_nc_u32_e32 v7, 0x100, v7
	v_add_co_u32 v1, s0, 0x800, v1
	v_add_co_ci_u32_e64 v2, null, 0, v2, s0
	v_add_co_u32 v3, s0, 0x400, v3
	v_cmp_le_i32_e64 s1, s20, v7
	v_add_co_ci_u32_e64 v4, null, 0, v4, s0
	s_or_b32 s3, s1, s3
	s_waitcnt vmcnt(0)
	v_fma_mix_f32 v6, v8, v10, v6 op_sel_hi:[0,1,0]
	v_fma_mix_f32 v6, v9, v10, v6 op_sel:[0,1,0] op_sel_hi:[0,1,0]
	s_andn2_b32 exec_lo, exec_lo, s3
	s_cbranch_execnz .LBB207_10
; %bb.11:
	s_or_b32 exec_lo, exec_lo, s3
.LBB207_12:
	s_or_b32 exec_lo, exec_lo, s15
	v_mbcnt_lo_u32_b32 v2, -1, 0
	v_xor_b32_e32 v1, 16, v2
	v_xor_b32_e32 v3, 8, v2
	v_cmp_gt_i32_e64 s0, 32, v1
	v_cndmask_b32_e64 v1, v2, v1, s0
	v_cmp_gt_i32_e64 s0, 32, v3
	v_lshlrev_b32_e32 v1, 2, v1
	v_cndmask_b32_e64 v3, v2, v3, s0
	ds_bpermute_b32 v4, v1, v6
	v_lshlrev_b32_e32 v3, 2, v3
	s_waitcnt lgkmcnt(0)
	v_add_f32_e32 v6, v6, v4
	v_xor_b32_e32 v4, 4, v2
	ds_bpermute_b32 v7, v3, v6
	v_cmp_gt_i32_e64 s0, 32, v4
	v_cndmask_b32_e64 v4, v2, v4, s0
	v_lshlrev_b32_e32 v4, 2, v4
	s_waitcnt lgkmcnt(0)
	v_add_f32_e32 v7, v6, v7
	v_xor_b32_e32 v6, 2, v2
	ds_bpermute_b32 v8, v4, v7
	v_cmp_gt_i32_e64 s0, 32, v6
	v_cndmask_b32_e64 v6, v2, v6, s0
	;; [unrolled: 7-line block ×3, first 2 shown]
	v_lshlrev_b32_e32 v7, 2, v2
	s_waitcnt lgkmcnt(0)
	v_add_f32_e32 v2, v8, v9
	v_lshrrev_b32_e32 v9, 3, v0
	ds_bpermute_b32 v8, v7, v2
	v_and_b32_e32 v9, 0x7c, v9
	v_add_nc_u32_e32 v9, 0, v9
	s_waitcnt lgkmcnt(0)
	v_add_f32_e32 v2, v2, v8
	ds_write_b32 v9, v2
	s_waitcnt lgkmcnt(0)
	s_barrier
	buffer_gl0_inv
	s_and_saveexec_b32 s0, vcc_lo
	s_cbranch_execz .LBB207_14
; %bb.13:
	ds_read_b32 v2, v5
	s_waitcnt lgkmcnt(0)
	ds_bpermute_b32 v1, v1, v2
	s_waitcnt lgkmcnt(0)
	v_add_f32_e32 v1, v2, v1
	ds_bpermute_b32 v2, v3, v1
	s_waitcnt lgkmcnt(0)
	v_add_f32_e32 v1, v1, v2
	;; [unrolled: 3-line block ×5, first 2 shown]
.LBB207_14:
	s_or_b32 exec_lo, exec_lo, s0
	s_barrier
	buffer_gl0_inv
	s_mov_b32 s0, exec_lo
	v_cmpx_eq_u32_e32 0, v0
	s_cbranch_execz .LBB207_16
; %bb.15:
	s_load_dwordx2 s[0:1], s[4:5], 0x38
	s_mul_hi_i32 s3, s14, s2
	s_mul_i32 s2, s14, s2
	s_mul_i32 s4, s18, s7
	s_lshl_b64 s[2:3], s[2:3], 2
	s_ashr_i32 s5, s4, 31
	v_mov_b32_e32 v0, 0
	s_waitcnt lgkmcnt(0)
	s_add_u32 s2, s0, s2
	s_addc_u32 s3, s1, s3
	s_lshl_b64 s[0:1], s[4:5], 2
	s_add_u32 s2, s2, s0
	s_addc_u32 s3, s3, s1
	s_ashr_i32 s7, s6, 31
	s_lshl_b64 s[0:1], s[6:7], 2
	s_add_u32 s0, s2, s0
	s_addc_u32 s1, s3, s1
	global_store_dword v0, v2, s[0:1]
.LBB207_16:
	s_endpgm
	.section	.rodata,"a",@progbits
	.p2align	6, 0x0
	.amdhsa_kernel _ZL13mul_mat_vec_fI6__halffLi1ELi256ELb0ELb0EEvPKT_PKfPKi31ggml_cuda_mm_fusion_args_devicePfi15HIP_vector_typeIjLj3EEiiiSB_iiiSB_iiii
		.amdhsa_group_segment_fixed_size 0
		.amdhsa_private_segment_fixed_size 0
		.amdhsa_kernarg_size 144
		.amdhsa_user_sgpr_count 6
		.amdhsa_user_sgpr_private_segment_buffer 1
		.amdhsa_user_sgpr_dispatch_ptr 0
		.amdhsa_user_sgpr_queue_ptr 0
		.amdhsa_user_sgpr_kernarg_segment_ptr 1
		.amdhsa_user_sgpr_dispatch_id 0
		.amdhsa_user_sgpr_flat_scratch_init 0
		.amdhsa_user_sgpr_private_segment_size 0
		.amdhsa_wavefront_size32 1
		.amdhsa_uses_dynamic_stack 0
		.amdhsa_system_sgpr_private_segment_wavefront_offset 0
		.amdhsa_system_sgpr_workgroup_id_x 1
		.amdhsa_system_sgpr_workgroup_id_y 1
		.amdhsa_system_sgpr_workgroup_id_z 1
		.amdhsa_system_sgpr_workgroup_info 0
		.amdhsa_system_vgpr_workitem_id 0
		.amdhsa_next_free_vgpr 11
		.amdhsa_next_free_sgpr 28
		.amdhsa_reserve_vcc 1
		.amdhsa_reserve_flat_scratch 0
		.amdhsa_float_round_mode_32 0
		.amdhsa_float_round_mode_16_64 0
		.amdhsa_float_denorm_mode_32 3
		.amdhsa_float_denorm_mode_16_64 3
		.amdhsa_dx10_clamp 1
		.amdhsa_ieee_mode 1
		.amdhsa_fp16_overflow 0
		.amdhsa_workgroup_processor_mode 1
		.amdhsa_memory_ordered 1
		.amdhsa_forward_progress 1
		.amdhsa_shared_vgpr_count 0
		.amdhsa_exception_fp_ieee_invalid_op 0
		.amdhsa_exception_fp_denorm_src 0
		.amdhsa_exception_fp_ieee_div_zero 0
		.amdhsa_exception_fp_ieee_overflow 0
		.amdhsa_exception_fp_ieee_underflow 0
		.amdhsa_exception_fp_ieee_inexact 0
		.amdhsa_exception_int_div_zero 0
	.end_amdhsa_kernel
	.section	.text._ZL13mul_mat_vec_fI6__halffLi1ELi256ELb0ELb0EEvPKT_PKfPKi31ggml_cuda_mm_fusion_args_devicePfi15HIP_vector_typeIjLj3EEiiiSB_iiiSB_iiii,"axG",@progbits,_ZL13mul_mat_vec_fI6__halffLi1ELi256ELb0ELb0EEvPKT_PKfPKi31ggml_cuda_mm_fusion_args_devicePfi15HIP_vector_typeIjLj3EEiiiSB_iiiSB_iiii,comdat
.Lfunc_end207:
	.size	_ZL13mul_mat_vec_fI6__halffLi1ELi256ELb0ELb0EEvPKT_PKfPKi31ggml_cuda_mm_fusion_args_devicePfi15HIP_vector_typeIjLj3EEiiiSB_iiiSB_iiii, .Lfunc_end207-_ZL13mul_mat_vec_fI6__halffLi1ELi256ELb0ELb0EEvPKT_PKfPKi31ggml_cuda_mm_fusion_args_devicePfi15HIP_vector_typeIjLj3EEiiiSB_iiiSB_iiii
                                        ; -- End function
	.set _ZL13mul_mat_vec_fI6__halffLi1ELi256ELb0ELb0EEvPKT_PKfPKi31ggml_cuda_mm_fusion_args_devicePfi15HIP_vector_typeIjLj3EEiiiSB_iiiSB_iiii.num_vgpr, 11
	.set _ZL13mul_mat_vec_fI6__halffLi1ELi256ELb0ELb0EEvPKT_PKfPKi31ggml_cuda_mm_fusion_args_devicePfi15HIP_vector_typeIjLj3EEiiiSB_iiiSB_iiii.num_agpr, 0
	.set _ZL13mul_mat_vec_fI6__halffLi1ELi256ELb0ELb0EEvPKT_PKfPKi31ggml_cuda_mm_fusion_args_devicePfi15HIP_vector_typeIjLj3EEiiiSB_iiiSB_iiii.numbered_sgpr, 28
	.set _ZL13mul_mat_vec_fI6__halffLi1ELi256ELb0ELb0EEvPKT_PKfPKi31ggml_cuda_mm_fusion_args_devicePfi15HIP_vector_typeIjLj3EEiiiSB_iiiSB_iiii.num_named_barrier, 0
	.set _ZL13mul_mat_vec_fI6__halffLi1ELi256ELb0ELb0EEvPKT_PKfPKi31ggml_cuda_mm_fusion_args_devicePfi15HIP_vector_typeIjLj3EEiiiSB_iiiSB_iiii.private_seg_size, 0
	.set _ZL13mul_mat_vec_fI6__halffLi1ELi256ELb0ELb0EEvPKT_PKfPKi31ggml_cuda_mm_fusion_args_devicePfi15HIP_vector_typeIjLj3EEiiiSB_iiiSB_iiii.uses_vcc, 1
	.set _ZL13mul_mat_vec_fI6__halffLi1ELi256ELb0ELb0EEvPKT_PKfPKi31ggml_cuda_mm_fusion_args_devicePfi15HIP_vector_typeIjLj3EEiiiSB_iiiSB_iiii.uses_flat_scratch, 0
	.set _ZL13mul_mat_vec_fI6__halffLi1ELi256ELb0ELb0EEvPKT_PKfPKi31ggml_cuda_mm_fusion_args_devicePfi15HIP_vector_typeIjLj3EEiiiSB_iiiSB_iiii.has_dyn_sized_stack, 0
	.set _ZL13mul_mat_vec_fI6__halffLi1ELi256ELb0ELb0EEvPKT_PKfPKi31ggml_cuda_mm_fusion_args_devicePfi15HIP_vector_typeIjLj3EEiiiSB_iiiSB_iiii.has_recursion, 0
	.set _ZL13mul_mat_vec_fI6__halffLi1ELi256ELb0ELb0EEvPKT_PKfPKi31ggml_cuda_mm_fusion_args_devicePfi15HIP_vector_typeIjLj3EEiiiSB_iiiSB_iiii.has_indirect_call, 0
	.section	.AMDGPU.csdata,"",@progbits
; Kernel info:
; codeLenInByte = 1084
; TotalNumSgprs: 30
; NumVgprs: 11
; ScratchSize: 0
; MemoryBound: 0
; FloatMode: 240
; IeeeMode: 1
; LDSByteSize: 0 bytes/workgroup (compile time only)
; SGPRBlocks: 0
; VGPRBlocks: 1
; NumSGPRsForWavesPerEU: 30
; NumVGPRsForWavesPerEU: 11
; Occupancy: 16
; WaveLimiterHint : 0
; COMPUTE_PGM_RSRC2:SCRATCH_EN: 0
; COMPUTE_PGM_RSRC2:USER_SGPR: 6
; COMPUTE_PGM_RSRC2:TRAP_HANDLER: 0
; COMPUTE_PGM_RSRC2:TGID_X_EN: 1
; COMPUTE_PGM_RSRC2:TGID_Y_EN: 1
; COMPUTE_PGM_RSRC2:TGID_Z_EN: 1
; COMPUTE_PGM_RSRC2:TIDIG_COMP_CNT: 0
	.section	.text._ZL13mul_mat_vec_fI6__halffLi2ELi32ELb0ELb0EEvPKT_PKfPKi31ggml_cuda_mm_fusion_args_devicePfi15HIP_vector_typeIjLj3EEiiiSB_iiiSB_iiii,"axG",@progbits,_ZL13mul_mat_vec_fI6__halffLi2ELi32ELb0ELb0EEvPKT_PKfPKi31ggml_cuda_mm_fusion_args_devicePfi15HIP_vector_typeIjLj3EEiiiSB_iiiSB_iiii,comdat
	.globl	_ZL13mul_mat_vec_fI6__halffLi2ELi32ELb0ELb0EEvPKT_PKfPKi31ggml_cuda_mm_fusion_args_devicePfi15HIP_vector_typeIjLj3EEiiiSB_iiiSB_iiii ; -- Begin function _ZL13mul_mat_vec_fI6__halffLi2ELi32ELb0ELb0EEvPKT_PKfPKi31ggml_cuda_mm_fusion_args_devicePfi15HIP_vector_typeIjLj3EEiiiSB_iiiSB_iiii
	.p2align	8
	.type	_ZL13mul_mat_vec_fI6__halffLi2ELi32ELb0ELb0EEvPKT_PKfPKi31ggml_cuda_mm_fusion_args_devicePfi15HIP_vector_typeIjLj3EEiiiSB_iiiSB_iiii,@function
_ZL13mul_mat_vec_fI6__halffLi2ELi32ELb0ELb0EEvPKT_PKfPKi31ggml_cuda_mm_fusion_args_devicePfi15HIP_vector_typeIjLj3EEiiiSB_iiiSB_iiii: ; @_ZL13mul_mat_vec_fI6__halffLi2ELi32ELb0ELb0EEvPKT_PKfPKi31ggml_cuda_mm_fusion_args_devicePfi15HIP_vector_typeIjLj3EEiiiSB_iiiSB_iiii
; %bb.0:
	s_clause 0x2
	s_load_dwordx2 s[20:21], s[4:5], 0x10
	s_load_dwordx8 s[12:19], s[4:5], 0x40
	s_load_dwordx4 s[0:3], s[4:5], 0x80
	s_waitcnt lgkmcnt(0)
	s_cmp_eq_u64 s[20:21], 0
	s_cselect_b32 s9, -1, 0
	s_cmp_lg_u64 s[20:21], 0
	s_cselect_b32 s25, -1, 0
	s_and_b32 vcc_lo, exec_lo, s9
	s_cbranch_vccnz .LBB208_2
; %bb.1:
	s_mul_i32 s3, s3, s8
	s_mov_b32 s11, 0
	s_add_i32 s10, s3, s7
	s_lshl_b64 s[22:23], s[10:11], 2
	s_add_u32 s20, s20, s22
	s_addc_u32 s21, s21, s23
	s_load_dword s24, s[20:21], 0x0
	s_load_dwordx4 s[20:23], s[4:5], 0x68
	s_cbranch_execz .LBB208_3
	s_branch .LBB208_4
.LBB208_2:
                                        ; implicit-def: $sgpr24
	s_load_dwordx4 s[20:23], s[4:5], 0x68
.LBB208_3:
	s_load_dwordx2 s[10:11], s[4:5], 0x5c
	s_waitcnt lgkmcnt(0)
	s_mul_hi_u32 s3, s10, s7
	s_add_i32 s3, s7, s3
	s_lshr_b32 s24, s3, s11
.LBB208_4:
	s_load_dword s19, s[4:5], 0x78
	s_andn2_b32 vcc_lo, exec_lo, s25
	s_mov_b32 s25, s7
	s_cbranch_vccnz .LBB208_6
; %bb.5:
	s_mul_hi_u32 s3, s13, s7
	s_add_i32 s3, s7, s3
	s_lshr_b32 s3, s3, s14
	s_mul_i32 s3, s3, s15
	s_sub_i32 s25, s7, s3
.LBB208_6:
	v_mov_b32_e32 v6, 0
	v_mov_b32_e32 v5, 0
	s_and_b32 s3, exec_lo, s9
	s_mov_b32 s14, 0
	s_cselect_b32 s3, s8, 0
	s_mov_b32 s13, exec_lo
	v_cmpx_gt_i32_e64 s12, v0
	s_cbranch_execz .LBB208_10
; %bb.7:
	s_load_dwordx4 s[8:11], s[4:5], 0x0
	s_waitcnt lgkmcnt(0)
	s_mul_hi_u32 s15, s23, s3
	s_mul_i32 s20, s24, s20
	s_add_i32 s15, s3, s15
	s_mul_i32 s16, s16, s6
	s_lshr_b32 s15, s15, s19
	s_mul_i32 s24, s25, s21
	s_ashr_i32 s21, s20, 31
	s_ashr_i32 s27, s17, 31
	s_mov_b32 s26, s17
	s_ashr_i32 s17, s16, 31
	s_mul_hi_i32 s31, s15, s0
	s_mul_i32 s30, s15, s0
	s_lshl_b64 s[20:21], s[20:21], 1
	s_ashr_i32 s25, s24, 31
	s_lshl_b64 s[16:17], s[16:17], 1
	s_lshl_b64 s[30:31], s[30:31], 1
	s_mul_hi_i32 s29, s3, s1
	s_mul_i32 s28, s3, s1
	v_lshlrev_b32_e32 v2, 3, v0
	s_add_u32 s0, s8, s20
	s_addc_u32 s8, s9, s21
	s_add_u32 s0, s0, s16
	s_addc_u32 s8, s8, s17
	;; [unrolled: 2-line block ×3, first 2 shown]
	s_lshl_b64 s[16:17], s[24:25], 2
	s_lshl_b64 s[8:9], s[26:27], 3
	;; [unrolled: 1-line block ×3, first 2 shown]
	s_add_u32 s10, s10, s16
	s_addc_u32 s11, s11, s17
	s_add_u32 s0, s10, s0
	v_lshlrev_b32_e32 v1, 2, v0
	s_addc_u32 s1, s11, s1
	v_add_co_u32 v3, s0, s0, v2
	v_add_co_ci_u32_e64 v4, null, s1, 0, s0
	v_add_co_u32 v1, s0, s15, v1
	v_add_co_u32 v3, vcc_lo, v3, 4
	v_mov_b32_e32 v5, 0
	v_add_co_ci_u32_e64 v2, null, s19, 0, s0
	v_add_co_ci_u32_e64 v4, null, 0, v4, vcc_lo
	v_mov_b32_e32 v7, v0
	v_mov_b32_e32 v6, 0
	s_inst_prefetch 0x1
	.p2align	6
.LBB208_8:                              ; =>This Inner Loop Header: Depth=1
	v_add_co_u32 v8, vcc_lo, v3, s8
	v_add_co_ci_u32_e64 v9, null, s9, v4, vcc_lo
	v_add_nc_u32_e32 v7, 32, v7
	global_load_dword v12, v[1:2], off
	s_clause 0x1
	global_load_dwordx2 v[10:11], v[3:4], off offset:-4
	global_load_dwordx2 v[8:9], v[8:9], off offset:-4
	v_add_co_u32 v1, vcc_lo, 0x80, v1
	v_add_co_ci_u32_e64 v2, null, 0, v2, vcc_lo
	v_cmp_le_i32_e32 vcc_lo, s12, v7
	v_add_co_u32 v3, s0, 0x100, v3
	v_add_co_ci_u32_e64 v4, null, 0, v4, s0
	s_or_b32 s14, vcc_lo, s14
	s_waitcnt vmcnt(1)
	v_fma_mix_f32 v5, v10, v12, v5 op_sel_hi:[0,1,0]
	s_waitcnt vmcnt(0)
	v_fma_mix_f32 v6, v8, v12, v6 op_sel_hi:[0,1,0]
	v_fma_mix_f32 v5, v11, v12, v5 op_sel:[0,1,0] op_sel_hi:[0,1,0]
	v_fma_mix_f32 v6, v9, v12, v6 op_sel:[0,1,0] op_sel_hi:[0,1,0]
	s_andn2_b32 exec_lo, exec_lo, s14
	s_cbranch_execnz .LBB208_8
; %bb.9:
	s_inst_prefetch 0x2
	s_or_b32 exec_lo, exec_lo, s14
.LBB208_10:
	s_or_b32 exec_lo, exec_lo, s13
	v_mbcnt_lo_u32_b32 v1, -1, 0
	s_mov_b32 s0, exec_lo
	v_xor_b32_e32 v2, 16, v1
	v_xor_b32_e32 v4, 8, v1
	v_cmp_gt_i32_e32 vcc_lo, 32, v2
	v_cndmask_b32_e32 v2, v1, v2, vcc_lo
	v_cmp_gt_i32_e32 vcc_lo, 32, v4
	v_lshlrev_b32_e32 v2, 2, v2
	v_cndmask_b32_e32 v4, v1, v4, vcc_lo
	ds_bpermute_b32 v3, v2, v5
	ds_bpermute_b32 v2, v2, v6
	v_lshlrev_b32_e32 v4, 2, v4
	s_waitcnt lgkmcnt(0)
	v_add_f32_e32 v3, v5, v3
	v_add_f32_e32 v2, v6, v2
	v_xor_b32_e32 v6, 4, v1
	ds_bpermute_b32 v5, v4, v3
	ds_bpermute_b32 v4, v4, v2
	v_cmp_gt_i32_e32 vcc_lo, 32, v6
	v_cndmask_b32_e32 v6, v1, v6, vcc_lo
	v_lshlrev_b32_e32 v6, 2, v6
	s_waitcnt lgkmcnt(1)
	v_add_f32_e32 v3, v3, v5
	s_waitcnt lgkmcnt(0)
	v_add_f32_e32 v2, v2, v4
	ds_bpermute_b32 v4, v6, v3
	ds_bpermute_b32 v5, v6, v2
	v_xor_b32_e32 v6, 2, v1
	v_cmp_gt_i32_e32 vcc_lo, 32, v6
	v_cndmask_b32_e32 v6, v1, v6, vcc_lo
	v_lshlrev_b32_e32 v6, 2, v6
	s_waitcnt lgkmcnt(1)
	v_add_f32_e32 v3, v3, v4
	s_waitcnt lgkmcnt(0)
	v_add_f32_e32 v2, v2, v5
	ds_bpermute_b32 v4, v6, v3
	ds_bpermute_b32 v5, v6, v2
	v_xor_b32_e32 v6, 1, v1
	v_cmp_gt_i32_e32 vcc_lo, 32, v6
	v_cndmask_b32_e32 v1, v1, v6, vcc_lo
	v_lshlrev_b32_e32 v6, 2, v1
	s_waitcnt lgkmcnt(1)
	v_add_f32_e32 v1, v3, v4
	s_waitcnt lgkmcnt(0)
	v_add_f32_e32 v2, v2, v5
	ds_bpermute_b32 v3, v6, v1
	ds_bpermute_b32 v4, v6, v2
	v_cmpx_gt_u32_e32 2, v0
	s_cbranch_execz .LBB208_12
; %bb.11:
	s_load_dwordx2 s[0:1], s[4:5], 0x38
	v_mad_u64_u32 v[5:6], null, s18, v0, s[6:7]
	s_mul_hi_i32 s5, s2, s3
	s_mul_i32 s4, s2, s3
	s_mul_i32 s2, s22, s7
	s_lshl_b64 s[4:5], s[4:5], 2
	s_waitcnt lgkmcnt(0)
	v_add_f32_e32 v3, v1, v3
	v_add_f32_e32 v4, v2, v4
	v_ashrrev_i32_e32 v6, 31, v5
	s_ashr_i32 s3, s2, 31
	v_cmp_eq_u32_e32 vcc_lo, 1, v0
	v_lshlrev_b64 v[1:2], 2, v[5:6]
	v_cndmask_b32_e32 v3, v3, v4, vcc_lo
	s_add_u32 s4, s0, s4
	s_addc_u32 s5, s1, s5
	s_lshl_b64 s[0:1], s[2:3], 2
	s_add_u32 s0, s4, s0
	s_addc_u32 s1, s5, s1
	v_add_co_u32 v0, vcc_lo, s0, v1
	v_add_co_ci_u32_e64 v1, null, s1, v2, vcc_lo
	global_store_dword v[0:1], v3, off
.LBB208_12:
	s_endpgm
	.section	.rodata,"a",@progbits
	.p2align	6, 0x0
	.amdhsa_kernel _ZL13mul_mat_vec_fI6__halffLi2ELi32ELb0ELb0EEvPKT_PKfPKi31ggml_cuda_mm_fusion_args_devicePfi15HIP_vector_typeIjLj3EEiiiSB_iiiSB_iiii
		.amdhsa_group_segment_fixed_size 0
		.amdhsa_private_segment_fixed_size 0
		.amdhsa_kernarg_size 144
		.amdhsa_user_sgpr_count 6
		.amdhsa_user_sgpr_private_segment_buffer 1
		.amdhsa_user_sgpr_dispatch_ptr 0
		.amdhsa_user_sgpr_queue_ptr 0
		.amdhsa_user_sgpr_kernarg_segment_ptr 1
		.amdhsa_user_sgpr_dispatch_id 0
		.amdhsa_user_sgpr_flat_scratch_init 0
		.amdhsa_user_sgpr_private_segment_size 0
		.amdhsa_wavefront_size32 1
		.amdhsa_uses_dynamic_stack 0
		.amdhsa_system_sgpr_private_segment_wavefront_offset 0
		.amdhsa_system_sgpr_workgroup_id_x 1
		.amdhsa_system_sgpr_workgroup_id_y 1
		.amdhsa_system_sgpr_workgroup_id_z 1
		.amdhsa_system_sgpr_workgroup_info 0
		.amdhsa_system_vgpr_workitem_id 0
		.amdhsa_next_free_vgpr 13
		.amdhsa_next_free_sgpr 32
		.amdhsa_reserve_vcc 1
		.amdhsa_reserve_flat_scratch 0
		.amdhsa_float_round_mode_32 0
		.amdhsa_float_round_mode_16_64 0
		.amdhsa_float_denorm_mode_32 3
		.amdhsa_float_denorm_mode_16_64 3
		.amdhsa_dx10_clamp 1
		.amdhsa_ieee_mode 1
		.amdhsa_fp16_overflow 0
		.amdhsa_workgroup_processor_mode 1
		.amdhsa_memory_ordered 1
		.amdhsa_forward_progress 1
		.amdhsa_shared_vgpr_count 0
		.amdhsa_exception_fp_ieee_invalid_op 0
		.amdhsa_exception_fp_denorm_src 0
		.amdhsa_exception_fp_ieee_div_zero 0
		.amdhsa_exception_fp_ieee_overflow 0
		.amdhsa_exception_fp_ieee_underflow 0
		.amdhsa_exception_fp_ieee_inexact 0
		.amdhsa_exception_int_div_zero 0
	.end_amdhsa_kernel
	.section	.text._ZL13mul_mat_vec_fI6__halffLi2ELi32ELb0ELb0EEvPKT_PKfPKi31ggml_cuda_mm_fusion_args_devicePfi15HIP_vector_typeIjLj3EEiiiSB_iiiSB_iiii,"axG",@progbits,_ZL13mul_mat_vec_fI6__halffLi2ELi32ELb0ELb0EEvPKT_PKfPKi31ggml_cuda_mm_fusion_args_devicePfi15HIP_vector_typeIjLj3EEiiiSB_iiiSB_iiii,comdat
.Lfunc_end208:
	.size	_ZL13mul_mat_vec_fI6__halffLi2ELi32ELb0ELb0EEvPKT_PKfPKi31ggml_cuda_mm_fusion_args_devicePfi15HIP_vector_typeIjLj3EEiiiSB_iiiSB_iiii, .Lfunc_end208-_ZL13mul_mat_vec_fI6__halffLi2ELi32ELb0ELb0EEvPKT_PKfPKi31ggml_cuda_mm_fusion_args_devicePfi15HIP_vector_typeIjLj3EEiiiSB_iiiSB_iiii
                                        ; -- End function
	.set _ZL13mul_mat_vec_fI6__halffLi2ELi32ELb0ELb0EEvPKT_PKfPKi31ggml_cuda_mm_fusion_args_devicePfi15HIP_vector_typeIjLj3EEiiiSB_iiiSB_iiii.num_vgpr, 13
	.set _ZL13mul_mat_vec_fI6__halffLi2ELi32ELb0ELb0EEvPKT_PKfPKi31ggml_cuda_mm_fusion_args_devicePfi15HIP_vector_typeIjLj3EEiiiSB_iiiSB_iiii.num_agpr, 0
	.set _ZL13mul_mat_vec_fI6__halffLi2ELi32ELb0ELb0EEvPKT_PKfPKi31ggml_cuda_mm_fusion_args_devicePfi15HIP_vector_typeIjLj3EEiiiSB_iiiSB_iiii.numbered_sgpr, 32
	.set _ZL13mul_mat_vec_fI6__halffLi2ELi32ELb0ELb0EEvPKT_PKfPKi31ggml_cuda_mm_fusion_args_devicePfi15HIP_vector_typeIjLj3EEiiiSB_iiiSB_iiii.num_named_barrier, 0
	.set _ZL13mul_mat_vec_fI6__halffLi2ELi32ELb0ELb0EEvPKT_PKfPKi31ggml_cuda_mm_fusion_args_devicePfi15HIP_vector_typeIjLj3EEiiiSB_iiiSB_iiii.private_seg_size, 0
	.set _ZL13mul_mat_vec_fI6__halffLi2ELi32ELb0ELb0EEvPKT_PKfPKi31ggml_cuda_mm_fusion_args_devicePfi15HIP_vector_typeIjLj3EEiiiSB_iiiSB_iiii.uses_vcc, 1
	.set _ZL13mul_mat_vec_fI6__halffLi2ELi32ELb0ELb0EEvPKT_PKfPKi31ggml_cuda_mm_fusion_args_devicePfi15HIP_vector_typeIjLj3EEiiiSB_iiiSB_iiii.uses_flat_scratch, 0
	.set _ZL13mul_mat_vec_fI6__halffLi2ELi32ELb0ELb0EEvPKT_PKfPKi31ggml_cuda_mm_fusion_args_devicePfi15HIP_vector_typeIjLj3EEiiiSB_iiiSB_iiii.has_dyn_sized_stack, 0
	.set _ZL13mul_mat_vec_fI6__halffLi2ELi32ELb0ELb0EEvPKT_PKfPKi31ggml_cuda_mm_fusion_args_devicePfi15HIP_vector_typeIjLj3EEiiiSB_iiiSB_iiii.has_recursion, 0
	.set _ZL13mul_mat_vec_fI6__halffLi2ELi32ELb0ELb0EEvPKT_PKfPKi31ggml_cuda_mm_fusion_args_devicePfi15HIP_vector_typeIjLj3EEiiiSB_iiiSB_iiii.has_indirect_call, 0
	.section	.AMDGPU.csdata,"",@progbits
; Kernel info:
; codeLenInByte = 960
; TotalNumSgprs: 34
; NumVgprs: 13
; ScratchSize: 0
; MemoryBound: 0
; FloatMode: 240
; IeeeMode: 1
; LDSByteSize: 0 bytes/workgroup (compile time only)
; SGPRBlocks: 0
; VGPRBlocks: 1
; NumSGPRsForWavesPerEU: 34
; NumVGPRsForWavesPerEU: 13
; Occupancy: 16
; WaveLimiterHint : 0
; COMPUTE_PGM_RSRC2:SCRATCH_EN: 0
; COMPUTE_PGM_RSRC2:USER_SGPR: 6
; COMPUTE_PGM_RSRC2:TRAP_HANDLER: 0
; COMPUTE_PGM_RSRC2:TGID_X_EN: 1
; COMPUTE_PGM_RSRC2:TGID_Y_EN: 1
; COMPUTE_PGM_RSRC2:TGID_Z_EN: 1
; COMPUTE_PGM_RSRC2:TIDIG_COMP_CNT: 0
	.section	.text._ZL13mul_mat_vec_fI6__halffLi2ELi64ELb0ELb0EEvPKT_PKfPKi31ggml_cuda_mm_fusion_args_devicePfi15HIP_vector_typeIjLj3EEiiiSB_iiiSB_iiii,"axG",@progbits,_ZL13mul_mat_vec_fI6__halffLi2ELi64ELb0ELb0EEvPKT_PKfPKi31ggml_cuda_mm_fusion_args_devicePfi15HIP_vector_typeIjLj3EEiiiSB_iiiSB_iiii,comdat
	.globl	_ZL13mul_mat_vec_fI6__halffLi2ELi64ELb0ELb0EEvPKT_PKfPKi31ggml_cuda_mm_fusion_args_devicePfi15HIP_vector_typeIjLj3EEiiiSB_iiiSB_iiii ; -- Begin function _ZL13mul_mat_vec_fI6__halffLi2ELi64ELb0ELb0EEvPKT_PKfPKi31ggml_cuda_mm_fusion_args_devicePfi15HIP_vector_typeIjLj3EEiiiSB_iiiSB_iiii
	.p2align	8
	.type	_ZL13mul_mat_vec_fI6__halffLi2ELi64ELb0ELb0EEvPKT_PKfPKi31ggml_cuda_mm_fusion_args_devicePfi15HIP_vector_typeIjLj3EEiiiSB_iiiSB_iiii,@function
_ZL13mul_mat_vec_fI6__halffLi2ELi64ELb0ELb0EEvPKT_PKfPKi31ggml_cuda_mm_fusion_args_devicePfi15HIP_vector_typeIjLj3EEiiiSB_iiiSB_iiii: ; @_ZL13mul_mat_vec_fI6__halffLi2ELi64ELb0ELb0EEvPKT_PKfPKi31ggml_cuda_mm_fusion_args_devicePfi15HIP_vector_typeIjLj3EEiiiSB_iiiSB_iiii
; %bb.0:
	s_clause 0x2
	s_load_dwordx2 s[0:1], s[4:5], 0x10
	s_load_dwordx8 s[12:19], s[4:5], 0x40
	s_load_dwordx4 s[20:23], s[4:5], 0x80
	s_waitcnt lgkmcnt(0)
	s_cmp_eq_u64 s[0:1], 0
	s_cselect_b32 s10, -1, 0
	s_cmp_lg_u64 s[0:1], 0
	s_cselect_b32 s9, -1, 0
	s_and_b32 vcc_lo, exec_lo, s10
	s_cbranch_vccnz .LBB209_2
; %bb.1:
	s_mul_i32 s2, s23, s8
	s_mov_b32 s3, 0
	s_add_i32 s2, s2, s7
	s_lshl_b64 s[24:25], s[2:3], 2
	s_add_u32 s0, s0, s24
	s_addc_u32 s1, s1, s25
	s_load_dword s19, s[0:1], 0x0
	s_cbranch_execz .LBB209_3
	s_branch .LBB209_4
.LBB209_2:
                                        ; implicit-def: $sgpr19
.LBB209_3:
	s_load_dwordx2 s[0:1], s[4:5], 0x5c
	s_waitcnt lgkmcnt(0)
	s_mul_hi_u32 s0, s0, s7
	s_add_i32 s0, s7, s0
	s_lshr_b32 s19, s0, s1
.LBB209_4:
	s_load_dwordx4 s[24:27], s[4:5], 0x68
	s_andn2_b32 vcc_lo, exec_lo, s9
	s_mov_b32 s23, s7
	s_cbranch_vccnz .LBB209_6
; %bb.5:
	s_mul_hi_u32 s0, s13, s7
	s_add_i32 s0, s7, s0
	s_lshr_b32 s0, s0, s14
	s_mul_i32 s0, s0, s15
	s_sub_i32 s23, s7, s0
.LBB209_6:
	s_load_dword s9, s[4:5], 0x78
	v_cmp_gt_u32_e32 vcc_lo, 32, v0
	v_lshl_add_u32 v5, v0, 2, 0
	s_and_saveexec_b32 s0, vcc_lo
; %bb.7:
	v_mov_b32_e32 v1, 0
	ds_write_b32 v5, v1
; %bb.8:
	s_or_b32 exec_lo, exec_lo, s0
	v_mov_b32_e32 v6, 0
	v_mov_b32_e32 v7, 0
	s_and_b32 s0, exec_lo, s10
	s_mov_b32 s11, 0
	s_cselect_b32 s10, s8, 0
	s_mov_b32 s13, exec_lo
	s_waitcnt lgkmcnt(0)
	s_barrier
	buffer_gl0_inv
	v_cmpx_gt_i32_e64 s12, v0
	s_cbranch_execz .LBB209_12
; %bb.9:
	s_load_dwordx4 s[0:3], s[4:5], 0x0
	s_mul_hi_u32 s8, s27, s10
	s_mul_i32 s16, s16, s6
	s_add_i32 s8, s10, s8
	s_mul_i32 s14, s19, s24
	s_ashr_i32 s29, s17, 31
	s_mov_b32 s28, s17
	s_ashr_i32 s17, s16, 31
	s_lshr_b32 s19, s8, s9
	s_ashr_i32 s15, s14, 31
	s_mul_i32 s24, s23, s25
	s_lshl_b64 s[8:9], s[16:17], 1
	s_mul_hi_i32 s17, s19, s20
	s_mul_i32 s16, s19, s20
	s_lshl_b64 s[14:15], s[14:15], 1
	s_ashr_i32 s25, s24, 31
	s_lshl_b64 s[16:17], s[16:17], 1
	s_mul_hi_i32 s31, s10, s21
	s_mul_i32 s30, s10, s21
	v_lshlrev_b32_e32 v2, 3, v0
	s_waitcnt lgkmcnt(0)
	s_add_u32 s0, s0, s14
	s_addc_u32 s1, s1, s15
	s_add_u32 s0, s0, s8
	s_addc_u32 s1, s1, s9
	s_add_u32 s16, s0, s16
	s_addc_u32 s17, s1, s17
	s_lshl_b64 s[14:15], s[24:25], 2
	s_lshl_b64 s[8:9], s[28:29], 3
	;; [unrolled: 1-line block ×3, first 2 shown]
	s_add_u32 s2, s2, s14
	s_addc_u32 s3, s3, s15
	v_lshlrev_b32_e32 v1, 2, v0
	s_add_u32 s0, s2, s0
	s_addc_u32 s1, s3, s1
	v_add_co_u32 v3, s0, s0, v2
	v_add_co_ci_u32_e64 v4, null, s1, 0, s0
	v_add_co_u32 v1, s0, s16, v1
	v_add_co_ci_u32_e64 v2, null, s17, 0, s0
	v_add_co_u32 v3, s0, v3, 4
	v_mov_b32_e32 v7, 0
	v_add_co_ci_u32_e64 v4, null, 0, v4, s0
	v_mov_b32_e32 v8, v0
	v_mov_b32_e32 v6, 0
	s_inst_prefetch 0x1
	.p2align	6
.LBB209_10:                             ; =>This Inner Loop Header: Depth=1
	v_add_co_u32 v9, s0, v3, s8
	v_add_co_ci_u32_e64 v10, null, s9, v4, s0
	v_add_nc_u32_e32 v8, 64, v8
	global_load_dword v13, v[1:2], off
	s_clause 0x1
	global_load_dwordx2 v[11:12], v[3:4], off offset:-4
	global_load_dwordx2 v[9:10], v[9:10], off offset:-4
	v_add_co_u32 v1, s0, 0x100, v1
	v_add_co_ci_u32_e64 v2, null, 0, v2, s0
	v_cmp_le_i32_e64 s0, s12, v8
	v_add_co_u32 v3, s1, 0x200, v3
	v_add_co_ci_u32_e64 v4, null, 0, v4, s1
	s_or_b32 s11, s0, s11
	s_waitcnt vmcnt(1)
	v_fma_mix_f32 v7, v11, v13, v7 op_sel_hi:[0,1,0]
	s_waitcnt vmcnt(0)
	v_fma_mix_f32 v6, v9, v13, v6 op_sel_hi:[0,1,0]
	v_fma_mix_f32 v7, v12, v13, v7 op_sel:[0,1,0] op_sel_hi:[0,1,0]
	v_fma_mix_f32 v6, v10, v13, v6 op_sel:[0,1,0] op_sel_hi:[0,1,0]
	s_andn2_b32 exec_lo, exec_lo, s11
	s_cbranch_execnz .LBB209_10
; %bb.11:
	s_inst_prefetch 0x2
	s_or_b32 exec_lo, exec_lo, s11
.LBB209_12:
	s_or_b32 exec_lo, exec_lo, s13
	v_mbcnt_lo_u32_b32 v2, -1, 0
	v_xor_b32_e32 v1, 16, v2
	v_xor_b32_e32 v3, 8, v2
	v_cmp_gt_i32_e64 s0, 32, v1
	v_cndmask_b32_e64 v1, v2, v1, s0
	v_cmp_gt_i32_e64 s0, 32, v3
	v_lshlrev_b32_e32 v1, 2, v1
	v_cndmask_b32_e64 v3, v2, v3, s0
	ds_bpermute_b32 v4, v1, v7
	v_lshlrev_b32_e32 v3, 2, v3
	s_waitcnt lgkmcnt(0)
	v_add_f32_e32 v7, v7, v4
	v_xor_b32_e32 v4, 4, v2
	ds_bpermute_b32 v8, v3, v7
	v_cmp_gt_i32_e64 s0, 32, v4
	v_cndmask_b32_e64 v4, v2, v4, s0
	v_lshlrev_b32_e32 v4, 2, v4
	s_waitcnt lgkmcnt(0)
	v_add_f32_e32 v8, v7, v8
	v_xor_b32_e32 v7, 2, v2
	ds_bpermute_b32 v9, v4, v8
	v_cmp_gt_i32_e64 s0, 32, v7
	v_cndmask_b32_e64 v7, v2, v7, s0
	v_lshlrev_b32_e32 v7, 2, v7
	s_waitcnt lgkmcnt(0)
	v_add_f32_e32 v9, v8, v9
	v_xor_b32_e32 v8, 1, v2
	ds_bpermute_b32 v10, v7, v9
	v_cmp_gt_i32_e64 s0, 32, v8
	v_cndmask_b32_e64 v2, v2, v8, s0
	v_lshlrev_b32_e32 v8, 2, v2
	s_waitcnt lgkmcnt(0)
	v_add_f32_e32 v2, v9, v10
	v_lshrrev_b32_e32 v9, 3, v0
	ds_bpermute_b32 v10, v8, v2
	v_and_b32_e32 v9, 0x7c, v9
	v_add_nc_u32_e32 v9, 0, v9
	s_waitcnt lgkmcnt(0)
	v_add_f32_e32 v2, v2, v10
	ds_write_b32 v9, v2
	s_waitcnt lgkmcnt(0)
	s_barrier
	buffer_gl0_inv
	s_and_saveexec_b32 s0, vcc_lo
	s_cbranch_execz .LBB209_14
; %bb.13:
	ds_read_b32 v2, v5
	s_waitcnt lgkmcnt(0)
	ds_bpermute_b32 v10, v1, v2
	s_waitcnt lgkmcnt(0)
	v_add_f32_e32 v2, v2, v10
	ds_bpermute_b32 v10, v3, v2
	s_waitcnt lgkmcnt(0)
	v_add_f32_e32 v2, v2, v10
	;; [unrolled: 3-line block ×5, first 2 shown]
.LBB209_14:
	s_or_b32 exec_lo, exec_lo, s0
	ds_bpermute_b32 v10, v1, v6
	s_waitcnt lgkmcnt(0)
	s_barrier
	buffer_gl0_inv
	v_add_f32_e32 v6, v6, v10
	ds_bpermute_b32 v10, v3, v6
	s_waitcnt lgkmcnt(0)
	v_add_f32_e32 v6, v6, v10
	ds_bpermute_b32 v10, v4, v6
	s_waitcnt lgkmcnt(0)
	v_add_f32_e32 v6, v6, v10
	ds_bpermute_b32 v10, v7, v6
	s_waitcnt lgkmcnt(0)
	v_add_f32_e32 v6, v6, v10
	ds_bpermute_b32 v10, v8, v6
	s_waitcnt lgkmcnt(0)
	v_add_f32_e32 v6, v6, v10
	ds_write_b32 v9, v6
	s_waitcnt lgkmcnt(0)
	s_barrier
	buffer_gl0_inv
	s_and_saveexec_b32 s0, vcc_lo
	s_cbranch_execz .LBB209_16
; %bb.15:
	ds_read_b32 v5, v5
	s_waitcnt lgkmcnt(0)
	ds_bpermute_b32 v1, v1, v5
	s_waitcnt lgkmcnt(0)
	v_add_f32_e32 v1, v5, v1
	ds_bpermute_b32 v3, v3, v1
	s_waitcnt lgkmcnt(0)
	v_add_f32_e32 v1, v1, v3
	;; [unrolled: 3-line block ×5, first 2 shown]
.LBB209_16:
	s_or_b32 exec_lo, exec_lo, s0
	s_barrier
	buffer_gl0_inv
	s_mov_b32 s0, exec_lo
	v_cmpx_gt_u32_e32 2, v0
	s_cbranch_execz .LBB209_18
; %bb.17:
	s_load_dwordx2 s[0:1], s[4:5], 0x38
	v_mad_u64_u32 v[3:4], null, s18, v0, s[6:7]
	s_mul_hi_i32 s3, s22, s10
	s_mul_i32 s2, s22, s10
	s_mul_i32 s4, s26, s7
	s_lshl_b64 s[2:3], s[2:3], 2
	s_ashr_i32 s5, s4, 31
	v_cmp_eq_u32_e32 vcc_lo, 1, v0
	v_ashrrev_i32_e32 v4, 31, v3
	v_cndmask_b32_e32 v2, v2, v6, vcc_lo
	v_lshlrev_b64 v[3:4], 2, v[3:4]
	s_waitcnt lgkmcnt(0)
	s_add_u32 s2, s0, s2
	s_addc_u32 s3, s1, s3
	s_lshl_b64 s[0:1], s[4:5], 2
	s_add_u32 s0, s2, s0
	s_addc_u32 s1, s3, s1
	v_add_co_u32 v0, vcc_lo, s0, v3
	v_add_co_ci_u32_e64 v1, null, s1, v4, vcc_lo
	global_store_dword v[0:1], v2, off
.LBB209_18:
	s_endpgm
	.section	.rodata,"a",@progbits
	.p2align	6, 0x0
	.amdhsa_kernel _ZL13mul_mat_vec_fI6__halffLi2ELi64ELb0ELb0EEvPKT_PKfPKi31ggml_cuda_mm_fusion_args_devicePfi15HIP_vector_typeIjLj3EEiiiSB_iiiSB_iiii
		.amdhsa_group_segment_fixed_size 0
		.amdhsa_private_segment_fixed_size 0
		.amdhsa_kernarg_size 144
		.amdhsa_user_sgpr_count 6
		.amdhsa_user_sgpr_private_segment_buffer 1
		.amdhsa_user_sgpr_dispatch_ptr 0
		.amdhsa_user_sgpr_queue_ptr 0
		.amdhsa_user_sgpr_kernarg_segment_ptr 1
		.amdhsa_user_sgpr_dispatch_id 0
		.amdhsa_user_sgpr_flat_scratch_init 0
		.amdhsa_user_sgpr_private_segment_size 0
		.amdhsa_wavefront_size32 1
		.amdhsa_uses_dynamic_stack 0
		.amdhsa_system_sgpr_private_segment_wavefront_offset 0
		.amdhsa_system_sgpr_workgroup_id_x 1
		.amdhsa_system_sgpr_workgroup_id_y 1
		.amdhsa_system_sgpr_workgroup_id_z 1
		.amdhsa_system_sgpr_workgroup_info 0
		.amdhsa_system_vgpr_workitem_id 0
		.amdhsa_next_free_vgpr 14
		.amdhsa_next_free_sgpr 32
		.amdhsa_reserve_vcc 1
		.amdhsa_reserve_flat_scratch 0
		.amdhsa_float_round_mode_32 0
		.amdhsa_float_round_mode_16_64 0
		.amdhsa_float_denorm_mode_32 3
		.amdhsa_float_denorm_mode_16_64 3
		.amdhsa_dx10_clamp 1
		.amdhsa_ieee_mode 1
		.amdhsa_fp16_overflow 0
		.amdhsa_workgroup_processor_mode 1
		.amdhsa_memory_ordered 1
		.amdhsa_forward_progress 1
		.amdhsa_shared_vgpr_count 0
		.amdhsa_exception_fp_ieee_invalid_op 0
		.amdhsa_exception_fp_denorm_src 0
		.amdhsa_exception_fp_ieee_div_zero 0
		.amdhsa_exception_fp_ieee_overflow 0
		.amdhsa_exception_fp_ieee_underflow 0
		.amdhsa_exception_fp_ieee_inexact 0
		.amdhsa_exception_int_div_zero 0
	.end_amdhsa_kernel
	.section	.text._ZL13mul_mat_vec_fI6__halffLi2ELi64ELb0ELb0EEvPKT_PKfPKi31ggml_cuda_mm_fusion_args_devicePfi15HIP_vector_typeIjLj3EEiiiSB_iiiSB_iiii,"axG",@progbits,_ZL13mul_mat_vec_fI6__halffLi2ELi64ELb0ELb0EEvPKT_PKfPKi31ggml_cuda_mm_fusion_args_devicePfi15HIP_vector_typeIjLj3EEiiiSB_iiiSB_iiii,comdat
.Lfunc_end209:
	.size	_ZL13mul_mat_vec_fI6__halffLi2ELi64ELb0ELb0EEvPKT_PKfPKi31ggml_cuda_mm_fusion_args_devicePfi15HIP_vector_typeIjLj3EEiiiSB_iiiSB_iiii, .Lfunc_end209-_ZL13mul_mat_vec_fI6__halffLi2ELi64ELb0ELb0EEvPKT_PKfPKi31ggml_cuda_mm_fusion_args_devicePfi15HIP_vector_typeIjLj3EEiiiSB_iiiSB_iiii
                                        ; -- End function
	.set _ZL13mul_mat_vec_fI6__halffLi2ELi64ELb0ELb0EEvPKT_PKfPKi31ggml_cuda_mm_fusion_args_devicePfi15HIP_vector_typeIjLj3EEiiiSB_iiiSB_iiii.num_vgpr, 14
	.set _ZL13mul_mat_vec_fI6__halffLi2ELi64ELb0ELb0EEvPKT_PKfPKi31ggml_cuda_mm_fusion_args_devicePfi15HIP_vector_typeIjLj3EEiiiSB_iiiSB_iiii.num_agpr, 0
	.set _ZL13mul_mat_vec_fI6__halffLi2ELi64ELb0ELb0EEvPKT_PKfPKi31ggml_cuda_mm_fusion_args_devicePfi15HIP_vector_typeIjLj3EEiiiSB_iiiSB_iiii.numbered_sgpr, 32
	.set _ZL13mul_mat_vec_fI6__halffLi2ELi64ELb0ELb0EEvPKT_PKfPKi31ggml_cuda_mm_fusion_args_devicePfi15HIP_vector_typeIjLj3EEiiiSB_iiiSB_iiii.num_named_barrier, 0
	.set _ZL13mul_mat_vec_fI6__halffLi2ELi64ELb0ELb0EEvPKT_PKfPKi31ggml_cuda_mm_fusion_args_devicePfi15HIP_vector_typeIjLj3EEiiiSB_iiiSB_iiii.private_seg_size, 0
	.set _ZL13mul_mat_vec_fI6__halffLi2ELi64ELb0ELb0EEvPKT_PKfPKi31ggml_cuda_mm_fusion_args_devicePfi15HIP_vector_typeIjLj3EEiiiSB_iiiSB_iiii.uses_vcc, 1
	.set _ZL13mul_mat_vec_fI6__halffLi2ELi64ELb0ELb0EEvPKT_PKfPKi31ggml_cuda_mm_fusion_args_devicePfi15HIP_vector_typeIjLj3EEiiiSB_iiiSB_iiii.uses_flat_scratch, 0
	.set _ZL13mul_mat_vec_fI6__halffLi2ELi64ELb0ELb0EEvPKT_PKfPKi31ggml_cuda_mm_fusion_args_devicePfi15HIP_vector_typeIjLj3EEiiiSB_iiiSB_iiii.has_dyn_sized_stack, 0
	.set _ZL13mul_mat_vec_fI6__halffLi2ELi64ELb0ELb0EEvPKT_PKfPKi31ggml_cuda_mm_fusion_args_devicePfi15HIP_vector_typeIjLj3EEiiiSB_iiiSB_iiii.has_recursion, 0
	.set _ZL13mul_mat_vec_fI6__halffLi2ELi64ELb0ELb0EEvPKT_PKfPKi31ggml_cuda_mm_fusion_args_devicePfi15HIP_vector_typeIjLj3EEiiiSB_iiiSB_iiii.has_indirect_call, 0
	.section	.AMDGPU.csdata,"",@progbits
; Kernel info:
; codeLenInByte = 1376
; TotalNumSgprs: 34
; NumVgprs: 14
; ScratchSize: 0
; MemoryBound: 0
; FloatMode: 240
; IeeeMode: 1
; LDSByteSize: 0 bytes/workgroup (compile time only)
; SGPRBlocks: 0
; VGPRBlocks: 1
; NumSGPRsForWavesPerEU: 34
; NumVGPRsForWavesPerEU: 14
; Occupancy: 16
; WaveLimiterHint : 0
; COMPUTE_PGM_RSRC2:SCRATCH_EN: 0
; COMPUTE_PGM_RSRC2:USER_SGPR: 6
; COMPUTE_PGM_RSRC2:TRAP_HANDLER: 0
; COMPUTE_PGM_RSRC2:TGID_X_EN: 1
; COMPUTE_PGM_RSRC2:TGID_Y_EN: 1
; COMPUTE_PGM_RSRC2:TGID_Z_EN: 1
; COMPUTE_PGM_RSRC2:TIDIG_COMP_CNT: 0
	.section	.text._ZL13mul_mat_vec_fI6__halffLi2ELi96ELb0ELb0EEvPKT_PKfPKi31ggml_cuda_mm_fusion_args_devicePfi15HIP_vector_typeIjLj3EEiiiSB_iiiSB_iiii,"axG",@progbits,_ZL13mul_mat_vec_fI6__halffLi2ELi96ELb0ELb0EEvPKT_PKfPKi31ggml_cuda_mm_fusion_args_devicePfi15HIP_vector_typeIjLj3EEiiiSB_iiiSB_iiii,comdat
	.globl	_ZL13mul_mat_vec_fI6__halffLi2ELi96ELb0ELb0EEvPKT_PKfPKi31ggml_cuda_mm_fusion_args_devicePfi15HIP_vector_typeIjLj3EEiiiSB_iiiSB_iiii ; -- Begin function _ZL13mul_mat_vec_fI6__halffLi2ELi96ELb0ELb0EEvPKT_PKfPKi31ggml_cuda_mm_fusion_args_devicePfi15HIP_vector_typeIjLj3EEiiiSB_iiiSB_iiii
	.p2align	8
	.type	_ZL13mul_mat_vec_fI6__halffLi2ELi96ELb0ELb0EEvPKT_PKfPKi31ggml_cuda_mm_fusion_args_devicePfi15HIP_vector_typeIjLj3EEiiiSB_iiiSB_iiii,@function
_ZL13mul_mat_vec_fI6__halffLi2ELi96ELb0ELb0EEvPKT_PKfPKi31ggml_cuda_mm_fusion_args_devicePfi15HIP_vector_typeIjLj3EEiiiSB_iiiSB_iiii: ; @_ZL13mul_mat_vec_fI6__halffLi2ELi96ELb0ELb0EEvPKT_PKfPKi31ggml_cuda_mm_fusion_args_devicePfi15HIP_vector_typeIjLj3EEiiiSB_iiiSB_iiii
; %bb.0:
	s_clause 0x2
	s_load_dwordx2 s[0:1], s[4:5], 0x10
	s_load_dwordx8 s[12:19], s[4:5], 0x40
	s_load_dwordx4 s[20:23], s[4:5], 0x80
	s_waitcnt lgkmcnt(0)
	s_cmp_eq_u64 s[0:1], 0
	s_cselect_b32 s10, -1, 0
	s_cmp_lg_u64 s[0:1], 0
	s_cselect_b32 s9, -1, 0
	s_and_b32 vcc_lo, exec_lo, s10
	s_cbranch_vccnz .LBB210_2
; %bb.1:
	s_mul_i32 s2, s23, s8
	s_mov_b32 s3, 0
	s_add_i32 s2, s2, s7
	s_lshl_b64 s[24:25], s[2:3], 2
	s_add_u32 s0, s0, s24
	s_addc_u32 s1, s1, s25
	s_load_dword s19, s[0:1], 0x0
	s_cbranch_execz .LBB210_3
	s_branch .LBB210_4
.LBB210_2:
                                        ; implicit-def: $sgpr19
.LBB210_3:
	s_load_dwordx2 s[0:1], s[4:5], 0x5c
	s_waitcnt lgkmcnt(0)
	s_mul_hi_u32 s0, s0, s7
	s_add_i32 s0, s7, s0
	s_lshr_b32 s19, s0, s1
.LBB210_4:
	s_load_dwordx4 s[24:27], s[4:5], 0x68
	s_andn2_b32 vcc_lo, exec_lo, s9
	s_mov_b32 s23, s7
	s_cbranch_vccnz .LBB210_6
; %bb.5:
	s_mul_hi_u32 s0, s13, s7
	s_add_i32 s0, s7, s0
	s_lshr_b32 s0, s0, s14
	s_mul_i32 s0, s0, s15
	s_sub_i32 s23, s7, s0
.LBB210_6:
	s_load_dword s9, s[4:5], 0x78
	v_cmp_gt_u32_e32 vcc_lo, 32, v0
	v_lshl_add_u32 v5, v0, 2, 0
	s_and_saveexec_b32 s0, vcc_lo
; %bb.7:
	v_mov_b32_e32 v1, 0
	ds_write_b32 v5, v1
; %bb.8:
	s_or_b32 exec_lo, exec_lo, s0
	v_mov_b32_e32 v6, 0
	v_mov_b32_e32 v7, 0
	s_and_b32 s0, exec_lo, s10
	s_mov_b32 s11, 0
	s_cselect_b32 s10, s8, 0
	s_mov_b32 s13, exec_lo
	s_waitcnt lgkmcnt(0)
	s_barrier
	buffer_gl0_inv
	v_cmpx_gt_i32_e64 s12, v0
	s_cbranch_execz .LBB210_12
; %bb.9:
	s_load_dwordx4 s[0:3], s[4:5], 0x0
	s_mul_hi_u32 s8, s27, s10
	s_mul_i32 s16, s16, s6
	s_add_i32 s8, s10, s8
	s_mul_i32 s14, s19, s24
	s_ashr_i32 s29, s17, 31
	s_mov_b32 s28, s17
	s_ashr_i32 s17, s16, 31
	s_lshr_b32 s19, s8, s9
	s_ashr_i32 s15, s14, 31
	s_mul_i32 s24, s23, s25
	s_lshl_b64 s[8:9], s[16:17], 1
	s_mul_hi_i32 s17, s19, s20
	s_mul_i32 s16, s19, s20
	s_lshl_b64 s[14:15], s[14:15], 1
	s_ashr_i32 s25, s24, 31
	s_lshl_b64 s[16:17], s[16:17], 1
	s_mul_hi_i32 s31, s10, s21
	s_mul_i32 s30, s10, s21
	v_lshlrev_b32_e32 v2, 3, v0
	s_waitcnt lgkmcnt(0)
	s_add_u32 s0, s0, s14
	s_addc_u32 s1, s1, s15
	s_add_u32 s0, s0, s8
	s_addc_u32 s1, s1, s9
	;; [unrolled: 2-line block ×3, first 2 shown]
	s_lshl_b64 s[14:15], s[24:25], 2
	s_lshl_b64 s[8:9], s[28:29], 3
	;; [unrolled: 1-line block ×3, first 2 shown]
	s_add_u32 s2, s2, s14
	s_addc_u32 s3, s3, s15
	v_lshlrev_b32_e32 v1, 2, v0
	s_add_u32 s0, s2, s0
	s_addc_u32 s1, s3, s1
	v_add_co_u32 v3, s0, s0, v2
	v_add_co_ci_u32_e64 v4, null, s1, 0, s0
	v_add_co_u32 v1, s0, s16, v1
	v_add_co_ci_u32_e64 v2, null, s17, 0, s0
	v_add_co_u32 v3, s0, v3, 4
	v_mov_b32_e32 v7, 0
	v_add_co_ci_u32_e64 v4, null, 0, v4, s0
	v_mov_b32_e32 v8, v0
	v_mov_b32_e32 v6, 0
	s_inst_prefetch 0x1
	.p2align	6
.LBB210_10:                             ; =>This Inner Loop Header: Depth=1
	v_add_co_u32 v9, s0, v3, s8
	v_add_co_ci_u32_e64 v10, null, s9, v4, s0
	v_add_nc_u32_e32 v8, 0x60, v8
	global_load_dword v13, v[1:2], off
	s_clause 0x1
	global_load_dwordx2 v[11:12], v[3:4], off offset:-4
	global_load_dwordx2 v[9:10], v[9:10], off offset:-4
	v_add_co_u32 v1, s0, 0x180, v1
	v_add_co_ci_u32_e64 v2, null, 0, v2, s0
	v_cmp_le_i32_e64 s0, s12, v8
	v_add_co_u32 v3, s1, 0x300, v3
	v_add_co_ci_u32_e64 v4, null, 0, v4, s1
	s_or_b32 s11, s0, s11
	s_waitcnt vmcnt(1)
	v_fma_mix_f32 v7, v11, v13, v7 op_sel_hi:[0,1,0]
	s_waitcnt vmcnt(0)
	v_fma_mix_f32 v6, v9, v13, v6 op_sel_hi:[0,1,0]
	v_fma_mix_f32 v7, v12, v13, v7 op_sel:[0,1,0] op_sel_hi:[0,1,0]
	v_fma_mix_f32 v6, v10, v13, v6 op_sel:[0,1,0] op_sel_hi:[0,1,0]
	s_andn2_b32 exec_lo, exec_lo, s11
	s_cbranch_execnz .LBB210_10
; %bb.11:
	s_inst_prefetch 0x2
	s_or_b32 exec_lo, exec_lo, s11
.LBB210_12:
	s_or_b32 exec_lo, exec_lo, s13
	v_mbcnt_lo_u32_b32 v2, -1, 0
	v_xor_b32_e32 v1, 16, v2
	v_xor_b32_e32 v3, 8, v2
	v_cmp_gt_i32_e64 s0, 32, v1
	v_cndmask_b32_e64 v1, v2, v1, s0
	v_cmp_gt_i32_e64 s0, 32, v3
	v_lshlrev_b32_e32 v1, 2, v1
	v_cndmask_b32_e64 v3, v2, v3, s0
	ds_bpermute_b32 v4, v1, v7
	v_lshlrev_b32_e32 v3, 2, v3
	s_waitcnt lgkmcnt(0)
	v_add_f32_e32 v7, v7, v4
	v_xor_b32_e32 v4, 4, v2
	ds_bpermute_b32 v8, v3, v7
	v_cmp_gt_i32_e64 s0, 32, v4
	v_cndmask_b32_e64 v4, v2, v4, s0
	v_lshlrev_b32_e32 v4, 2, v4
	s_waitcnt lgkmcnt(0)
	v_add_f32_e32 v8, v7, v8
	v_xor_b32_e32 v7, 2, v2
	ds_bpermute_b32 v9, v4, v8
	v_cmp_gt_i32_e64 s0, 32, v7
	v_cndmask_b32_e64 v7, v2, v7, s0
	;; [unrolled: 7-line block ×3, first 2 shown]
	v_lshlrev_b32_e32 v8, 2, v2
	s_waitcnt lgkmcnt(0)
	v_add_f32_e32 v2, v9, v10
	v_lshrrev_b32_e32 v9, 3, v0
	ds_bpermute_b32 v10, v8, v2
	v_and_b32_e32 v9, 0x7c, v9
	v_add_nc_u32_e32 v9, 0, v9
	s_waitcnt lgkmcnt(0)
	v_add_f32_e32 v2, v2, v10
	ds_write_b32 v9, v2
	s_waitcnt lgkmcnt(0)
	s_barrier
	buffer_gl0_inv
	s_and_saveexec_b32 s0, vcc_lo
	s_cbranch_execz .LBB210_14
; %bb.13:
	ds_read_b32 v2, v5
	s_waitcnt lgkmcnt(0)
	ds_bpermute_b32 v10, v1, v2
	s_waitcnt lgkmcnt(0)
	v_add_f32_e32 v2, v2, v10
	ds_bpermute_b32 v10, v3, v2
	s_waitcnt lgkmcnt(0)
	v_add_f32_e32 v2, v2, v10
	;; [unrolled: 3-line block ×5, first 2 shown]
.LBB210_14:
	s_or_b32 exec_lo, exec_lo, s0
	ds_bpermute_b32 v10, v1, v6
	s_waitcnt lgkmcnt(0)
	s_barrier
	buffer_gl0_inv
	v_add_f32_e32 v6, v6, v10
	ds_bpermute_b32 v10, v3, v6
	s_waitcnt lgkmcnt(0)
	v_add_f32_e32 v6, v6, v10
	ds_bpermute_b32 v10, v4, v6
	s_waitcnt lgkmcnt(0)
	;; [unrolled: 3-line block ×4, first 2 shown]
	v_add_f32_e32 v6, v6, v10
	ds_write_b32 v9, v6
	s_waitcnt lgkmcnt(0)
	s_barrier
	buffer_gl0_inv
	s_and_saveexec_b32 s0, vcc_lo
	s_cbranch_execz .LBB210_16
; %bb.15:
	ds_read_b32 v5, v5
	s_waitcnt lgkmcnt(0)
	ds_bpermute_b32 v1, v1, v5
	s_waitcnt lgkmcnt(0)
	v_add_f32_e32 v1, v5, v1
	ds_bpermute_b32 v3, v3, v1
	s_waitcnt lgkmcnt(0)
	v_add_f32_e32 v1, v1, v3
	;; [unrolled: 3-line block ×5, first 2 shown]
.LBB210_16:
	s_or_b32 exec_lo, exec_lo, s0
	s_barrier
	buffer_gl0_inv
	s_mov_b32 s0, exec_lo
	v_cmpx_gt_u32_e32 2, v0
	s_cbranch_execz .LBB210_18
; %bb.17:
	s_load_dwordx2 s[0:1], s[4:5], 0x38
	v_mad_u64_u32 v[3:4], null, s18, v0, s[6:7]
	s_mul_hi_i32 s3, s22, s10
	s_mul_i32 s2, s22, s10
	s_mul_i32 s4, s26, s7
	s_lshl_b64 s[2:3], s[2:3], 2
	s_ashr_i32 s5, s4, 31
	v_cmp_eq_u32_e32 vcc_lo, 1, v0
	v_ashrrev_i32_e32 v4, 31, v3
	v_cndmask_b32_e32 v2, v2, v6, vcc_lo
	v_lshlrev_b64 v[3:4], 2, v[3:4]
	s_waitcnt lgkmcnt(0)
	s_add_u32 s2, s0, s2
	s_addc_u32 s3, s1, s3
	s_lshl_b64 s[0:1], s[4:5], 2
	s_add_u32 s0, s2, s0
	s_addc_u32 s1, s3, s1
	v_add_co_u32 v0, vcc_lo, s0, v3
	v_add_co_ci_u32_e64 v1, null, s1, v4, vcc_lo
	global_store_dword v[0:1], v2, off
.LBB210_18:
	s_endpgm
	.section	.rodata,"a",@progbits
	.p2align	6, 0x0
	.amdhsa_kernel _ZL13mul_mat_vec_fI6__halffLi2ELi96ELb0ELb0EEvPKT_PKfPKi31ggml_cuda_mm_fusion_args_devicePfi15HIP_vector_typeIjLj3EEiiiSB_iiiSB_iiii
		.amdhsa_group_segment_fixed_size 0
		.amdhsa_private_segment_fixed_size 0
		.amdhsa_kernarg_size 144
		.amdhsa_user_sgpr_count 6
		.amdhsa_user_sgpr_private_segment_buffer 1
		.amdhsa_user_sgpr_dispatch_ptr 0
		.amdhsa_user_sgpr_queue_ptr 0
		.amdhsa_user_sgpr_kernarg_segment_ptr 1
		.amdhsa_user_sgpr_dispatch_id 0
		.amdhsa_user_sgpr_flat_scratch_init 0
		.amdhsa_user_sgpr_private_segment_size 0
		.amdhsa_wavefront_size32 1
		.amdhsa_uses_dynamic_stack 0
		.amdhsa_system_sgpr_private_segment_wavefront_offset 0
		.amdhsa_system_sgpr_workgroup_id_x 1
		.amdhsa_system_sgpr_workgroup_id_y 1
		.amdhsa_system_sgpr_workgroup_id_z 1
		.amdhsa_system_sgpr_workgroup_info 0
		.amdhsa_system_vgpr_workitem_id 0
		.amdhsa_next_free_vgpr 14
		.amdhsa_next_free_sgpr 32
		.amdhsa_reserve_vcc 1
		.amdhsa_reserve_flat_scratch 0
		.amdhsa_float_round_mode_32 0
		.amdhsa_float_round_mode_16_64 0
		.amdhsa_float_denorm_mode_32 3
		.amdhsa_float_denorm_mode_16_64 3
		.amdhsa_dx10_clamp 1
		.amdhsa_ieee_mode 1
		.amdhsa_fp16_overflow 0
		.amdhsa_workgroup_processor_mode 1
		.amdhsa_memory_ordered 1
		.amdhsa_forward_progress 1
		.amdhsa_shared_vgpr_count 0
		.amdhsa_exception_fp_ieee_invalid_op 0
		.amdhsa_exception_fp_denorm_src 0
		.amdhsa_exception_fp_ieee_div_zero 0
		.amdhsa_exception_fp_ieee_overflow 0
		.amdhsa_exception_fp_ieee_underflow 0
		.amdhsa_exception_fp_ieee_inexact 0
		.amdhsa_exception_int_div_zero 0
	.end_amdhsa_kernel
	.section	.text._ZL13mul_mat_vec_fI6__halffLi2ELi96ELb0ELb0EEvPKT_PKfPKi31ggml_cuda_mm_fusion_args_devicePfi15HIP_vector_typeIjLj3EEiiiSB_iiiSB_iiii,"axG",@progbits,_ZL13mul_mat_vec_fI6__halffLi2ELi96ELb0ELb0EEvPKT_PKfPKi31ggml_cuda_mm_fusion_args_devicePfi15HIP_vector_typeIjLj3EEiiiSB_iiiSB_iiii,comdat
.Lfunc_end210:
	.size	_ZL13mul_mat_vec_fI6__halffLi2ELi96ELb0ELb0EEvPKT_PKfPKi31ggml_cuda_mm_fusion_args_devicePfi15HIP_vector_typeIjLj3EEiiiSB_iiiSB_iiii, .Lfunc_end210-_ZL13mul_mat_vec_fI6__halffLi2ELi96ELb0ELb0EEvPKT_PKfPKi31ggml_cuda_mm_fusion_args_devicePfi15HIP_vector_typeIjLj3EEiiiSB_iiiSB_iiii
                                        ; -- End function
	.set _ZL13mul_mat_vec_fI6__halffLi2ELi96ELb0ELb0EEvPKT_PKfPKi31ggml_cuda_mm_fusion_args_devicePfi15HIP_vector_typeIjLj3EEiiiSB_iiiSB_iiii.num_vgpr, 14
	.set _ZL13mul_mat_vec_fI6__halffLi2ELi96ELb0ELb0EEvPKT_PKfPKi31ggml_cuda_mm_fusion_args_devicePfi15HIP_vector_typeIjLj3EEiiiSB_iiiSB_iiii.num_agpr, 0
	.set _ZL13mul_mat_vec_fI6__halffLi2ELi96ELb0ELb0EEvPKT_PKfPKi31ggml_cuda_mm_fusion_args_devicePfi15HIP_vector_typeIjLj3EEiiiSB_iiiSB_iiii.numbered_sgpr, 32
	.set _ZL13mul_mat_vec_fI6__halffLi2ELi96ELb0ELb0EEvPKT_PKfPKi31ggml_cuda_mm_fusion_args_devicePfi15HIP_vector_typeIjLj3EEiiiSB_iiiSB_iiii.num_named_barrier, 0
	.set _ZL13mul_mat_vec_fI6__halffLi2ELi96ELb0ELb0EEvPKT_PKfPKi31ggml_cuda_mm_fusion_args_devicePfi15HIP_vector_typeIjLj3EEiiiSB_iiiSB_iiii.private_seg_size, 0
	.set _ZL13mul_mat_vec_fI6__halffLi2ELi96ELb0ELb0EEvPKT_PKfPKi31ggml_cuda_mm_fusion_args_devicePfi15HIP_vector_typeIjLj3EEiiiSB_iiiSB_iiii.uses_vcc, 1
	.set _ZL13mul_mat_vec_fI6__halffLi2ELi96ELb0ELb0EEvPKT_PKfPKi31ggml_cuda_mm_fusion_args_devicePfi15HIP_vector_typeIjLj3EEiiiSB_iiiSB_iiii.uses_flat_scratch, 0
	.set _ZL13mul_mat_vec_fI6__halffLi2ELi96ELb0ELb0EEvPKT_PKfPKi31ggml_cuda_mm_fusion_args_devicePfi15HIP_vector_typeIjLj3EEiiiSB_iiiSB_iiii.has_dyn_sized_stack, 0
	.set _ZL13mul_mat_vec_fI6__halffLi2ELi96ELb0ELb0EEvPKT_PKfPKi31ggml_cuda_mm_fusion_args_devicePfi15HIP_vector_typeIjLj3EEiiiSB_iiiSB_iiii.has_recursion, 0
	.set _ZL13mul_mat_vec_fI6__halffLi2ELi96ELb0ELb0EEvPKT_PKfPKi31ggml_cuda_mm_fusion_args_devicePfi15HIP_vector_typeIjLj3EEiiiSB_iiiSB_iiii.has_indirect_call, 0
	.section	.AMDGPU.csdata,"",@progbits
; Kernel info:
; codeLenInByte = 1380
; TotalNumSgprs: 34
; NumVgprs: 14
; ScratchSize: 0
; MemoryBound: 0
; FloatMode: 240
; IeeeMode: 1
; LDSByteSize: 0 bytes/workgroup (compile time only)
; SGPRBlocks: 0
; VGPRBlocks: 1
; NumSGPRsForWavesPerEU: 34
; NumVGPRsForWavesPerEU: 14
; Occupancy: 16
; WaveLimiterHint : 0
; COMPUTE_PGM_RSRC2:SCRATCH_EN: 0
; COMPUTE_PGM_RSRC2:USER_SGPR: 6
; COMPUTE_PGM_RSRC2:TRAP_HANDLER: 0
; COMPUTE_PGM_RSRC2:TGID_X_EN: 1
; COMPUTE_PGM_RSRC2:TGID_Y_EN: 1
; COMPUTE_PGM_RSRC2:TGID_Z_EN: 1
; COMPUTE_PGM_RSRC2:TIDIG_COMP_CNT: 0
	.section	.text._ZL13mul_mat_vec_fI6__halffLi2ELi128ELb0ELb0EEvPKT_PKfPKi31ggml_cuda_mm_fusion_args_devicePfi15HIP_vector_typeIjLj3EEiiiSB_iiiSB_iiii,"axG",@progbits,_ZL13mul_mat_vec_fI6__halffLi2ELi128ELb0ELb0EEvPKT_PKfPKi31ggml_cuda_mm_fusion_args_devicePfi15HIP_vector_typeIjLj3EEiiiSB_iiiSB_iiii,comdat
	.globl	_ZL13mul_mat_vec_fI6__halffLi2ELi128ELb0ELb0EEvPKT_PKfPKi31ggml_cuda_mm_fusion_args_devicePfi15HIP_vector_typeIjLj3EEiiiSB_iiiSB_iiii ; -- Begin function _ZL13mul_mat_vec_fI6__halffLi2ELi128ELb0ELb0EEvPKT_PKfPKi31ggml_cuda_mm_fusion_args_devicePfi15HIP_vector_typeIjLj3EEiiiSB_iiiSB_iiii
	.p2align	8
	.type	_ZL13mul_mat_vec_fI6__halffLi2ELi128ELb0ELb0EEvPKT_PKfPKi31ggml_cuda_mm_fusion_args_devicePfi15HIP_vector_typeIjLj3EEiiiSB_iiiSB_iiii,@function
_ZL13mul_mat_vec_fI6__halffLi2ELi128ELb0ELb0EEvPKT_PKfPKi31ggml_cuda_mm_fusion_args_devicePfi15HIP_vector_typeIjLj3EEiiiSB_iiiSB_iiii: ; @_ZL13mul_mat_vec_fI6__halffLi2ELi128ELb0ELb0EEvPKT_PKfPKi31ggml_cuda_mm_fusion_args_devicePfi15HIP_vector_typeIjLj3EEiiiSB_iiiSB_iiii
; %bb.0:
	s_clause 0x2
	s_load_dwordx2 s[0:1], s[4:5], 0x10
	s_load_dwordx8 s[12:19], s[4:5], 0x40
	s_load_dwordx4 s[20:23], s[4:5], 0x80
	s_waitcnt lgkmcnt(0)
	s_cmp_eq_u64 s[0:1], 0
	s_cselect_b32 s10, -1, 0
	s_cmp_lg_u64 s[0:1], 0
	s_cselect_b32 s9, -1, 0
	s_and_b32 vcc_lo, exec_lo, s10
	s_cbranch_vccnz .LBB211_2
; %bb.1:
	s_mul_i32 s2, s23, s8
	s_mov_b32 s3, 0
	s_add_i32 s2, s2, s7
	s_lshl_b64 s[24:25], s[2:3], 2
	s_add_u32 s0, s0, s24
	s_addc_u32 s1, s1, s25
	s_load_dword s19, s[0:1], 0x0
	s_cbranch_execz .LBB211_3
	s_branch .LBB211_4
.LBB211_2:
                                        ; implicit-def: $sgpr19
.LBB211_3:
	s_load_dwordx2 s[0:1], s[4:5], 0x5c
	s_waitcnt lgkmcnt(0)
	s_mul_hi_u32 s0, s0, s7
	s_add_i32 s0, s7, s0
	s_lshr_b32 s19, s0, s1
.LBB211_4:
	s_load_dwordx4 s[24:27], s[4:5], 0x68
	s_andn2_b32 vcc_lo, exec_lo, s9
	s_mov_b32 s23, s7
	s_cbranch_vccnz .LBB211_6
; %bb.5:
	s_mul_hi_u32 s0, s13, s7
	s_add_i32 s0, s7, s0
	s_lshr_b32 s0, s0, s14
	s_mul_i32 s0, s0, s15
	s_sub_i32 s23, s7, s0
.LBB211_6:
	s_load_dword s9, s[4:5], 0x78
	v_cmp_gt_u32_e32 vcc_lo, 32, v0
	v_lshl_add_u32 v5, v0, 2, 0
	s_and_saveexec_b32 s0, vcc_lo
; %bb.7:
	v_mov_b32_e32 v1, 0
	ds_write_b32 v5, v1
; %bb.8:
	s_or_b32 exec_lo, exec_lo, s0
	v_mov_b32_e32 v6, 0
	v_mov_b32_e32 v7, 0
	s_and_b32 s0, exec_lo, s10
	s_mov_b32 s11, 0
	s_cselect_b32 s10, s8, 0
	s_mov_b32 s13, exec_lo
	s_waitcnt lgkmcnt(0)
	s_barrier
	buffer_gl0_inv
	v_cmpx_gt_i32_e64 s12, v0
	s_cbranch_execz .LBB211_12
; %bb.9:
	s_load_dwordx4 s[0:3], s[4:5], 0x0
	s_mul_hi_u32 s8, s27, s10
	s_mul_i32 s16, s16, s6
	s_add_i32 s8, s10, s8
	s_mul_i32 s14, s19, s24
	s_ashr_i32 s29, s17, 31
	s_mov_b32 s28, s17
	s_ashr_i32 s17, s16, 31
	s_lshr_b32 s19, s8, s9
	s_ashr_i32 s15, s14, 31
	s_mul_i32 s24, s23, s25
	s_lshl_b64 s[8:9], s[16:17], 1
	s_mul_hi_i32 s17, s19, s20
	s_mul_i32 s16, s19, s20
	s_lshl_b64 s[14:15], s[14:15], 1
	s_ashr_i32 s25, s24, 31
	s_lshl_b64 s[16:17], s[16:17], 1
	s_mul_hi_i32 s31, s10, s21
	s_mul_i32 s30, s10, s21
	v_lshlrev_b32_e32 v2, 3, v0
	s_waitcnt lgkmcnt(0)
	s_add_u32 s0, s0, s14
	s_addc_u32 s1, s1, s15
	s_add_u32 s0, s0, s8
	s_addc_u32 s1, s1, s9
	;; [unrolled: 2-line block ×3, first 2 shown]
	s_lshl_b64 s[14:15], s[24:25], 2
	s_lshl_b64 s[8:9], s[28:29], 3
	;; [unrolled: 1-line block ×3, first 2 shown]
	s_add_u32 s2, s2, s14
	s_addc_u32 s3, s3, s15
	v_lshlrev_b32_e32 v1, 2, v0
	s_add_u32 s0, s2, s0
	s_addc_u32 s1, s3, s1
	v_add_co_u32 v3, s0, s0, v2
	v_add_co_ci_u32_e64 v4, null, s1, 0, s0
	v_add_co_u32 v1, s0, s16, v1
	v_add_co_ci_u32_e64 v2, null, s17, 0, s0
	v_add_co_u32 v3, s0, v3, 4
	v_mov_b32_e32 v7, 0
	v_add_co_ci_u32_e64 v4, null, 0, v4, s0
	v_mov_b32_e32 v8, v0
	v_mov_b32_e32 v6, 0
	s_inst_prefetch 0x1
	.p2align	6
.LBB211_10:                             ; =>This Inner Loop Header: Depth=1
	v_add_co_u32 v9, s0, v3, s8
	v_add_co_ci_u32_e64 v10, null, s9, v4, s0
	v_add_nc_u32_e32 v8, 0x80, v8
	global_load_dword v13, v[1:2], off
	s_clause 0x1
	global_load_dwordx2 v[11:12], v[3:4], off offset:-4
	global_load_dwordx2 v[9:10], v[9:10], off offset:-4
	v_add_co_u32 v1, s0, 0x200, v1
	v_add_co_ci_u32_e64 v2, null, 0, v2, s0
	v_cmp_le_i32_e64 s0, s12, v8
	v_add_co_u32 v3, s1, 0x400, v3
	v_add_co_ci_u32_e64 v4, null, 0, v4, s1
	s_or_b32 s11, s0, s11
	s_waitcnt vmcnt(1)
	v_fma_mix_f32 v7, v11, v13, v7 op_sel_hi:[0,1,0]
	s_waitcnt vmcnt(0)
	v_fma_mix_f32 v6, v9, v13, v6 op_sel_hi:[0,1,0]
	v_fma_mix_f32 v7, v12, v13, v7 op_sel:[0,1,0] op_sel_hi:[0,1,0]
	v_fma_mix_f32 v6, v10, v13, v6 op_sel:[0,1,0] op_sel_hi:[0,1,0]
	s_andn2_b32 exec_lo, exec_lo, s11
	s_cbranch_execnz .LBB211_10
; %bb.11:
	s_inst_prefetch 0x2
	s_or_b32 exec_lo, exec_lo, s11
.LBB211_12:
	s_or_b32 exec_lo, exec_lo, s13
	v_mbcnt_lo_u32_b32 v2, -1, 0
	v_xor_b32_e32 v1, 16, v2
	v_xor_b32_e32 v3, 8, v2
	v_cmp_gt_i32_e64 s0, 32, v1
	v_cndmask_b32_e64 v1, v2, v1, s0
	v_cmp_gt_i32_e64 s0, 32, v3
	v_lshlrev_b32_e32 v1, 2, v1
	v_cndmask_b32_e64 v3, v2, v3, s0
	ds_bpermute_b32 v4, v1, v7
	v_lshlrev_b32_e32 v3, 2, v3
	s_waitcnt lgkmcnt(0)
	v_add_f32_e32 v7, v7, v4
	v_xor_b32_e32 v4, 4, v2
	ds_bpermute_b32 v8, v3, v7
	v_cmp_gt_i32_e64 s0, 32, v4
	v_cndmask_b32_e64 v4, v2, v4, s0
	v_lshlrev_b32_e32 v4, 2, v4
	s_waitcnt lgkmcnt(0)
	v_add_f32_e32 v8, v7, v8
	v_xor_b32_e32 v7, 2, v2
	ds_bpermute_b32 v9, v4, v8
	v_cmp_gt_i32_e64 s0, 32, v7
	v_cndmask_b32_e64 v7, v2, v7, s0
	;; [unrolled: 7-line block ×3, first 2 shown]
	v_lshlrev_b32_e32 v8, 2, v2
	s_waitcnt lgkmcnt(0)
	v_add_f32_e32 v2, v9, v10
	v_lshrrev_b32_e32 v9, 3, v0
	ds_bpermute_b32 v10, v8, v2
	v_and_b32_e32 v9, 0x7c, v9
	v_add_nc_u32_e32 v9, 0, v9
	s_waitcnt lgkmcnt(0)
	v_add_f32_e32 v2, v2, v10
	ds_write_b32 v9, v2
	s_waitcnt lgkmcnt(0)
	s_barrier
	buffer_gl0_inv
	s_and_saveexec_b32 s0, vcc_lo
	s_cbranch_execz .LBB211_14
; %bb.13:
	ds_read_b32 v2, v5
	s_waitcnt lgkmcnt(0)
	ds_bpermute_b32 v10, v1, v2
	s_waitcnt lgkmcnt(0)
	v_add_f32_e32 v2, v2, v10
	ds_bpermute_b32 v10, v3, v2
	s_waitcnt lgkmcnt(0)
	v_add_f32_e32 v2, v2, v10
	;; [unrolled: 3-line block ×5, first 2 shown]
.LBB211_14:
	s_or_b32 exec_lo, exec_lo, s0
	ds_bpermute_b32 v10, v1, v6
	s_waitcnt lgkmcnt(0)
	s_barrier
	buffer_gl0_inv
	v_add_f32_e32 v6, v6, v10
	ds_bpermute_b32 v10, v3, v6
	s_waitcnt lgkmcnt(0)
	v_add_f32_e32 v6, v6, v10
	ds_bpermute_b32 v10, v4, v6
	s_waitcnt lgkmcnt(0)
	;; [unrolled: 3-line block ×4, first 2 shown]
	v_add_f32_e32 v6, v6, v10
	ds_write_b32 v9, v6
	s_waitcnt lgkmcnt(0)
	s_barrier
	buffer_gl0_inv
	s_and_saveexec_b32 s0, vcc_lo
	s_cbranch_execz .LBB211_16
; %bb.15:
	ds_read_b32 v5, v5
	s_waitcnt lgkmcnt(0)
	ds_bpermute_b32 v1, v1, v5
	s_waitcnt lgkmcnt(0)
	v_add_f32_e32 v1, v5, v1
	ds_bpermute_b32 v3, v3, v1
	s_waitcnt lgkmcnt(0)
	v_add_f32_e32 v1, v1, v3
	;; [unrolled: 3-line block ×5, first 2 shown]
.LBB211_16:
	s_or_b32 exec_lo, exec_lo, s0
	s_barrier
	buffer_gl0_inv
	s_mov_b32 s0, exec_lo
	v_cmpx_gt_u32_e32 2, v0
	s_cbranch_execz .LBB211_18
; %bb.17:
	s_load_dwordx2 s[0:1], s[4:5], 0x38
	v_mad_u64_u32 v[3:4], null, s18, v0, s[6:7]
	s_mul_hi_i32 s3, s22, s10
	s_mul_i32 s2, s22, s10
	s_mul_i32 s4, s26, s7
	s_lshl_b64 s[2:3], s[2:3], 2
	s_ashr_i32 s5, s4, 31
	v_cmp_eq_u32_e32 vcc_lo, 1, v0
	v_ashrrev_i32_e32 v4, 31, v3
	v_cndmask_b32_e32 v2, v2, v6, vcc_lo
	v_lshlrev_b64 v[3:4], 2, v[3:4]
	s_waitcnt lgkmcnt(0)
	s_add_u32 s2, s0, s2
	s_addc_u32 s3, s1, s3
	s_lshl_b64 s[0:1], s[4:5], 2
	s_add_u32 s0, s2, s0
	s_addc_u32 s1, s3, s1
	v_add_co_u32 v0, vcc_lo, s0, v3
	v_add_co_ci_u32_e64 v1, null, s1, v4, vcc_lo
	global_store_dword v[0:1], v2, off
.LBB211_18:
	s_endpgm
	.section	.rodata,"a",@progbits
	.p2align	6, 0x0
	.amdhsa_kernel _ZL13mul_mat_vec_fI6__halffLi2ELi128ELb0ELb0EEvPKT_PKfPKi31ggml_cuda_mm_fusion_args_devicePfi15HIP_vector_typeIjLj3EEiiiSB_iiiSB_iiii
		.amdhsa_group_segment_fixed_size 0
		.amdhsa_private_segment_fixed_size 0
		.amdhsa_kernarg_size 144
		.amdhsa_user_sgpr_count 6
		.amdhsa_user_sgpr_private_segment_buffer 1
		.amdhsa_user_sgpr_dispatch_ptr 0
		.amdhsa_user_sgpr_queue_ptr 0
		.amdhsa_user_sgpr_kernarg_segment_ptr 1
		.amdhsa_user_sgpr_dispatch_id 0
		.amdhsa_user_sgpr_flat_scratch_init 0
		.amdhsa_user_sgpr_private_segment_size 0
		.amdhsa_wavefront_size32 1
		.amdhsa_uses_dynamic_stack 0
		.amdhsa_system_sgpr_private_segment_wavefront_offset 0
		.amdhsa_system_sgpr_workgroup_id_x 1
		.amdhsa_system_sgpr_workgroup_id_y 1
		.amdhsa_system_sgpr_workgroup_id_z 1
		.amdhsa_system_sgpr_workgroup_info 0
		.amdhsa_system_vgpr_workitem_id 0
		.amdhsa_next_free_vgpr 14
		.amdhsa_next_free_sgpr 32
		.amdhsa_reserve_vcc 1
		.amdhsa_reserve_flat_scratch 0
		.amdhsa_float_round_mode_32 0
		.amdhsa_float_round_mode_16_64 0
		.amdhsa_float_denorm_mode_32 3
		.amdhsa_float_denorm_mode_16_64 3
		.amdhsa_dx10_clamp 1
		.amdhsa_ieee_mode 1
		.amdhsa_fp16_overflow 0
		.amdhsa_workgroup_processor_mode 1
		.amdhsa_memory_ordered 1
		.amdhsa_forward_progress 1
		.amdhsa_shared_vgpr_count 0
		.amdhsa_exception_fp_ieee_invalid_op 0
		.amdhsa_exception_fp_denorm_src 0
		.amdhsa_exception_fp_ieee_div_zero 0
		.amdhsa_exception_fp_ieee_overflow 0
		.amdhsa_exception_fp_ieee_underflow 0
		.amdhsa_exception_fp_ieee_inexact 0
		.amdhsa_exception_int_div_zero 0
	.end_amdhsa_kernel
	.section	.text._ZL13mul_mat_vec_fI6__halffLi2ELi128ELb0ELb0EEvPKT_PKfPKi31ggml_cuda_mm_fusion_args_devicePfi15HIP_vector_typeIjLj3EEiiiSB_iiiSB_iiii,"axG",@progbits,_ZL13mul_mat_vec_fI6__halffLi2ELi128ELb0ELb0EEvPKT_PKfPKi31ggml_cuda_mm_fusion_args_devicePfi15HIP_vector_typeIjLj3EEiiiSB_iiiSB_iiii,comdat
.Lfunc_end211:
	.size	_ZL13mul_mat_vec_fI6__halffLi2ELi128ELb0ELb0EEvPKT_PKfPKi31ggml_cuda_mm_fusion_args_devicePfi15HIP_vector_typeIjLj3EEiiiSB_iiiSB_iiii, .Lfunc_end211-_ZL13mul_mat_vec_fI6__halffLi2ELi128ELb0ELb0EEvPKT_PKfPKi31ggml_cuda_mm_fusion_args_devicePfi15HIP_vector_typeIjLj3EEiiiSB_iiiSB_iiii
                                        ; -- End function
	.set _ZL13mul_mat_vec_fI6__halffLi2ELi128ELb0ELb0EEvPKT_PKfPKi31ggml_cuda_mm_fusion_args_devicePfi15HIP_vector_typeIjLj3EEiiiSB_iiiSB_iiii.num_vgpr, 14
	.set _ZL13mul_mat_vec_fI6__halffLi2ELi128ELb0ELb0EEvPKT_PKfPKi31ggml_cuda_mm_fusion_args_devicePfi15HIP_vector_typeIjLj3EEiiiSB_iiiSB_iiii.num_agpr, 0
	.set _ZL13mul_mat_vec_fI6__halffLi2ELi128ELb0ELb0EEvPKT_PKfPKi31ggml_cuda_mm_fusion_args_devicePfi15HIP_vector_typeIjLj3EEiiiSB_iiiSB_iiii.numbered_sgpr, 32
	.set _ZL13mul_mat_vec_fI6__halffLi2ELi128ELb0ELb0EEvPKT_PKfPKi31ggml_cuda_mm_fusion_args_devicePfi15HIP_vector_typeIjLj3EEiiiSB_iiiSB_iiii.num_named_barrier, 0
	.set _ZL13mul_mat_vec_fI6__halffLi2ELi128ELb0ELb0EEvPKT_PKfPKi31ggml_cuda_mm_fusion_args_devicePfi15HIP_vector_typeIjLj3EEiiiSB_iiiSB_iiii.private_seg_size, 0
	.set _ZL13mul_mat_vec_fI6__halffLi2ELi128ELb0ELb0EEvPKT_PKfPKi31ggml_cuda_mm_fusion_args_devicePfi15HIP_vector_typeIjLj3EEiiiSB_iiiSB_iiii.uses_vcc, 1
	.set _ZL13mul_mat_vec_fI6__halffLi2ELi128ELb0ELb0EEvPKT_PKfPKi31ggml_cuda_mm_fusion_args_devicePfi15HIP_vector_typeIjLj3EEiiiSB_iiiSB_iiii.uses_flat_scratch, 0
	.set _ZL13mul_mat_vec_fI6__halffLi2ELi128ELb0ELb0EEvPKT_PKfPKi31ggml_cuda_mm_fusion_args_devicePfi15HIP_vector_typeIjLj3EEiiiSB_iiiSB_iiii.has_dyn_sized_stack, 0
	.set _ZL13mul_mat_vec_fI6__halffLi2ELi128ELb0ELb0EEvPKT_PKfPKi31ggml_cuda_mm_fusion_args_devicePfi15HIP_vector_typeIjLj3EEiiiSB_iiiSB_iiii.has_recursion, 0
	.set _ZL13mul_mat_vec_fI6__halffLi2ELi128ELb0ELb0EEvPKT_PKfPKi31ggml_cuda_mm_fusion_args_devicePfi15HIP_vector_typeIjLj3EEiiiSB_iiiSB_iiii.has_indirect_call, 0
	.section	.AMDGPU.csdata,"",@progbits
; Kernel info:
; codeLenInByte = 1380
; TotalNumSgprs: 34
; NumVgprs: 14
; ScratchSize: 0
; MemoryBound: 0
; FloatMode: 240
; IeeeMode: 1
; LDSByteSize: 0 bytes/workgroup (compile time only)
; SGPRBlocks: 0
; VGPRBlocks: 1
; NumSGPRsForWavesPerEU: 34
; NumVGPRsForWavesPerEU: 14
; Occupancy: 16
; WaveLimiterHint : 0
; COMPUTE_PGM_RSRC2:SCRATCH_EN: 0
; COMPUTE_PGM_RSRC2:USER_SGPR: 6
; COMPUTE_PGM_RSRC2:TRAP_HANDLER: 0
; COMPUTE_PGM_RSRC2:TGID_X_EN: 1
; COMPUTE_PGM_RSRC2:TGID_Y_EN: 1
; COMPUTE_PGM_RSRC2:TGID_Z_EN: 1
; COMPUTE_PGM_RSRC2:TIDIG_COMP_CNT: 0
	.section	.text._ZL13mul_mat_vec_fI6__halffLi2ELi160ELb0ELb0EEvPKT_PKfPKi31ggml_cuda_mm_fusion_args_devicePfi15HIP_vector_typeIjLj3EEiiiSB_iiiSB_iiii,"axG",@progbits,_ZL13mul_mat_vec_fI6__halffLi2ELi160ELb0ELb0EEvPKT_PKfPKi31ggml_cuda_mm_fusion_args_devicePfi15HIP_vector_typeIjLj3EEiiiSB_iiiSB_iiii,comdat
	.globl	_ZL13mul_mat_vec_fI6__halffLi2ELi160ELb0ELb0EEvPKT_PKfPKi31ggml_cuda_mm_fusion_args_devicePfi15HIP_vector_typeIjLj3EEiiiSB_iiiSB_iiii ; -- Begin function _ZL13mul_mat_vec_fI6__halffLi2ELi160ELb0ELb0EEvPKT_PKfPKi31ggml_cuda_mm_fusion_args_devicePfi15HIP_vector_typeIjLj3EEiiiSB_iiiSB_iiii
	.p2align	8
	.type	_ZL13mul_mat_vec_fI6__halffLi2ELi160ELb0ELb0EEvPKT_PKfPKi31ggml_cuda_mm_fusion_args_devicePfi15HIP_vector_typeIjLj3EEiiiSB_iiiSB_iiii,@function
_ZL13mul_mat_vec_fI6__halffLi2ELi160ELb0ELb0EEvPKT_PKfPKi31ggml_cuda_mm_fusion_args_devicePfi15HIP_vector_typeIjLj3EEiiiSB_iiiSB_iiii: ; @_ZL13mul_mat_vec_fI6__halffLi2ELi160ELb0ELb0EEvPKT_PKfPKi31ggml_cuda_mm_fusion_args_devicePfi15HIP_vector_typeIjLj3EEiiiSB_iiiSB_iiii
; %bb.0:
	s_clause 0x2
	s_load_dwordx2 s[0:1], s[4:5], 0x10
	s_load_dwordx8 s[12:19], s[4:5], 0x40
	s_load_dwordx4 s[20:23], s[4:5], 0x80
	s_waitcnt lgkmcnt(0)
	s_cmp_eq_u64 s[0:1], 0
	s_cselect_b32 s10, -1, 0
	s_cmp_lg_u64 s[0:1], 0
	s_cselect_b32 s9, -1, 0
	s_and_b32 vcc_lo, exec_lo, s10
	s_cbranch_vccnz .LBB212_2
; %bb.1:
	s_mul_i32 s2, s23, s8
	s_mov_b32 s3, 0
	s_add_i32 s2, s2, s7
	s_lshl_b64 s[24:25], s[2:3], 2
	s_add_u32 s0, s0, s24
	s_addc_u32 s1, s1, s25
	s_load_dword s19, s[0:1], 0x0
	s_cbranch_execz .LBB212_3
	s_branch .LBB212_4
.LBB212_2:
                                        ; implicit-def: $sgpr19
.LBB212_3:
	s_load_dwordx2 s[0:1], s[4:5], 0x5c
	s_waitcnt lgkmcnt(0)
	s_mul_hi_u32 s0, s0, s7
	s_add_i32 s0, s7, s0
	s_lshr_b32 s19, s0, s1
.LBB212_4:
	s_load_dwordx4 s[24:27], s[4:5], 0x68
	s_andn2_b32 vcc_lo, exec_lo, s9
	s_mov_b32 s23, s7
	s_cbranch_vccnz .LBB212_6
; %bb.5:
	s_mul_hi_u32 s0, s13, s7
	s_add_i32 s0, s7, s0
	s_lshr_b32 s0, s0, s14
	s_mul_i32 s0, s0, s15
	s_sub_i32 s23, s7, s0
.LBB212_6:
	s_load_dword s9, s[4:5], 0x78
	v_cmp_gt_u32_e32 vcc_lo, 32, v0
	v_lshl_add_u32 v5, v0, 2, 0
	s_and_saveexec_b32 s0, vcc_lo
; %bb.7:
	v_mov_b32_e32 v1, 0
	ds_write_b32 v5, v1
; %bb.8:
	s_or_b32 exec_lo, exec_lo, s0
	v_mov_b32_e32 v6, 0
	v_mov_b32_e32 v7, 0
	s_and_b32 s0, exec_lo, s10
	s_mov_b32 s11, 0
	s_cselect_b32 s10, s8, 0
	s_mov_b32 s13, exec_lo
	s_waitcnt lgkmcnt(0)
	s_barrier
	buffer_gl0_inv
	v_cmpx_gt_i32_e64 s12, v0
	s_cbranch_execz .LBB212_12
; %bb.9:
	s_load_dwordx4 s[0:3], s[4:5], 0x0
	s_mul_hi_u32 s8, s27, s10
	s_mul_i32 s16, s16, s6
	s_add_i32 s8, s10, s8
	s_mul_i32 s14, s19, s24
	s_ashr_i32 s29, s17, 31
	s_mov_b32 s28, s17
	s_ashr_i32 s17, s16, 31
	s_lshr_b32 s19, s8, s9
	s_ashr_i32 s15, s14, 31
	s_mul_i32 s24, s23, s25
	s_lshl_b64 s[8:9], s[16:17], 1
	s_mul_hi_i32 s17, s19, s20
	s_mul_i32 s16, s19, s20
	s_lshl_b64 s[14:15], s[14:15], 1
	s_ashr_i32 s25, s24, 31
	s_lshl_b64 s[16:17], s[16:17], 1
	s_mul_hi_i32 s31, s10, s21
	s_mul_i32 s30, s10, s21
	v_lshlrev_b32_e32 v2, 3, v0
	s_waitcnt lgkmcnt(0)
	s_add_u32 s0, s0, s14
	s_addc_u32 s1, s1, s15
	s_add_u32 s0, s0, s8
	s_addc_u32 s1, s1, s9
	;; [unrolled: 2-line block ×3, first 2 shown]
	s_lshl_b64 s[14:15], s[24:25], 2
	s_lshl_b64 s[8:9], s[28:29], 3
	;; [unrolled: 1-line block ×3, first 2 shown]
	s_add_u32 s2, s2, s14
	s_addc_u32 s3, s3, s15
	v_lshlrev_b32_e32 v1, 2, v0
	s_add_u32 s0, s2, s0
	s_addc_u32 s1, s3, s1
	v_add_co_u32 v3, s0, s0, v2
	v_add_co_ci_u32_e64 v4, null, s1, 0, s0
	v_add_co_u32 v1, s0, s16, v1
	v_add_co_ci_u32_e64 v2, null, s17, 0, s0
	v_add_co_u32 v3, s0, v3, 4
	v_mov_b32_e32 v7, 0
	v_add_co_ci_u32_e64 v4, null, 0, v4, s0
	v_mov_b32_e32 v8, v0
	v_mov_b32_e32 v6, 0
	s_inst_prefetch 0x1
	.p2align	6
.LBB212_10:                             ; =>This Inner Loop Header: Depth=1
	v_add_co_u32 v9, s0, v3, s8
	v_add_co_ci_u32_e64 v10, null, s9, v4, s0
	v_add_nc_u32_e32 v8, 0xa0, v8
	global_load_dword v13, v[1:2], off
	s_clause 0x1
	global_load_dwordx2 v[11:12], v[3:4], off offset:-4
	global_load_dwordx2 v[9:10], v[9:10], off offset:-4
	v_add_co_u32 v1, s0, 0x280, v1
	v_add_co_ci_u32_e64 v2, null, 0, v2, s0
	v_cmp_le_i32_e64 s0, s12, v8
	v_add_co_u32 v3, s1, 0x500, v3
	v_add_co_ci_u32_e64 v4, null, 0, v4, s1
	s_or_b32 s11, s0, s11
	s_waitcnt vmcnt(1)
	v_fma_mix_f32 v7, v11, v13, v7 op_sel_hi:[0,1,0]
	s_waitcnt vmcnt(0)
	v_fma_mix_f32 v6, v9, v13, v6 op_sel_hi:[0,1,0]
	v_fma_mix_f32 v7, v12, v13, v7 op_sel:[0,1,0] op_sel_hi:[0,1,0]
	v_fma_mix_f32 v6, v10, v13, v6 op_sel:[0,1,0] op_sel_hi:[0,1,0]
	s_andn2_b32 exec_lo, exec_lo, s11
	s_cbranch_execnz .LBB212_10
; %bb.11:
	s_inst_prefetch 0x2
	s_or_b32 exec_lo, exec_lo, s11
.LBB212_12:
	s_or_b32 exec_lo, exec_lo, s13
	v_mbcnt_lo_u32_b32 v2, -1, 0
	v_xor_b32_e32 v1, 16, v2
	v_xor_b32_e32 v3, 8, v2
	v_cmp_gt_i32_e64 s0, 32, v1
	v_cndmask_b32_e64 v1, v2, v1, s0
	v_cmp_gt_i32_e64 s0, 32, v3
	v_lshlrev_b32_e32 v1, 2, v1
	v_cndmask_b32_e64 v3, v2, v3, s0
	ds_bpermute_b32 v4, v1, v7
	v_lshlrev_b32_e32 v3, 2, v3
	s_waitcnt lgkmcnt(0)
	v_add_f32_e32 v7, v7, v4
	v_xor_b32_e32 v4, 4, v2
	ds_bpermute_b32 v8, v3, v7
	v_cmp_gt_i32_e64 s0, 32, v4
	v_cndmask_b32_e64 v4, v2, v4, s0
	v_lshlrev_b32_e32 v4, 2, v4
	s_waitcnt lgkmcnt(0)
	v_add_f32_e32 v8, v7, v8
	v_xor_b32_e32 v7, 2, v2
	ds_bpermute_b32 v9, v4, v8
	v_cmp_gt_i32_e64 s0, 32, v7
	v_cndmask_b32_e64 v7, v2, v7, s0
	;; [unrolled: 7-line block ×3, first 2 shown]
	v_lshlrev_b32_e32 v8, 2, v2
	s_waitcnt lgkmcnt(0)
	v_add_f32_e32 v2, v9, v10
	v_lshrrev_b32_e32 v9, 3, v0
	ds_bpermute_b32 v10, v8, v2
	v_and_b32_e32 v9, 0x7c, v9
	v_add_nc_u32_e32 v9, 0, v9
	s_waitcnt lgkmcnt(0)
	v_add_f32_e32 v2, v2, v10
	ds_write_b32 v9, v2
	s_waitcnt lgkmcnt(0)
	s_barrier
	buffer_gl0_inv
	s_and_saveexec_b32 s0, vcc_lo
	s_cbranch_execz .LBB212_14
; %bb.13:
	ds_read_b32 v2, v5
	s_waitcnt lgkmcnt(0)
	ds_bpermute_b32 v10, v1, v2
	s_waitcnt lgkmcnt(0)
	v_add_f32_e32 v2, v2, v10
	ds_bpermute_b32 v10, v3, v2
	s_waitcnt lgkmcnt(0)
	v_add_f32_e32 v2, v2, v10
	;; [unrolled: 3-line block ×5, first 2 shown]
.LBB212_14:
	s_or_b32 exec_lo, exec_lo, s0
	ds_bpermute_b32 v10, v1, v6
	s_waitcnt lgkmcnt(0)
	s_barrier
	buffer_gl0_inv
	v_add_f32_e32 v6, v6, v10
	ds_bpermute_b32 v10, v3, v6
	s_waitcnt lgkmcnt(0)
	v_add_f32_e32 v6, v6, v10
	ds_bpermute_b32 v10, v4, v6
	s_waitcnt lgkmcnt(0)
	;; [unrolled: 3-line block ×4, first 2 shown]
	v_add_f32_e32 v6, v6, v10
	ds_write_b32 v9, v6
	s_waitcnt lgkmcnt(0)
	s_barrier
	buffer_gl0_inv
	s_and_saveexec_b32 s0, vcc_lo
	s_cbranch_execz .LBB212_16
; %bb.15:
	ds_read_b32 v5, v5
	s_waitcnt lgkmcnt(0)
	ds_bpermute_b32 v1, v1, v5
	s_waitcnt lgkmcnt(0)
	v_add_f32_e32 v1, v5, v1
	ds_bpermute_b32 v3, v3, v1
	s_waitcnt lgkmcnt(0)
	v_add_f32_e32 v1, v1, v3
	;; [unrolled: 3-line block ×5, first 2 shown]
.LBB212_16:
	s_or_b32 exec_lo, exec_lo, s0
	s_barrier
	buffer_gl0_inv
	s_mov_b32 s0, exec_lo
	v_cmpx_gt_u32_e32 2, v0
	s_cbranch_execz .LBB212_18
; %bb.17:
	s_load_dwordx2 s[0:1], s[4:5], 0x38
	v_mad_u64_u32 v[3:4], null, s18, v0, s[6:7]
	s_mul_hi_i32 s3, s22, s10
	s_mul_i32 s2, s22, s10
	s_mul_i32 s4, s26, s7
	s_lshl_b64 s[2:3], s[2:3], 2
	s_ashr_i32 s5, s4, 31
	v_cmp_eq_u32_e32 vcc_lo, 1, v0
	v_ashrrev_i32_e32 v4, 31, v3
	v_cndmask_b32_e32 v2, v2, v6, vcc_lo
	v_lshlrev_b64 v[3:4], 2, v[3:4]
	s_waitcnt lgkmcnt(0)
	s_add_u32 s2, s0, s2
	s_addc_u32 s3, s1, s3
	s_lshl_b64 s[0:1], s[4:5], 2
	s_add_u32 s0, s2, s0
	s_addc_u32 s1, s3, s1
	v_add_co_u32 v0, vcc_lo, s0, v3
	v_add_co_ci_u32_e64 v1, null, s1, v4, vcc_lo
	global_store_dword v[0:1], v2, off
.LBB212_18:
	s_endpgm
	.section	.rodata,"a",@progbits
	.p2align	6, 0x0
	.amdhsa_kernel _ZL13mul_mat_vec_fI6__halffLi2ELi160ELb0ELb0EEvPKT_PKfPKi31ggml_cuda_mm_fusion_args_devicePfi15HIP_vector_typeIjLj3EEiiiSB_iiiSB_iiii
		.amdhsa_group_segment_fixed_size 0
		.amdhsa_private_segment_fixed_size 0
		.amdhsa_kernarg_size 144
		.amdhsa_user_sgpr_count 6
		.amdhsa_user_sgpr_private_segment_buffer 1
		.amdhsa_user_sgpr_dispatch_ptr 0
		.amdhsa_user_sgpr_queue_ptr 0
		.amdhsa_user_sgpr_kernarg_segment_ptr 1
		.amdhsa_user_sgpr_dispatch_id 0
		.amdhsa_user_sgpr_flat_scratch_init 0
		.amdhsa_user_sgpr_private_segment_size 0
		.amdhsa_wavefront_size32 1
		.amdhsa_uses_dynamic_stack 0
		.amdhsa_system_sgpr_private_segment_wavefront_offset 0
		.amdhsa_system_sgpr_workgroup_id_x 1
		.amdhsa_system_sgpr_workgroup_id_y 1
		.amdhsa_system_sgpr_workgroup_id_z 1
		.amdhsa_system_sgpr_workgroup_info 0
		.amdhsa_system_vgpr_workitem_id 0
		.amdhsa_next_free_vgpr 14
		.amdhsa_next_free_sgpr 32
		.amdhsa_reserve_vcc 1
		.amdhsa_reserve_flat_scratch 0
		.amdhsa_float_round_mode_32 0
		.amdhsa_float_round_mode_16_64 0
		.amdhsa_float_denorm_mode_32 3
		.amdhsa_float_denorm_mode_16_64 3
		.amdhsa_dx10_clamp 1
		.amdhsa_ieee_mode 1
		.amdhsa_fp16_overflow 0
		.amdhsa_workgroup_processor_mode 1
		.amdhsa_memory_ordered 1
		.amdhsa_forward_progress 1
		.amdhsa_shared_vgpr_count 0
		.amdhsa_exception_fp_ieee_invalid_op 0
		.amdhsa_exception_fp_denorm_src 0
		.amdhsa_exception_fp_ieee_div_zero 0
		.amdhsa_exception_fp_ieee_overflow 0
		.amdhsa_exception_fp_ieee_underflow 0
		.amdhsa_exception_fp_ieee_inexact 0
		.amdhsa_exception_int_div_zero 0
	.end_amdhsa_kernel
	.section	.text._ZL13mul_mat_vec_fI6__halffLi2ELi160ELb0ELb0EEvPKT_PKfPKi31ggml_cuda_mm_fusion_args_devicePfi15HIP_vector_typeIjLj3EEiiiSB_iiiSB_iiii,"axG",@progbits,_ZL13mul_mat_vec_fI6__halffLi2ELi160ELb0ELb0EEvPKT_PKfPKi31ggml_cuda_mm_fusion_args_devicePfi15HIP_vector_typeIjLj3EEiiiSB_iiiSB_iiii,comdat
.Lfunc_end212:
	.size	_ZL13mul_mat_vec_fI6__halffLi2ELi160ELb0ELb0EEvPKT_PKfPKi31ggml_cuda_mm_fusion_args_devicePfi15HIP_vector_typeIjLj3EEiiiSB_iiiSB_iiii, .Lfunc_end212-_ZL13mul_mat_vec_fI6__halffLi2ELi160ELb0ELb0EEvPKT_PKfPKi31ggml_cuda_mm_fusion_args_devicePfi15HIP_vector_typeIjLj3EEiiiSB_iiiSB_iiii
                                        ; -- End function
	.set _ZL13mul_mat_vec_fI6__halffLi2ELi160ELb0ELb0EEvPKT_PKfPKi31ggml_cuda_mm_fusion_args_devicePfi15HIP_vector_typeIjLj3EEiiiSB_iiiSB_iiii.num_vgpr, 14
	.set _ZL13mul_mat_vec_fI6__halffLi2ELi160ELb0ELb0EEvPKT_PKfPKi31ggml_cuda_mm_fusion_args_devicePfi15HIP_vector_typeIjLj3EEiiiSB_iiiSB_iiii.num_agpr, 0
	.set _ZL13mul_mat_vec_fI6__halffLi2ELi160ELb0ELb0EEvPKT_PKfPKi31ggml_cuda_mm_fusion_args_devicePfi15HIP_vector_typeIjLj3EEiiiSB_iiiSB_iiii.numbered_sgpr, 32
	.set _ZL13mul_mat_vec_fI6__halffLi2ELi160ELb0ELb0EEvPKT_PKfPKi31ggml_cuda_mm_fusion_args_devicePfi15HIP_vector_typeIjLj3EEiiiSB_iiiSB_iiii.num_named_barrier, 0
	.set _ZL13mul_mat_vec_fI6__halffLi2ELi160ELb0ELb0EEvPKT_PKfPKi31ggml_cuda_mm_fusion_args_devicePfi15HIP_vector_typeIjLj3EEiiiSB_iiiSB_iiii.private_seg_size, 0
	.set _ZL13mul_mat_vec_fI6__halffLi2ELi160ELb0ELb0EEvPKT_PKfPKi31ggml_cuda_mm_fusion_args_devicePfi15HIP_vector_typeIjLj3EEiiiSB_iiiSB_iiii.uses_vcc, 1
	.set _ZL13mul_mat_vec_fI6__halffLi2ELi160ELb0ELb0EEvPKT_PKfPKi31ggml_cuda_mm_fusion_args_devicePfi15HIP_vector_typeIjLj3EEiiiSB_iiiSB_iiii.uses_flat_scratch, 0
	.set _ZL13mul_mat_vec_fI6__halffLi2ELi160ELb0ELb0EEvPKT_PKfPKi31ggml_cuda_mm_fusion_args_devicePfi15HIP_vector_typeIjLj3EEiiiSB_iiiSB_iiii.has_dyn_sized_stack, 0
	.set _ZL13mul_mat_vec_fI6__halffLi2ELi160ELb0ELb0EEvPKT_PKfPKi31ggml_cuda_mm_fusion_args_devicePfi15HIP_vector_typeIjLj3EEiiiSB_iiiSB_iiii.has_recursion, 0
	.set _ZL13mul_mat_vec_fI6__halffLi2ELi160ELb0ELb0EEvPKT_PKfPKi31ggml_cuda_mm_fusion_args_devicePfi15HIP_vector_typeIjLj3EEiiiSB_iiiSB_iiii.has_indirect_call, 0
	.section	.AMDGPU.csdata,"",@progbits
; Kernel info:
; codeLenInByte = 1380
; TotalNumSgprs: 34
; NumVgprs: 14
; ScratchSize: 0
; MemoryBound: 0
; FloatMode: 240
; IeeeMode: 1
; LDSByteSize: 0 bytes/workgroup (compile time only)
; SGPRBlocks: 0
; VGPRBlocks: 1
; NumSGPRsForWavesPerEU: 34
; NumVGPRsForWavesPerEU: 14
; Occupancy: 16
; WaveLimiterHint : 0
; COMPUTE_PGM_RSRC2:SCRATCH_EN: 0
; COMPUTE_PGM_RSRC2:USER_SGPR: 6
; COMPUTE_PGM_RSRC2:TRAP_HANDLER: 0
; COMPUTE_PGM_RSRC2:TGID_X_EN: 1
; COMPUTE_PGM_RSRC2:TGID_Y_EN: 1
; COMPUTE_PGM_RSRC2:TGID_Z_EN: 1
; COMPUTE_PGM_RSRC2:TIDIG_COMP_CNT: 0
	.section	.text._ZL13mul_mat_vec_fI6__halffLi2ELi192ELb0ELb0EEvPKT_PKfPKi31ggml_cuda_mm_fusion_args_devicePfi15HIP_vector_typeIjLj3EEiiiSB_iiiSB_iiii,"axG",@progbits,_ZL13mul_mat_vec_fI6__halffLi2ELi192ELb0ELb0EEvPKT_PKfPKi31ggml_cuda_mm_fusion_args_devicePfi15HIP_vector_typeIjLj3EEiiiSB_iiiSB_iiii,comdat
	.globl	_ZL13mul_mat_vec_fI6__halffLi2ELi192ELb0ELb0EEvPKT_PKfPKi31ggml_cuda_mm_fusion_args_devicePfi15HIP_vector_typeIjLj3EEiiiSB_iiiSB_iiii ; -- Begin function _ZL13mul_mat_vec_fI6__halffLi2ELi192ELb0ELb0EEvPKT_PKfPKi31ggml_cuda_mm_fusion_args_devicePfi15HIP_vector_typeIjLj3EEiiiSB_iiiSB_iiii
	.p2align	8
	.type	_ZL13mul_mat_vec_fI6__halffLi2ELi192ELb0ELb0EEvPKT_PKfPKi31ggml_cuda_mm_fusion_args_devicePfi15HIP_vector_typeIjLj3EEiiiSB_iiiSB_iiii,@function
_ZL13mul_mat_vec_fI6__halffLi2ELi192ELb0ELb0EEvPKT_PKfPKi31ggml_cuda_mm_fusion_args_devicePfi15HIP_vector_typeIjLj3EEiiiSB_iiiSB_iiii: ; @_ZL13mul_mat_vec_fI6__halffLi2ELi192ELb0ELb0EEvPKT_PKfPKi31ggml_cuda_mm_fusion_args_devicePfi15HIP_vector_typeIjLj3EEiiiSB_iiiSB_iiii
; %bb.0:
	s_clause 0x2
	s_load_dwordx2 s[0:1], s[4:5], 0x10
	s_load_dwordx8 s[12:19], s[4:5], 0x40
	s_load_dwordx4 s[20:23], s[4:5], 0x80
	s_waitcnt lgkmcnt(0)
	s_cmp_eq_u64 s[0:1], 0
	s_cselect_b32 s10, -1, 0
	s_cmp_lg_u64 s[0:1], 0
	s_cselect_b32 s9, -1, 0
	s_and_b32 vcc_lo, exec_lo, s10
	s_cbranch_vccnz .LBB213_2
; %bb.1:
	s_mul_i32 s2, s23, s8
	s_mov_b32 s3, 0
	s_add_i32 s2, s2, s7
	s_lshl_b64 s[24:25], s[2:3], 2
	s_add_u32 s0, s0, s24
	s_addc_u32 s1, s1, s25
	s_load_dword s19, s[0:1], 0x0
	s_cbranch_execz .LBB213_3
	s_branch .LBB213_4
.LBB213_2:
                                        ; implicit-def: $sgpr19
.LBB213_3:
	s_load_dwordx2 s[0:1], s[4:5], 0x5c
	s_waitcnt lgkmcnt(0)
	s_mul_hi_u32 s0, s0, s7
	s_add_i32 s0, s7, s0
	s_lshr_b32 s19, s0, s1
.LBB213_4:
	s_load_dwordx4 s[24:27], s[4:5], 0x68
	s_andn2_b32 vcc_lo, exec_lo, s9
	s_mov_b32 s23, s7
	s_cbranch_vccnz .LBB213_6
; %bb.5:
	s_mul_hi_u32 s0, s13, s7
	s_add_i32 s0, s7, s0
	s_lshr_b32 s0, s0, s14
	s_mul_i32 s0, s0, s15
	s_sub_i32 s23, s7, s0
.LBB213_6:
	s_load_dword s9, s[4:5], 0x78
	v_cmp_gt_u32_e32 vcc_lo, 32, v0
	v_lshl_add_u32 v5, v0, 2, 0
	s_and_saveexec_b32 s0, vcc_lo
; %bb.7:
	v_mov_b32_e32 v1, 0
	ds_write_b32 v5, v1
; %bb.8:
	s_or_b32 exec_lo, exec_lo, s0
	v_mov_b32_e32 v6, 0
	v_mov_b32_e32 v7, 0
	s_and_b32 s0, exec_lo, s10
	s_mov_b32 s11, 0
	s_cselect_b32 s10, s8, 0
	s_mov_b32 s13, exec_lo
	s_waitcnt lgkmcnt(0)
	s_barrier
	buffer_gl0_inv
	v_cmpx_gt_i32_e64 s12, v0
	s_cbranch_execz .LBB213_12
; %bb.9:
	s_load_dwordx4 s[0:3], s[4:5], 0x0
	s_mul_hi_u32 s8, s27, s10
	s_mul_i32 s16, s16, s6
	s_add_i32 s8, s10, s8
	s_mul_i32 s14, s19, s24
	s_ashr_i32 s29, s17, 31
	s_mov_b32 s28, s17
	s_ashr_i32 s17, s16, 31
	s_lshr_b32 s19, s8, s9
	s_ashr_i32 s15, s14, 31
	s_mul_i32 s24, s23, s25
	s_lshl_b64 s[8:9], s[16:17], 1
	s_mul_hi_i32 s17, s19, s20
	s_mul_i32 s16, s19, s20
	s_lshl_b64 s[14:15], s[14:15], 1
	s_ashr_i32 s25, s24, 31
	s_lshl_b64 s[16:17], s[16:17], 1
	s_mul_hi_i32 s31, s10, s21
	s_mul_i32 s30, s10, s21
	v_lshlrev_b32_e32 v2, 3, v0
	s_waitcnt lgkmcnt(0)
	s_add_u32 s0, s0, s14
	s_addc_u32 s1, s1, s15
	s_add_u32 s0, s0, s8
	s_addc_u32 s1, s1, s9
	s_add_u32 s16, s0, s16
	s_addc_u32 s17, s1, s17
	s_lshl_b64 s[14:15], s[24:25], 2
	s_lshl_b64 s[8:9], s[28:29], 3
	;; [unrolled: 1-line block ×3, first 2 shown]
	s_add_u32 s2, s2, s14
	s_addc_u32 s3, s3, s15
	v_lshlrev_b32_e32 v1, 2, v0
	s_add_u32 s0, s2, s0
	s_addc_u32 s1, s3, s1
	v_add_co_u32 v3, s0, s0, v2
	v_add_co_ci_u32_e64 v4, null, s1, 0, s0
	v_add_co_u32 v1, s0, s16, v1
	v_add_co_ci_u32_e64 v2, null, s17, 0, s0
	v_add_co_u32 v3, s0, v3, 4
	v_mov_b32_e32 v7, 0
	v_add_co_ci_u32_e64 v4, null, 0, v4, s0
	v_mov_b32_e32 v8, v0
	v_mov_b32_e32 v6, 0
	s_inst_prefetch 0x1
	.p2align	6
.LBB213_10:                             ; =>This Inner Loop Header: Depth=1
	v_add_co_u32 v9, s0, v3, s8
	v_add_co_ci_u32_e64 v10, null, s9, v4, s0
	v_add_nc_u32_e32 v8, 0xc0, v8
	global_load_dword v13, v[1:2], off
	s_clause 0x1
	global_load_dwordx2 v[11:12], v[3:4], off offset:-4
	global_load_dwordx2 v[9:10], v[9:10], off offset:-4
	v_add_co_u32 v1, s0, 0x300, v1
	v_add_co_ci_u32_e64 v2, null, 0, v2, s0
	v_cmp_le_i32_e64 s0, s12, v8
	v_add_co_u32 v3, s1, 0x600, v3
	v_add_co_ci_u32_e64 v4, null, 0, v4, s1
	s_or_b32 s11, s0, s11
	s_waitcnt vmcnt(1)
	v_fma_mix_f32 v7, v11, v13, v7 op_sel_hi:[0,1,0]
	s_waitcnt vmcnt(0)
	v_fma_mix_f32 v6, v9, v13, v6 op_sel_hi:[0,1,0]
	v_fma_mix_f32 v7, v12, v13, v7 op_sel:[0,1,0] op_sel_hi:[0,1,0]
	v_fma_mix_f32 v6, v10, v13, v6 op_sel:[0,1,0] op_sel_hi:[0,1,0]
	s_andn2_b32 exec_lo, exec_lo, s11
	s_cbranch_execnz .LBB213_10
; %bb.11:
	s_inst_prefetch 0x2
	s_or_b32 exec_lo, exec_lo, s11
.LBB213_12:
	s_or_b32 exec_lo, exec_lo, s13
	v_mbcnt_lo_u32_b32 v2, -1, 0
	v_xor_b32_e32 v1, 16, v2
	v_xor_b32_e32 v3, 8, v2
	v_cmp_gt_i32_e64 s0, 32, v1
	v_cndmask_b32_e64 v1, v2, v1, s0
	v_cmp_gt_i32_e64 s0, 32, v3
	v_lshlrev_b32_e32 v1, 2, v1
	v_cndmask_b32_e64 v3, v2, v3, s0
	ds_bpermute_b32 v4, v1, v7
	v_lshlrev_b32_e32 v3, 2, v3
	s_waitcnt lgkmcnt(0)
	v_add_f32_e32 v7, v7, v4
	v_xor_b32_e32 v4, 4, v2
	ds_bpermute_b32 v8, v3, v7
	v_cmp_gt_i32_e64 s0, 32, v4
	v_cndmask_b32_e64 v4, v2, v4, s0
	v_lshlrev_b32_e32 v4, 2, v4
	s_waitcnt lgkmcnt(0)
	v_add_f32_e32 v8, v7, v8
	v_xor_b32_e32 v7, 2, v2
	ds_bpermute_b32 v9, v4, v8
	v_cmp_gt_i32_e64 s0, 32, v7
	v_cndmask_b32_e64 v7, v2, v7, s0
	;; [unrolled: 7-line block ×3, first 2 shown]
	v_lshlrev_b32_e32 v8, 2, v2
	s_waitcnt lgkmcnt(0)
	v_add_f32_e32 v2, v9, v10
	v_lshrrev_b32_e32 v9, 3, v0
	ds_bpermute_b32 v10, v8, v2
	v_and_b32_e32 v9, 0x7c, v9
	v_add_nc_u32_e32 v9, 0, v9
	s_waitcnt lgkmcnt(0)
	v_add_f32_e32 v2, v2, v10
	ds_write_b32 v9, v2
	s_waitcnt lgkmcnt(0)
	s_barrier
	buffer_gl0_inv
	s_and_saveexec_b32 s0, vcc_lo
	s_cbranch_execz .LBB213_14
; %bb.13:
	ds_read_b32 v2, v5
	s_waitcnt lgkmcnt(0)
	ds_bpermute_b32 v10, v1, v2
	s_waitcnt lgkmcnt(0)
	v_add_f32_e32 v2, v2, v10
	ds_bpermute_b32 v10, v3, v2
	s_waitcnt lgkmcnt(0)
	v_add_f32_e32 v2, v2, v10
	;; [unrolled: 3-line block ×5, first 2 shown]
.LBB213_14:
	s_or_b32 exec_lo, exec_lo, s0
	ds_bpermute_b32 v10, v1, v6
	s_waitcnt lgkmcnt(0)
	s_barrier
	buffer_gl0_inv
	v_add_f32_e32 v6, v6, v10
	ds_bpermute_b32 v10, v3, v6
	s_waitcnt lgkmcnt(0)
	v_add_f32_e32 v6, v6, v10
	ds_bpermute_b32 v10, v4, v6
	s_waitcnt lgkmcnt(0)
	v_add_f32_e32 v6, v6, v10
	ds_bpermute_b32 v10, v7, v6
	s_waitcnt lgkmcnt(0)
	v_add_f32_e32 v6, v6, v10
	ds_bpermute_b32 v10, v8, v6
	s_waitcnt lgkmcnt(0)
	v_add_f32_e32 v6, v6, v10
	ds_write_b32 v9, v6
	s_waitcnt lgkmcnt(0)
	s_barrier
	buffer_gl0_inv
	s_and_saveexec_b32 s0, vcc_lo
	s_cbranch_execz .LBB213_16
; %bb.15:
	ds_read_b32 v5, v5
	s_waitcnt lgkmcnt(0)
	ds_bpermute_b32 v1, v1, v5
	s_waitcnt lgkmcnt(0)
	v_add_f32_e32 v1, v5, v1
	ds_bpermute_b32 v3, v3, v1
	s_waitcnt lgkmcnt(0)
	v_add_f32_e32 v1, v1, v3
	;; [unrolled: 3-line block ×5, first 2 shown]
.LBB213_16:
	s_or_b32 exec_lo, exec_lo, s0
	s_barrier
	buffer_gl0_inv
	s_mov_b32 s0, exec_lo
	v_cmpx_gt_u32_e32 2, v0
	s_cbranch_execz .LBB213_18
; %bb.17:
	s_load_dwordx2 s[0:1], s[4:5], 0x38
	v_mad_u64_u32 v[3:4], null, s18, v0, s[6:7]
	s_mul_hi_i32 s3, s22, s10
	s_mul_i32 s2, s22, s10
	s_mul_i32 s4, s26, s7
	s_lshl_b64 s[2:3], s[2:3], 2
	s_ashr_i32 s5, s4, 31
	v_cmp_eq_u32_e32 vcc_lo, 1, v0
	v_ashrrev_i32_e32 v4, 31, v3
	v_cndmask_b32_e32 v2, v2, v6, vcc_lo
	v_lshlrev_b64 v[3:4], 2, v[3:4]
	s_waitcnt lgkmcnt(0)
	s_add_u32 s2, s0, s2
	s_addc_u32 s3, s1, s3
	s_lshl_b64 s[0:1], s[4:5], 2
	s_add_u32 s0, s2, s0
	s_addc_u32 s1, s3, s1
	v_add_co_u32 v0, vcc_lo, s0, v3
	v_add_co_ci_u32_e64 v1, null, s1, v4, vcc_lo
	global_store_dword v[0:1], v2, off
.LBB213_18:
	s_endpgm
	.section	.rodata,"a",@progbits
	.p2align	6, 0x0
	.amdhsa_kernel _ZL13mul_mat_vec_fI6__halffLi2ELi192ELb0ELb0EEvPKT_PKfPKi31ggml_cuda_mm_fusion_args_devicePfi15HIP_vector_typeIjLj3EEiiiSB_iiiSB_iiii
		.amdhsa_group_segment_fixed_size 0
		.amdhsa_private_segment_fixed_size 0
		.amdhsa_kernarg_size 144
		.amdhsa_user_sgpr_count 6
		.amdhsa_user_sgpr_private_segment_buffer 1
		.amdhsa_user_sgpr_dispatch_ptr 0
		.amdhsa_user_sgpr_queue_ptr 0
		.amdhsa_user_sgpr_kernarg_segment_ptr 1
		.amdhsa_user_sgpr_dispatch_id 0
		.amdhsa_user_sgpr_flat_scratch_init 0
		.amdhsa_user_sgpr_private_segment_size 0
		.amdhsa_wavefront_size32 1
		.amdhsa_uses_dynamic_stack 0
		.amdhsa_system_sgpr_private_segment_wavefront_offset 0
		.amdhsa_system_sgpr_workgroup_id_x 1
		.amdhsa_system_sgpr_workgroup_id_y 1
		.amdhsa_system_sgpr_workgroup_id_z 1
		.amdhsa_system_sgpr_workgroup_info 0
		.amdhsa_system_vgpr_workitem_id 0
		.amdhsa_next_free_vgpr 14
		.amdhsa_next_free_sgpr 32
		.amdhsa_reserve_vcc 1
		.amdhsa_reserve_flat_scratch 0
		.amdhsa_float_round_mode_32 0
		.amdhsa_float_round_mode_16_64 0
		.amdhsa_float_denorm_mode_32 3
		.amdhsa_float_denorm_mode_16_64 3
		.amdhsa_dx10_clamp 1
		.amdhsa_ieee_mode 1
		.amdhsa_fp16_overflow 0
		.amdhsa_workgroup_processor_mode 1
		.amdhsa_memory_ordered 1
		.amdhsa_forward_progress 1
		.amdhsa_shared_vgpr_count 0
		.amdhsa_exception_fp_ieee_invalid_op 0
		.amdhsa_exception_fp_denorm_src 0
		.amdhsa_exception_fp_ieee_div_zero 0
		.amdhsa_exception_fp_ieee_overflow 0
		.amdhsa_exception_fp_ieee_underflow 0
		.amdhsa_exception_fp_ieee_inexact 0
		.amdhsa_exception_int_div_zero 0
	.end_amdhsa_kernel
	.section	.text._ZL13mul_mat_vec_fI6__halffLi2ELi192ELb0ELb0EEvPKT_PKfPKi31ggml_cuda_mm_fusion_args_devicePfi15HIP_vector_typeIjLj3EEiiiSB_iiiSB_iiii,"axG",@progbits,_ZL13mul_mat_vec_fI6__halffLi2ELi192ELb0ELb0EEvPKT_PKfPKi31ggml_cuda_mm_fusion_args_devicePfi15HIP_vector_typeIjLj3EEiiiSB_iiiSB_iiii,comdat
.Lfunc_end213:
	.size	_ZL13mul_mat_vec_fI6__halffLi2ELi192ELb0ELb0EEvPKT_PKfPKi31ggml_cuda_mm_fusion_args_devicePfi15HIP_vector_typeIjLj3EEiiiSB_iiiSB_iiii, .Lfunc_end213-_ZL13mul_mat_vec_fI6__halffLi2ELi192ELb0ELb0EEvPKT_PKfPKi31ggml_cuda_mm_fusion_args_devicePfi15HIP_vector_typeIjLj3EEiiiSB_iiiSB_iiii
                                        ; -- End function
	.set _ZL13mul_mat_vec_fI6__halffLi2ELi192ELb0ELb0EEvPKT_PKfPKi31ggml_cuda_mm_fusion_args_devicePfi15HIP_vector_typeIjLj3EEiiiSB_iiiSB_iiii.num_vgpr, 14
	.set _ZL13mul_mat_vec_fI6__halffLi2ELi192ELb0ELb0EEvPKT_PKfPKi31ggml_cuda_mm_fusion_args_devicePfi15HIP_vector_typeIjLj3EEiiiSB_iiiSB_iiii.num_agpr, 0
	.set _ZL13mul_mat_vec_fI6__halffLi2ELi192ELb0ELb0EEvPKT_PKfPKi31ggml_cuda_mm_fusion_args_devicePfi15HIP_vector_typeIjLj3EEiiiSB_iiiSB_iiii.numbered_sgpr, 32
	.set _ZL13mul_mat_vec_fI6__halffLi2ELi192ELb0ELb0EEvPKT_PKfPKi31ggml_cuda_mm_fusion_args_devicePfi15HIP_vector_typeIjLj3EEiiiSB_iiiSB_iiii.num_named_barrier, 0
	.set _ZL13mul_mat_vec_fI6__halffLi2ELi192ELb0ELb0EEvPKT_PKfPKi31ggml_cuda_mm_fusion_args_devicePfi15HIP_vector_typeIjLj3EEiiiSB_iiiSB_iiii.private_seg_size, 0
	.set _ZL13mul_mat_vec_fI6__halffLi2ELi192ELb0ELb0EEvPKT_PKfPKi31ggml_cuda_mm_fusion_args_devicePfi15HIP_vector_typeIjLj3EEiiiSB_iiiSB_iiii.uses_vcc, 1
	.set _ZL13mul_mat_vec_fI6__halffLi2ELi192ELb0ELb0EEvPKT_PKfPKi31ggml_cuda_mm_fusion_args_devicePfi15HIP_vector_typeIjLj3EEiiiSB_iiiSB_iiii.uses_flat_scratch, 0
	.set _ZL13mul_mat_vec_fI6__halffLi2ELi192ELb0ELb0EEvPKT_PKfPKi31ggml_cuda_mm_fusion_args_devicePfi15HIP_vector_typeIjLj3EEiiiSB_iiiSB_iiii.has_dyn_sized_stack, 0
	.set _ZL13mul_mat_vec_fI6__halffLi2ELi192ELb0ELb0EEvPKT_PKfPKi31ggml_cuda_mm_fusion_args_devicePfi15HIP_vector_typeIjLj3EEiiiSB_iiiSB_iiii.has_recursion, 0
	.set _ZL13mul_mat_vec_fI6__halffLi2ELi192ELb0ELb0EEvPKT_PKfPKi31ggml_cuda_mm_fusion_args_devicePfi15HIP_vector_typeIjLj3EEiiiSB_iiiSB_iiii.has_indirect_call, 0
	.section	.AMDGPU.csdata,"",@progbits
; Kernel info:
; codeLenInByte = 1380
; TotalNumSgprs: 34
; NumVgprs: 14
; ScratchSize: 0
; MemoryBound: 0
; FloatMode: 240
; IeeeMode: 1
; LDSByteSize: 0 bytes/workgroup (compile time only)
; SGPRBlocks: 0
; VGPRBlocks: 1
; NumSGPRsForWavesPerEU: 34
; NumVGPRsForWavesPerEU: 14
; Occupancy: 16
; WaveLimiterHint : 0
; COMPUTE_PGM_RSRC2:SCRATCH_EN: 0
; COMPUTE_PGM_RSRC2:USER_SGPR: 6
; COMPUTE_PGM_RSRC2:TRAP_HANDLER: 0
; COMPUTE_PGM_RSRC2:TGID_X_EN: 1
; COMPUTE_PGM_RSRC2:TGID_Y_EN: 1
; COMPUTE_PGM_RSRC2:TGID_Z_EN: 1
; COMPUTE_PGM_RSRC2:TIDIG_COMP_CNT: 0
	.section	.text._ZL13mul_mat_vec_fI6__halffLi2ELi224ELb0ELb0EEvPKT_PKfPKi31ggml_cuda_mm_fusion_args_devicePfi15HIP_vector_typeIjLj3EEiiiSB_iiiSB_iiii,"axG",@progbits,_ZL13mul_mat_vec_fI6__halffLi2ELi224ELb0ELb0EEvPKT_PKfPKi31ggml_cuda_mm_fusion_args_devicePfi15HIP_vector_typeIjLj3EEiiiSB_iiiSB_iiii,comdat
	.globl	_ZL13mul_mat_vec_fI6__halffLi2ELi224ELb0ELb0EEvPKT_PKfPKi31ggml_cuda_mm_fusion_args_devicePfi15HIP_vector_typeIjLj3EEiiiSB_iiiSB_iiii ; -- Begin function _ZL13mul_mat_vec_fI6__halffLi2ELi224ELb0ELb0EEvPKT_PKfPKi31ggml_cuda_mm_fusion_args_devicePfi15HIP_vector_typeIjLj3EEiiiSB_iiiSB_iiii
	.p2align	8
	.type	_ZL13mul_mat_vec_fI6__halffLi2ELi224ELb0ELb0EEvPKT_PKfPKi31ggml_cuda_mm_fusion_args_devicePfi15HIP_vector_typeIjLj3EEiiiSB_iiiSB_iiii,@function
_ZL13mul_mat_vec_fI6__halffLi2ELi224ELb0ELb0EEvPKT_PKfPKi31ggml_cuda_mm_fusion_args_devicePfi15HIP_vector_typeIjLj3EEiiiSB_iiiSB_iiii: ; @_ZL13mul_mat_vec_fI6__halffLi2ELi224ELb0ELb0EEvPKT_PKfPKi31ggml_cuda_mm_fusion_args_devicePfi15HIP_vector_typeIjLj3EEiiiSB_iiiSB_iiii
; %bb.0:
	s_clause 0x2
	s_load_dwordx2 s[0:1], s[4:5], 0x10
	s_load_dwordx8 s[12:19], s[4:5], 0x40
	s_load_dwordx4 s[20:23], s[4:5], 0x80
	s_waitcnt lgkmcnt(0)
	s_cmp_eq_u64 s[0:1], 0
	s_cselect_b32 s10, -1, 0
	s_cmp_lg_u64 s[0:1], 0
	s_cselect_b32 s9, -1, 0
	s_and_b32 vcc_lo, exec_lo, s10
	s_cbranch_vccnz .LBB214_2
; %bb.1:
	s_mul_i32 s2, s23, s8
	s_mov_b32 s3, 0
	s_add_i32 s2, s2, s7
	s_lshl_b64 s[24:25], s[2:3], 2
	s_add_u32 s0, s0, s24
	s_addc_u32 s1, s1, s25
	s_load_dword s19, s[0:1], 0x0
	s_cbranch_execz .LBB214_3
	s_branch .LBB214_4
.LBB214_2:
                                        ; implicit-def: $sgpr19
.LBB214_3:
	s_load_dwordx2 s[0:1], s[4:5], 0x5c
	s_waitcnt lgkmcnt(0)
	s_mul_hi_u32 s0, s0, s7
	s_add_i32 s0, s7, s0
	s_lshr_b32 s19, s0, s1
.LBB214_4:
	s_load_dwordx4 s[24:27], s[4:5], 0x68
	s_andn2_b32 vcc_lo, exec_lo, s9
	s_mov_b32 s23, s7
	s_cbranch_vccnz .LBB214_6
; %bb.5:
	s_mul_hi_u32 s0, s13, s7
	s_add_i32 s0, s7, s0
	s_lshr_b32 s0, s0, s14
	s_mul_i32 s0, s0, s15
	s_sub_i32 s23, s7, s0
.LBB214_6:
	s_load_dword s9, s[4:5], 0x78
	v_cmp_gt_u32_e32 vcc_lo, 32, v0
	v_lshl_add_u32 v5, v0, 2, 0
	s_and_saveexec_b32 s0, vcc_lo
; %bb.7:
	v_mov_b32_e32 v1, 0
	ds_write_b32 v5, v1
; %bb.8:
	s_or_b32 exec_lo, exec_lo, s0
	v_mov_b32_e32 v6, 0
	v_mov_b32_e32 v7, 0
	s_and_b32 s0, exec_lo, s10
	s_mov_b32 s11, 0
	s_cselect_b32 s10, s8, 0
	s_mov_b32 s13, exec_lo
	s_waitcnt lgkmcnt(0)
	s_barrier
	buffer_gl0_inv
	v_cmpx_gt_i32_e64 s12, v0
	s_cbranch_execz .LBB214_12
; %bb.9:
	s_load_dwordx4 s[0:3], s[4:5], 0x0
	s_mul_hi_u32 s8, s27, s10
	s_mul_i32 s16, s16, s6
	s_add_i32 s8, s10, s8
	s_mul_i32 s14, s19, s24
	s_ashr_i32 s29, s17, 31
	s_mov_b32 s28, s17
	s_ashr_i32 s17, s16, 31
	s_lshr_b32 s19, s8, s9
	s_ashr_i32 s15, s14, 31
	s_mul_i32 s24, s23, s25
	s_lshl_b64 s[8:9], s[16:17], 1
	s_mul_hi_i32 s17, s19, s20
	s_mul_i32 s16, s19, s20
	s_lshl_b64 s[14:15], s[14:15], 1
	s_ashr_i32 s25, s24, 31
	s_lshl_b64 s[16:17], s[16:17], 1
	s_mul_hi_i32 s31, s10, s21
	s_mul_i32 s30, s10, s21
	v_lshlrev_b32_e32 v2, 3, v0
	s_waitcnt lgkmcnt(0)
	s_add_u32 s0, s0, s14
	s_addc_u32 s1, s1, s15
	s_add_u32 s0, s0, s8
	s_addc_u32 s1, s1, s9
	;; [unrolled: 2-line block ×3, first 2 shown]
	s_lshl_b64 s[14:15], s[24:25], 2
	s_lshl_b64 s[8:9], s[28:29], 3
	;; [unrolled: 1-line block ×3, first 2 shown]
	s_add_u32 s2, s2, s14
	s_addc_u32 s3, s3, s15
	v_lshlrev_b32_e32 v1, 2, v0
	s_add_u32 s0, s2, s0
	s_addc_u32 s1, s3, s1
	v_add_co_u32 v3, s0, s0, v2
	v_add_co_ci_u32_e64 v4, null, s1, 0, s0
	v_add_co_u32 v1, s0, s16, v1
	v_add_co_ci_u32_e64 v2, null, s17, 0, s0
	v_add_co_u32 v3, s0, v3, 4
	v_mov_b32_e32 v7, 0
	v_add_co_ci_u32_e64 v4, null, 0, v4, s0
	v_mov_b32_e32 v8, v0
	v_mov_b32_e32 v6, 0
	s_inst_prefetch 0x1
	.p2align	6
.LBB214_10:                             ; =>This Inner Loop Header: Depth=1
	v_add_co_u32 v9, s0, v3, s8
	v_add_co_ci_u32_e64 v10, null, s9, v4, s0
	v_add_nc_u32_e32 v8, 0xe0, v8
	global_load_dword v13, v[1:2], off
	s_clause 0x1
	global_load_dwordx2 v[11:12], v[3:4], off offset:-4
	global_load_dwordx2 v[9:10], v[9:10], off offset:-4
	v_add_co_u32 v1, s0, 0x380, v1
	v_add_co_ci_u32_e64 v2, null, 0, v2, s0
	v_cmp_le_i32_e64 s0, s12, v8
	v_add_co_u32 v3, s1, 0x700, v3
	v_add_co_ci_u32_e64 v4, null, 0, v4, s1
	s_or_b32 s11, s0, s11
	s_waitcnt vmcnt(1)
	v_fma_mix_f32 v7, v11, v13, v7 op_sel_hi:[0,1,0]
	s_waitcnt vmcnt(0)
	v_fma_mix_f32 v6, v9, v13, v6 op_sel_hi:[0,1,0]
	v_fma_mix_f32 v7, v12, v13, v7 op_sel:[0,1,0] op_sel_hi:[0,1,0]
	v_fma_mix_f32 v6, v10, v13, v6 op_sel:[0,1,0] op_sel_hi:[0,1,0]
	s_andn2_b32 exec_lo, exec_lo, s11
	s_cbranch_execnz .LBB214_10
; %bb.11:
	s_inst_prefetch 0x2
	s_or_b32 exec_lo, exec_lo, s11
.LBB214_12:
	s_or_b32 exec_lo, exec_lo, s13
	v_mbcnt_lo_u32_b32 v2, -1, 0
	v_xor_b32_e32 v1, 16, v2
	v_xor_b32_e32 v3, 8, v2
	v_cmp_gt_i32_e64 s0, 32, v1
	v_cndmask_b32_e64 v1, v2, v1, s0
	v_cmp_gt_i32_e64 s0, 32, v3
	v_lshlrev_b32_e32 v1, 2, v1
	v_cndmask_b32_e64 v3, v2, v3, s0
	ds_bpermute_b32 v4, v1, v7
	v_lshlrev_b32_e32 v3, 2, v3
	s_waitcnt lgkmcnt(0)
	v_add_f32_e32 v7, v7, v4
	v_xor_b32_e32 v4, 4, v2
	ds_bpermute_b32 v8, v3, v7
	v_cmp_gt_i32_e64 s0, 32, v4
	v_cndmask_b32_e64 v4, v2, v4, s0
	v_lshlrev_b32_e32 v4, 2, v4
	s_waitcnt lgkmcnt(0)
	v_add_f32_e32 v8, v7, v8
	v_xor_b32_e32 v7, 2, v2
	ds_bpermute_b32 v9, v4, v8
	v_cmp_gt_i32_e64 s0, 32, v7
	v_cndmask_b32_e64 v7, v2, v7, s0
	;; [unrolled: 7-line block ×3, first 2 shown]
	v_lshlrev_b32_e32 v8, 2, v2
	s_waitcnt lgkmcnt(0)
	v_add_f32_e32 v2, v9, v10
	v_lshrrev_b32_e32 v9, 3, v0
	ds_bpermute_b32 v10, v8, v2
	v_and_b32_e32 v9, 0x7c, v9
	v_add_nc_u32_e32 v9, 0, v9
	s_waitcnt lgkmcnt(0)
	v_add_f32_e32 v2, v2, v10
	ds_write_b32 v9, v2
	s_waitcnt lgkmcnt(0)
	s_barrier
	buffer_gl0_inv
	s_and_saveexec_b32 s0, vcc_lo
	s_cbranch_execz .LBB214_14
; %bb.13:
	ds_read_b32 v2, v5
	s_waitcnt lgkmcnt(0)
	ds_bpermute_b32 v10, v1, v2
	s_waitcnt lgkmcnt(0)
	v_add_f32_e32 v2, v2, v10
	ds_bpermute_b32 v10, v3, v2
	s_waitcnt lgkmcnt(0)
	v_add_f32_e32 v2, v2, v10
	;; [unrolled: 3-line block ×5, first 2 shown]
.LBB214_14:
	s_or_b32 exec_lo, exec_lo, s0
	ds_bpermute_b32 v10, v1, v6
	s_waitcnt lgkmcnt(0)
	s_barrier
	buffer_gl0_inv
	v_add_f32_e32 v6, v6, v10
	ds_bpermute_b32 v10, v3, v6
	s_waitcnt lgkmcnt(0)
	v_add_f32_e32 v6, v6, v10
	ds_bpermute_b32 v10, v4, v6
	s_waitcnt lgkmcnt(0)
	;; [unrolled: 3-line block ×4, first 2 shown]
	v_add_f32_e32 v6, v6, v10
	ds_write_b32 v9, v6
	s_waitcnt lgkmcnt(0)
	s_barrier
	buffer_gl0_inv
	s_and_saveexec_b32 s0, vcc_lo
	s_cbranch_execz .LBB214_16
; %bb.15:
	ds_read_b32 v5, v5
	s_waitcnt lgkmcnt(0)
	ds_bpermute_b32 v1, v1, v5
	s_waitcnt lgkmcnt(0)
	v_add_f32_e32 v1, v5, v1
	ds_bpermute_b32 v3, v3, v1
	s_waitcnt lgkmcnt(0)
	v_add_f32_e32 v1, v1, v3
	;; [unrolled: 3-line block ×5, first 2 shown]
.LBB214_16:
	s_or_b32 exec_lo, exec_lo, s0
	s_barrier
	buffer_gl0_inv
	s_mov_b32 s0, exec_lo
	v_cmpx_gt_u32_e32 2, v0
	s_cbranch_execz .LBB214_18
; %bb.17:
	s_load_dwordx2 s[0:1], s[4:5], 0x38
	v_mad_u64_u32 v[3:4], null, s18, v0, s[6:7]
	s_mul_hi_i32 s3, s22, s10
	s_mul_i32 s2, s22, s10
	s_mul_i32 s4, s26, s7
	s_lshl_b64 s[2:3], s[2:3], 2
	s_ashr_i32 s5, s4, 31
	v_cmp_eq_u32_e32 vcc_lo, 1, v0
	v_ashrrev_i32_e32 v4, 31, v3
	v_cndmask_b32_e32 v2, v2, v6, vcc_lo
	v_lshlrev_b64 v[3:4], 2, v[3:4]
	s_waitcnt lgkmcnt(0)
	s_add_u32 s2, s0, s2
	s_addc_u32 s3, s1, s3
	s_lshl_b64 s[0:1], s[4:5], 2
	s_add_u32 s0, s2, s0
	s_addc_u32 s1, s3, s1
	v_add_co_u32 v0, vcc_lo, s0, v3
	v_add_co_ci_u32_e64 v1, null, s1, v4, vcc_lo
	global_store_dword v[0:1], v2, off
.LBB214_18:
	s_endpgm
	.section	.rodata,"a",@progbits
	.p2align	6, 0x0
	.amdhsa_kernel _ZL13mul_mat_vec_fI6__halffLi2ELi224ELb0ELb0EEvPKT_PKfPKi31ggml_cuda_mm_fusion_args_devicePfi15HIP_vector_typeIjLj3EEiiiSB_iiiSB_iiii
		.amdhsa_group_segment_fixed_size 0
		.amdhsa_private_segment_fixed_size 0
		.amdhsa_kernarg_size 144
		.amdhsa_user_sgpr_count 6
		.amdhsa_user_sgpr_private_segment_buffer 1
		.amdhsa_user_sgpr_dispatch_ptr 0
		.amdhsa_user_sgpr_queue_ptr 0
		.amdhsa_user_sgpr_kernarg_segment_ptr 1
		.amdhsa_user_sgpr_dispatch_id 0
		.amdhsa_user_sgpr_flat_scratch_init 0
		.amdhsa_user_sgpr_private_segment_size 0
		.amdhsa_wavefront_size32 1
		.amdhsa_uses_dynamic_stack 0
		.amdhsa_system_sgpr_private_segment_wavefront_offset 0
		.amdhsa_system_sgpr_workgroup_id_x 1
		.amdhsa_system_sgpr_workgroup_id_y 1
		.amdhsa_system_sgpr_workgroup_id_z 1
		.amdhsa_system_sgpr_workgroup_info 0
		.amdhsa_system_vgpr_workitem_id 0
		.amdhsa_next_free_vgpr 14
		.amdhsa_next_free_sgpr 32
		.amdhsa_reserve_vcc 1
		.amdhsa_reserve_flat_scratch 0
		.amdhsa_float_round_mode_32 0
		.amdhsa_float_round_mode_16_64 0
		.amdhsa_float_denorm_mode_32 3
		.amdhsa_float_denorm_mode_16_64 3
		.amdhsa_dx10_clamp 1
		.amdhsa_ieee_mode 1
		.amdhsa_fp16_overflow 0
		.amdhsa_workgroup_processor_mode 1
		.amdhsa_memory_ordered 1
		.amdhsa_forward_progress 1
		.amdhsa_shared_vgpr_count 0
		.amdhsa_exception_fp_ieee_invalid_op 0
		.amdhsa_exception_fp_denorm_src 0
		.amdhsa_exception_fp_ieee_div_zero 0
		.amdhsa_exception_fp_ieee_overflow 0
		.amdhsa_exception_fp_ieee_underflow 0
		.amdhsa_exception_fp_ieee_inexact 0
		.amdhsa_exception_int_div_zero 0
	.end_amdhsa_kernel
	.section	.text._ZL13mul_mat_vec_fI6__halffLi2ELi224ELb0ELb0EEvPKT_PKfPKi31ggml_cuda_mm_fusion_args_devicePfi15HIP_vector_typeIjLj3EEiiiSB_iiiSB_iiii,"axG",@progbits,_ZL13mul_mat_vec_fI6__halffLi2ELi224ELb0ELb0EEvPKT_PKfPKi31ggml_cuda_mm_fusion_args_devicePfi15HIP_vector_typeIjLj3EEiiiSB_iiiSB_iiii,comdat
.Lfunc_end214:
	.size	_ZL13mul_mat_vec_fI6__halffLi2ELi224ELb0ELb0EEvPKT_PKfPKi31ggml_cuda_mm_fusion_args_devicePfi15HIP_vector_typeIjLj3EEiiiSB_iiiSB_iiii, .Lfunc_end214-_ZL13mul_mat_vec_fI6__halffLi2ELi224ELb0ELb0EEvPKT_PKfPKi31ggml_cuda_mm_fusion_args_devicePfi15HIP_vector_typeIjLj3EEiiiSB_iiiSB_iiii
                                        ; -- End function
	.set _ZL13mul_mat_vec_fI6__halffLi2ELi224ELb0ELb0EEvPKT_PKfPKi31ggml_cuda_mm_fusion_args_devicePfi15HIP_vector_typeIjLj3EEiiiSB_iiiSB_iiii.num_vgpr, 14
	.set _ZL13mul_mat_vec_fI6__halffLi2ELi224ELb0ELb0EEvPKT_PKfPKi31ggml_cuda_mm_fusion_args_devicePfi15HIP_vector_typeIjLj3EEiiiSB_iiiSB_iiii.num_agpr, 0
	.set _ZL13mul_mat_vec_fI6__halffLi2ELi224ELb0ELb0EEvPKT_PKfPKi31ggml_cuda_mm_fusion_args_devicePfi15HIP_vector_typeIjLj3EEiiiSB_iiiSB_iiii.numbered_sgpr, 32
	.set _ZL13mul_mat_vec_fI6__halffLi2ELi224ELb0ELb0EEvPKT_PKfPKi31ggml_cuda_mm_fusion_args_devicePfi15HIP_vector_typeIjLj3EEiiiSB_iiiSB_iiii.num_named_barrier, 0
	.set _ZL13mul_mat_vec_fI6__halffLi2ELi224ELb0ELb0EEvPKT_PKfPKi31ggml_cuda_mm_fusion_args_devicePfi15HIP_vector_typeIjLj3EEiiiSB_iiiSB_iiii.private_seg_size, 0
	.set _ZL13mul_mat_vec_fI6__halffLi2ELi224ELb0ELb0EEvPKT_PKfPKi31ggml_cuda_mm_fusion_args_devicePfi15HIP_vector_typeIjLj3EEiiiSB_iiiSB_iiii.uses_vcc, 1
	.set _ZL13mul_mat_vec_fI6__halffLi2ELi224ELb0ELb0EEvPKT_PKfPKi31ggml_cuda_mm_fusion_args_devicePfi15HIP_vector_typeIjLj3EEiiiSB_iiiSB_iiii.uses_flat_scratch, 0
	.set _ZL13mul_mat_vec_fI6__halffLi2ELi224ELb0ELb0EEvPKT_PKfPKi31ggml_cuda_mm_fusion_args_devicePfi15HIP_vector_typeIjLj3EEiiiSB_iiiSB_iiii.has_dyn_sized_stack, 0
	.set _ZL13mul_mat_vec_fI6__halffLi2ELi224ELb0ELb0EEvPKT_PKfPKi31ggml_cuda_mm_fusion_args_devicePfi15HIP_vector_typeIjLj3EEiiiSB_iiiSB_iiii.has_recursion, 0
	.set _ZL13mul_mat_vec_fI6__halffLi2ELi224ELb0ELb0EEvPKT_PKfPKi31ggml_cuda_mm_fusion_args_devicePfi15HIP_vector_typeIjLj3EEiiiSB_iiiSB_iiii.has_indirect_call, 0
	.section	.AMDGPU.csdata,"",@progbits
; Kernel info:
; codeLenInByte = 1380
; TotalNumSgprs: 34
; NumVgprs: 14
; ScratchSize: 0
; MemoryBound: 0
; FloatMode: 240
; IeeeMode: 1
; LDSByteSize: 0 bytes/workgroup (compile time only)
; SGPRBlocks: 0
; VGPRBlocks: 1
; NumSGPRsForWavesPerEU: 34
; NumVGPRsForWavesPerEU: 14
; Occupancy: 16
; WaveLimiterHint : 0
; COMPUTE_PGM_RSRC2:SCRATCH_EN: 0
; COMPUTE_PGM_RSRC2:USER_SGPR: 6
; COMPUTE_PGM_RSRC2:TRAP_HANDLER: 0
; COMPUTE_PGM_RSRC2:TGID_X_EN: 1
; COMPUTE_PGM_RSRC2:TGID_Y_EN: 1
; COMPUTE_PGM_RSRC2:TGID_Z_EN: 1
; COMPUTE_PGM_RSRC2:TIDIG_COMP_CNT: 0
	.section	.text._ZL13mul_mat_vec_fI6__halffLi2ELi256ELb0ELb0EEvPKT_PKfPKi31ggml_cuda_mm_fusion_args_devicePfi15HIP_vector_typeIjLj3EEiiiSB_iiiSB_iiii,"axG",@progbits,_ZL13mul_mat_vec_fI6__halffLi2ELi256ELb0ELb0EEvPKT_PKfPKi31ggml_cuda_mm_fusion_args_devicePfi15HIP_vector_typeIjLj3EEiiiSB_iiiSB_iiii,comdat
	.globl	_ZL13mul_mat_vec_fI6__halffLi2ELi256ELb0ELb0EEvPKT_PKfPKi31ggml_cuda_mm_fusion_args_devicePfi15HIP_vector_typeIjLj3EEiiiSB_iiiSB_iiii ; -- Begin function _ZL13mul_mat_vec_fI6__halffLi2ELi256ELb0ELb0EEvPKT_PKfPKi31ggml_cuda_mm_fusion_args_devicePfi15HIP_vector_typeIjLj3EEiiiSB_iiiSB_iiii
	.p2align	8
	.type	_ZL13mul_mat_vec_fI6__halffLi2ELi256ELb0ELb0EEvPKT_PKfPKi31ggml_cuda_mm_fusion_args_devicePfi15HIP_vector_typeIjLj3EEiiiSB_iiiSB_iiii,@function
_ZL13mul_mat_vec_fI6__halffLi2ELi256ELb0ELb0EEvPKT_PKfPKi31ggml_cuda_mm_fusion_args_devicePfi15HIP_vector_typeIjLj3EEiiiSB_iiiSB_iiii: ; @_ZL13mul_mat_vec_fI6__halffLi2ELi256ELb0ELb0EEvPKT_PKfPKi31ggml_cuda_mm_fusion_args_devicePfi15HIP_vector_typeIjLj3EEiiiSB_iiiSB_iiii
; %bb.0:
	s_clause 0x2
	s_load_dwordx2 s[0:1], s[4:5], 0x10
	s_load_dwordx8 s[12:19], s[4:5], 0x40
	s_load_dwordx4 s[20:23], s[4:5], 0x80
	s_waitcnt lgkmcnt(0)
	s_cmp_eq_u64 s[0:1], 0
	s_cselect_b32 s10, -1, 0
	s_cmp_lg_u64 s[0:1], 0
	s_cselect_b32 s9, -1, 0
	s_and_b32 vcc_lo, exec_lo, s10
	s_cbranch_vccnz .LBB215_2
; %bb.1:
	s_mul_i32 s2, s23, s8
	s_mov_b32 s3, 0
	s_add_i32 s2, s2, s7
	s_lshl_b64 s[24:25], s[2:3], 2
	s_add_u32 s0, s0, s24
	s_addc_u32 s1, s1, s25
	s_load_dword s19, s[0:1], 0x0
	s_cbranch_execz .LBB215_3
	s_branch .LBB215_4
.LBB215_2:
                                        ; implicit-def: $sgpr19
.LBB215_3:
	s_load_dwordx2 s[0:1], s[4:5], 0x5c
	s_waitcnt lgkmcnt(0)
	s_mul_hi_u32 s0, s0, s7
	s_add_i32 s0, s7, s0
	s_lshr_b32 s19, s0, s1
.LBB215_4:
	s_load_dwordx4 s[24:27], s[4:5], 0x68
	s_andn2_b32 vcc_lo, exec_lo, s9
	s_mov_b32 s23, s7
	s_cbranch_vccnz .LBB215_6
; %bb.5:
	s_mul_hi_u32 s0, s13, s7
	s_add_i32 s0, s7, s0
	s_lshr_b32 s0, s0, s14
	s_mul_i32 s0, s0, s15
	s_sub_i32 s23, s7, s0
.LBB215_6:
	s_load_dword s9, s[4:5], 0x78
	v_cmp_gt_u32_e32 vcc_lo, 32, v0
	v_lshl_add_u32 v5, v0, 2, 0
	s_and_saveexec_b32 s0, vcc_lo
; %bb.7:
	v_mov_b32_e32 v1, 0
	ds_write_b32 v5, v1
; %bb.8:
	s_or_b32 exec_lo, exec_lo, s0
	v_mov_b32_e32 v6, 0
	v_mov_b32_e32 v7, 0
	s_and_b32 s0, exec_lo, s10
	s_mov_b32 s11, 0
	s_cselect_b32 s10, s8, 0
	s_mov_b32 s13, exec_lo
	s_waitcnt lgkmcnt(0)
	s_barrier
	buffer_gl0_inv
	v_cmpx_gt_i32_e64 s12, v0
	s_cbranch_execz .LBB215_12
; %bb.9:
	s_load_dwordx4 s[0:3], s[4:5], 0x0
	s_mul_hi_u32 s8, s27, s10
	s_mul_i32 s16, s16, s6
	s_add_i32 s8, s10, s8
	s_mul_i32 s14, s19, s24
	s_ashr_i32 s29, s17, 31
	s_mov_b32 s28, s17
	s_ashr_i32 s17, s16, 31
	s_lshr_b32 s19, s8, s9
	s_ashr_i32 s15, s14, 31
	s_mul_i32 s24, s23, s25
	s_lshl_b64 s[8:9], s[16:17], 1
	s_mul_hi_i32 s17, s19, s20
	s_mul_i32 s16, s19, s20
	s_lshl_b64 s[14:15], s[14:15], 1
	s_ashr_i32 s25, s24, 31
	s_lshl_b64 s[16:17], s[16:17], 1
	s_mul_hi_i32 s31, s10, s21
	s_mul_i32 s30, s10, s21
	v_lshlrev_b32_e32 v2, 3, v0
	s_waitcnt lgkmcnt(0)
	s_add_u32 s0, s0, s14
	s_addc_u32 s1, s1, s15
	s_add_u32 s0, s0, s8
	s_addc_u32 s1, s1, s9
	;; [unrolled: 2-line block ×3, first 2 shown]
	s_lshl_b64 s[14:15], s[24:25], 2
	s_lshl_b64 s[8:9], s[28:29], 3
	;; [unrolled: 1-line block ×3, first 2 shown]
	s_add_u32 s2, s2, s14
	s_addc_u32 s3, s3, s15
	v_lshlrev_b32_e32 v1, 2, v0
	s_add_u32 s0, s2, s0
	s_addc_u32 s1, s3, s1
	v_add_co_u32 v3, s0, s0, v2
	v_add_co_ci_u32_e64 v4, null, s1, 0, s0
	v_add_co_u32 v1, s0, s16, v1
	v_add_co_ci_u32_e64 v2, null, s17, 0, s0
	v_add_co_u32 v3, s0, v3, 4
	v_mov_b32_e32 v7, 0
	v_add_co_ci_u32_e64 v4, null, 0, v4, s0
	v_mov_b32_e32 v8, v0
	v_mov_b32_e32 v6, 0
	s_inst_prefetch 0x1
	.p2align	6
.LBB215_10:                             ; =>This Inner Loop Header: Depth=1
	v_add_co_u32 v9, s0, v3, s8
	v_add_co_ci_u32_e64 v10, null, s9, v4, s0
	v_add_nc_u32_e32 v8, 0x100, v8
	global_load_dword v13, v[1:2], off
	s_clause 0x1
	global_load_dwordx2 v[11:12], v[3:4], off offset:-4
	global_load_dwordx2 v[9:10], v[9:10], off offset:-4
	v_add_co_u32 v1, s0, 0x400, v1
	v_add_co_ci_u32_e64 v2, null, 0, v2, s0
	v_cmp_le_i32_e64 s0, s12, v8
	v_add_co_u32 v3, s1, 0x800, v3
	v_add_co_ci_u32_e64 v4, null, 0, v4, s1
	s_or_b32 s11, s0, s11
	s_waitcnt vmcnt(1)
	v_fma_mix_f32 v7, v11, v13, v7 op_sel_hi:[0,1,0]
	s_waitcnt vmcnt(0)
	v_fma_mix_f32 v6, v9, v13, v6 op_sel_hi:[0,1,0]
	v_fma_mix_f32 v7, v12, v13, v7 op_sel:[0,1,0] op_sel_hi:[0,1,0]
	v_fma_mix_f32 v6, v10, v13, v6 op_sel:[0,1,0] op_sel_hi:[0,1,0]
	s_andn2_b32 exec_lo, exec_lo, s11
	s_cbranch_execnz .LBB215_10
; %bb.11:
	s_inst_prefetch 0x2
	s_or_b32 exec_lo, exec_lo, s11
.LBB215_12:
	s_or_b32 exec_lo, exec_lo, s13
	v_mbcnt_lo_u32_b32 v2, -1, 0
	v_xor_b32_e32 v1, 16, v2
	v_xor_b32_e32 v3, 8, v2
	v_cmp_gt_i32_e64 s0, 32, v1
	v_cndmask_b32_e64 v1, v2, v1, s0
	v_cmp_gt_i32_e64 s0, 32, v3
	v_lshlrev_b32_e32 v1, 2, v1
	v_cndmask_b32_e64 v3, v2, v3, s0
	ds_bpermute_b32 v4, v1, v7
	v_lshlrev_b32_e32 v3, 2, v3
	s_waitcnt lgkmcnt(0)
	v_add_f32_e32 v7, v7, v4
	v_xor_b32_e32 v4, 4, v2
	ds_bpermute_b32 v8, v3, v7
	v_cmp_gt_i32_e64 s0, 32, v4
	v_cndmask_b32_e64 v4, v2, v4, s0
	v_lshlrev_b32_e32 v4, 2, v4
	s_waitcnt lgkmcnt(0)
	v_add_f32_e32 v8, v7, v8
	v_xor_b32_e32 v7, 2, v2
	ds_bpermute_b32 v9, v4, v8
	v_cmp_gt_i32_e64 s0, 32, v7
	v_cndmask_b32_e64 v7, v2, v7, s0
	;; [unrolled: 7-line block ×3, first 2 shown]
	v_lshlrev_b32_e32 v8, 2, v2
	s_waitcnt lgkmcnt(0)
	v_add_f32_e32 v2, v9, v10
	v_lshrrev_b32_e32 v9, 3, v0
	ds_bpermute_b32 v10, v8, v2
	v_and_b32_e32 v9, 0x7c, v9
	v_add_nc_u32_e32 v9, 0, v9
	s_waitcnt lgkmcnt(0)
	v_add_f32_e32 v2, v2, v10
	ds_write_b32 v9, v2
	s_waitcnt lgkmcnt(0)
	s_barrier
	buffer_gl0_inv
	s_and_saveexec_b32 s0, vcc_lo
	s_cbranch_execz .LBB215_14
; %bb.13:
	ds_read_b32 v2, v5
	s_waitcnt lgkmcnt(0)
	ds_bpermute_b32 v10, v1, v2
	s_waitcnt lgkmcnt(0)
	v_add_f32_e32 v2, v2, v10
	ds_bpermute_b32 v10, v3, v2
	s_waitcnt lgkmcnt(0)
	v_add_f32_e32 v2, v2, v10
	;; [unrolled: 3-line block ×5, first 2 shown]
.LBB215_14:
	s_or_b32 exec_lo, exec_lo, s0
	ds_bpermute_b32 v10, v1, v6
	s_waitcnt lgkmcnt(0)
	s_barrier
	buffer_gl0_inv
	v_add_f32_e32 v6, v6, v10
	ds_bpermute_b32 v10, v3, v6
	s_waitcnt lgkmcnt(0)
	v_add_f32_e32 v6, v6, v10
	ds_bpermute_b32 v10, v4, v6
	s_waitcnt lgkmcnt(0)
	;; [unrolled: 3-line block ×4, first 2 shown]
	v_add_f32_e32 v6, v6, v10
	ds_write_b32 v9, v6
	s_waitcnt lgkmcnt(0)
	s_barrier
	buffer_gl0_inv
	s_and_saveexec_b32 s0, vcc_lo
	s_cbranch_execz .LBB215_16
; %bb.15:
	ds_read_b32 v5, v5
	s_waitcnt lgkmcnt(0)
	ds_bpermute_b32 v1, v1, v5
	s_waitcnt lgkmcnt(0)
	v_add_f32_e32 v1, v5, v1
	ds_bpermute_b32 v3, v3, v1
	s_waitcnt lgkmcnt(0)
	v_add_f32_e32 v1, v1, v3
	;; [unrolled: 3-line block ×5, first 2 shown]
.LBB215_16:
	s_or_b32 exec_lo, exec_lo, s0
	s_barrier
	buffer_gl0_inv
	s_mov_b32 s0, exec_lo
	v_cmpx_gt_u32_e32 2, v0
	s_cbranch_execz .LBB215_18
; %bb.17:
	s_load_dwordx2 s[0:1], s[4:5], 0x38
	v_mad_u64_u32 v[3:4], null, s18, v0, s[6:7]
	s_mul_hi_i32 s3, s22, s10
	s_mul_i32 s2, s22, s10
	s_mul_i32 s4, s26, s7
	s_lshl_b64 s[2:3], s[2:3], 2
	s_ashr_i32 s5, s4, 31
	v_cmp_eq_u32_e32 vcc_lo, 1, v0
	v_ashrrev_i32_e32 v4, 31, v3
	v_cndmask_b32_e32 v2, v2, v6, vcc_lo
	v_lshlrev_b64 v[3:4], 2, v[3:4]
	s_waitcnt lgkmcnt(0)
	s_add_u32 s2, s0, s2
	s_addc_u32 s3, s1, s3
	s_lshl_b64 s[0:1], s[4:5], 2
	s_add_u32 s0, s2, s0
	s_addc_u32 s1, s3, s1
	v_add_co_u32 v0, vcc_lo, s0, v3
	v_add_co_ci_u32_e64 v1, null, s1, v4, vcc_lo
	global_store_dword v[0:1], v2, off
.LBB215_18:
	s_endpgm
	.section	.rodata,"a",@progbits
	.p2align	6, 0x0
	.amdhsa_kernel _ZL13mul_mat_vec_fI6__halffLi2ELi256ELb0ELb0EEvPKT_PKfPKi31ggml_cuda_mm_fusion_args_devicePfi15HIP_vector_typeIjLj3EEiiiSB_iiiSB_iiii
		.amdhsa_group_segment_fixed_size 0
		.amdhsa_private_segment_fixed_size 0
		.amdhsa_kernarg_size 144
		.amdhsa_user_sgpr_count 6
		.amdhsa_user_sgpr_private_segment_buffer 1
		.amdhsa_user_sgpr_dispatch_ptr 0
		.amdhsa_user_sgpr_queue_ptr 0
		.amdhsa_user_sgpr_kernarg_segment_ptr 1
		.amdhsa_user_sgpr_dispatch_id 0
		.amdhsa_user_sgpr_flat_scratch_init 0
		.amdhsa_user_sgpr_private_segment_size 0
		.amdhsa_wavefront_size32 1
		.amdhsa_uses_dynamic_stack 0
		.amdhsa_system_sgpr_private_segment_wavefront_offset 0
		.amdhsa_system_sgpr_workgroup_id_x 1
		.amdhsa_system_sgpr_workgroup_id_y 1
		.amdhsa_system_sgpr_workgroup_id_z 1
		.amdhsa_system_sgpr_workgroup_info 0
		.amdhsa_system_vgpr_workitem_id 0
		.amdhsa_next_free_vgpr 14
		.amdhsa_next_free_sgpr 32
		.amdhsa_reserve_vcc 1
		.amdhsa_reserve_flat_scratch 0
		.amdhsa_float_round_mode_32 0
		.amdhsa_float_round_mode_16_64 0
		.amdhsa_float_denorm_mode_32 3
		.amdhsa_float_denorm_mode_16_64 3
		.amdhsa_dx10_clamp 1
		.amdhsa_ieee_mode 1
		.amdhsa_fp16_overflow 0
		.amdhsa_workgroup_processor_mode 1
		.amdhsa_memory_ordered 1
		.amdhsa_forward_progress 1
		.amdhsa_shared_vgpr_count 0
		.amdhsa_exception_fp_ieee_invalid_op 0
		.amdhsa_exception_fp_denorm_src 0
		.amdhsa_exception_fp_ieee_div_zero 0
		.amdhsa_exception_fp_ieee_overflow 0
		.amdhsa_exception_fp_ieee_underflow 0
		.amdhsa_exception_fp_ieee_inexact 0
		.amdhsa_exception_int_div_zero 0
	.end_amdhsa_kernel
	.section	.text._ZL13mul_mat_vec_fI6__halffLi2ELi256ELb0ELb0EEvPKT_PKfPKi31ggml_cuda_mm_fusion_args_devicePfi15HIP_vector_typeIjLj3EEiiiSB_iiiSB_iiii,"axG",@progbits,_ZL13mul_mat_vec_fI6__halffLi2ELi256ELb0ELb0EEvPKT_PKfPKi31ggml_cuda_mm_fusion_args_devicePfi15HIP_vector_typeIjLj3EEiiiSB_iiiSB_iiii,comdat
.Lfunc_end215:
	.size	_ZL13mul_mat_vec_fI6__halffLi2ELi256ELb0ELb0EEvPKT_PKfPKi31ggml_cuda_mm_fusion_args_devicePfi15HIP_vector_typeIjLj3EEiiiSB_iiiSB_iiii, .Lfunc_end215-_ZL13mul_mat_vec_fI6__halffLi2ELi256ELb0ELb0EEvPKT_PKfPKi31ggml_cuda_mm_fusion_args_devicePfi15HIP_vector_typeIjLj3EEiiiSB_iiiSB_iiii
                                        ; -- End function
	.set _ZL13mul_mat_vec_fI6__halffLi2ELi256ELb0ELb0EEvPKT_PKfPKi31ggml_cuda_mm_fusion_args_devicePfi15HIP_vector_typeIjLj3EEiiiSB_iiiSB_iiii.num_vgpr, 14
	.set _ZL13mul_mat_vec_fI6__halffLi2ELi256ELb0ELb0EEvPKT_PKfPKi31ggml_cuda_mm_fusion_args_devicePfi15HIP_vector_typeIjLj3EEiiiSB_iiiSB_iiii.num_agpr, 0
	.set _ZL13mul_mat_vec_fI6__halffLi2ELi256ELb0ELb0EEvPKT_PKfPKi31ggml_cuda_mm_fusion_args_devicePfi15HIP_vector_typeIjLj3EEiiiSB_iiiSB_iiii.numbered_sgpr, 32
	.set _ZL13mul_mat_vec_fI6__halffLi2ELi256ELb0ELb0EEvPKT_PKfPKi31ggml_cuda_mm_fusion_args_devicePfi15HIP_vector_typeIjLj3EEiiiSB_iiiSB_iiii.num_named_barrier, 0
	.set _ZL13mul_mat_vec_fI6__halffLi2ELi256ELb0ELb0EEvPKT_PKfPKi31ggml_cuda_mm_fusion_args_devicePfi15HIP_vector_typeIjLj3EEiiiSB_iiiSB_iiii.private_seg_size, 0
	.set _ZL13mul_mat_vec_fI6__halffLi2ELi256ELb0ELb0EEvPKT_PKfPKi31ggml_cuda_mm_fusion_args_devicePfi15HIP_vector_typeIjLj3EEiiiSB_iiiSB_iiii.uses_vcc, 1
	.set _ZL13mul_mat_vec_fI6__halffLi2ELi256ELb0ELb0EEvPKT_PKfPKi31ggml_cuda_mm_fusion_args_devicePfi15HIP_vector_typeIjLj3EEiiiSB_iiiSB_iiii.uses_flat_scratch, 0
	.set _ZL13mul_mat_vec_fI6__halffLi2ELi256ELb0ELb0EEvPKT_PKfPKi31ggml_cuda_mm_fusion_args_devicePfi15HIP_vector_typeIjLj3EEiiiSB_iiiSB_iiii.has_dyn_sized_stack, 0
	.set _ZL13mul_mat_vec_fI6__halffLi2ELi256ELb0ELb0EEvPKT_PKfPKi31ggml_cuda_mm_fusion_args_devicePfi15HIP_vector_typeIjLj3EEiiiSB_iiiSB_iiii.has_recursion, 0
	.set _ZL13mul_mat_vec_fI6__halffLi2ELi256ELb0ELb0EEvPKT_PKfPKi31ggml_cuda_mm_fusion_args_devicePfi15HIP_vector_typeIjLj3EEiiiSB_iiiSB_iiii.has_indirect_call, 0
	.section	.AMDGPU.csdata,"",@progbits
; Kernel info:
; codeLenInByte = 1380
; TotalNumSgprs: 34
; NumVgprs: 14
; ScratchSize: 0
; MemoryBound: 0
; FloatMode: 240
; IeeeMode: 1
; LDSByteSize: 0 bytes/workgroup (compile time only)
; SGPRBlocks: 0
; VGPRBlocks: 1
; NumSGPRsForWavesPerEU: 34
; NumVGPRsForWavesPerEU: 14
; Occupancy: 16
; WaveLimiterHint : 0
; COMPUTE_PGM_RSRC2:SCRATCH_EN: 0
; COMPUTE_PGM_RSRC2:USER_SGPR: 6
; COMPUTE_PGM_RSRC2:TRAP_HANDLER: 0
; COMPUTE_PGM_RSRC2:TGID_X_EN: 1
; COMPUTE_PGM_RSRC2:TGID_Y_EN: 1
; COMPUTE_PGM_RSRC2:TGID_Z_EN: 1
; COMPUTE_PGM_RSRC2:TIDIG_COMP_CNT: 0
	.section	.text._ZL13mul_mat_vec_fI6__halffLi3ELi32ELb0ELb0EEvPKT_PKfPKi31ggml_cuda_mm_fusion_args_devicePfi15HIP_vector_typeIjLj3EEiiiSB_iiiSB_iiii,"axG",@progbits,_ZL13mul_mat_vec_fI6__halffLi3ELi32ELb0ELb0EEvPKT_PKfPKi31ggml_cuda_mm_fusion_args_devicePfi15HIP_vector_typeIjLj3EEiiiSB_iiiSB_iiii,comdat
	.globl	_ZL13mul_mat_vec_fI6__halffLi3ELi32ELb0ELb0EEvPKT_PKfPKi31ggml_cuda_mm_fusion_args_devicePfi15HIP_vector_typeIjLj3EEiiiSB_iiiSB_iiii ; -- Begin function _ZL13mul_mat_vec_fI6__halffLi3ELi32ELb0ELb0EEvPKT_PKfPKi31ggml_cuda_mm_fusion_args_devicePfi15HIP_vector_typeIjLj3EEiiiSB_iiiSB_iiii
	.p2align	8
	.type	_ZL13mul_mat_vec_fI6__halffLi3ELi32ELb0ELb0EEvPKT_PKfPKi31ggml_cuda_mm_fusion_args_devicePfi15HIP_vector_typeIjLj3EEiiiSB_iiiSB_iiii,@function
_ZL13mul_mat_vec_fI6__halffLi3ELi32ELb0ELb0EEvPKT_PKfPKi31ggml_cuda_mm_fusion_args_devicePfi15HIP_vector_typeIjLj3EEiiiSB_iiiSB_iiii: ; @_ZL13mul_mat_vec_fI6__halffLi3ELi32ELb0ELb0EEvPKT_PKfPKi31ggml_cuda_mm_fusion_args_devicePfi15HIP_vector_typeIjLj3EEiiiSB_iiiSB_iiii
; %bb.0:
	s_clause 0x2
	s_load_dwordx2 s[20:21], s[4:5], 0x10
	s_load_dwordx8 s[12:19], s[4:5], 0x40
	s_load_dwordx4 s[0:3], s[4:5], 0x80
	s_waitcnt lgkmcnt(0)
	s_cmp_eq_u64 s[20:21], 0
	s_cselect_b32 s9, -1, 0
	s_cmp_lg_u64 s[20:21], 0
	s_cselect_b32 s25, -1, 0
	s_and_b32 vcc_lo, exec_lo, s9
	s_cbranch_vccnz .LBB216_2
; %bb.1:
	s_mul_i32 s3, s3, s8
	s_mov_b32 s11, 0
	s_add_i32 s10, s3, s7
	s_lshl_b64 s[22:23], s[10:11], 2
	s_add_u32 s20, s20, s22
	s_addc_u32 s21, s21, s23
	s_load_dword s24, s[20:21], 0x0
	s_load_dwordx4 s[20:23], s[4:5], 0x68
	s_cbranch_execz .LBB216_3
	s_branch .LBB216_4
.LBB216_2:
                                        ; implicit-def: $sgpr24
	s_load_dwordx4 s[20:23], s[4:5], 0x68
.LBB216_3:
	s_load_dwordx2 s[10:11], s[4:5], 0x5c
	s_waitcnt lgkmcnt(0)
	s_mul_hi_u32 s3, s10, s7
	s_add_i32 s3, s7, s3
	s_lshr_b32 s24, s3, s11
.LBB216_4:
	s_load_dword s19, s[4:5], 0x78
	s_andn2_b32 vcc_lo, exec_lo, s25
	s_mov_b32 s25, s7
	s_cbranch_vccnz .LBB216_6
; %bb.5:
	s_mul_hi_u32 s3, s13, s7
	s_add_i32 s3, s7, s3
	s_lshr_b32 s3, s3, s14
	s_mul_i32 s3, s3, s15
	s_sub_i32 s25, s7, s3
.LBB216_6:
	v_mov_b32_e32 v6, 0
	v_mov_b32_e32 v7, 0
	;; [unrolled: 1-line block ×3, first 2 shown]
	s_and_b32 s3, exec_lo, s9
	s_mov_b32 s14, 0
	s_cselect_b32 s3, s8, 0
	s_mov_b32 s13, exec_lo
	v_cmpx_gt_i32_e64 s12, v0
	s_cbranch_execz .LBB216_10
; %bb.7:
	s_load_dwordx4 s[8:11], s[4:5], 0x0
	s_waitcnt lgkmcnt(0)
	s_mul_hi_u32 s15, s23, s3
	s_mul_hi_i32 s27, s1, s3
	s_mul_i32 s26, s1, s3
	s_mul_i32 s20, s24, s20
	;; [unrolled: 1-line block ×4, first 2 shown]
	s_add_i32 s1, s3, s15
	s_lshl_b64 s[26:27], s[26:27], 2
	s_ashr_i32 s21, s20, 31
	s_ashr_i32 s25, s24, 31
	;; [unrolled: 1-line block ×3, first 2 shown]
	s_lshr_b32 s15, s1, s19
	s_mov_b32 s30, s17
	s_mul_hi_i32 s1, s15, s0
	s_mul_i32 s0, s15, s0
	v_lshlrev_b32_e32 v2, 3, v0
	v_lshlrev_b32_e32 v1, 2, v0
	v_mov_b32_e32 v5, 0
	v_mov_b32_e32 v8, v0
	s_add_u32 s16, s10, s26
	s_addc_u32 s19, s11, s27
	s_lshl_b64 s[28:29], s[28:29], 2
	v_mov_b32_e32 v7, 0
	s_add_u32 s15, s16, s28
	s_addc_u32 s16, s19, s29
	s_lshl_b64 s[20:21], s[20:21], 1
	s_ashr_i32 s31, s17, 31
	s_add_i32 s17, s17, s17
	s_lshl_b64 s[0:1], s[0:1], 1
	s_lshl_b64 s[24:25], s[24:25], 1
	s_add_u32 s8, s8, s20
	s_addc_u32 s9, s9, s21
	s_add_u32 s8, s8, s24
	s_addc_u32 s9, s9, s25
	;; [unrolled: 2-line block ×3, first 2 shown]
	s_lshl_b64 s[0:1], s[30:31], 3
	s_add_u32 s10, s10, s28
	s_addc_u32 s11, s11, s29
	s_add_u32 s10, s10, s26
	s_addc_u32 s11, s11, s27
	v_add_co_u32 v3, s10, s10, v2
	v_add_co_ci_u32_e64 v4, null, s11, 0, s10
	v_add_co_u32 v1, s8, s8, v1
	v_add_co_u32 v3, vcc_lo, v3, 4
	v_add_co_ci_u32_e64 v2, null, s9, 0, s8
	v_add_co_ci_u32_e64 v4, null, 0, v4, vcc_lo
	v_mov_b32_e32 v6, 0
	s_inst_prefetch 0x1
	.p2align	6
.LBB216_8:                              ; =>This Inner Loop Header: Depth=1
	v_add_nc_u32_e32 v9, s17, v8
	v_add_co_u32 v11, vcc_lo, v3, s0
	v_add_co_ci_u32_e64 v12, null, s1, v4, vcc_lo
	v_ashrrev_i32_e32 v10, 31, v9
	v_add_nc_u32_e32 v8, 32, v8
	v_lshlrev_b64 v[9:10], 3, v[9:10]
	v_add_co_u32 v9, vcc_lo, s15, v9
	v_add_co_ci_u32_e64 v10, null, s16, v10, vcc_lo
	global_load_dword v15, v[1:2], off
	s_clause 0x1
	global_load_dwordx2 v[13:14], v[3:4], off offset:-4
	global_load_dwordx2 v[11:12], v[11:12], off offset:-4
	global_load_dwordx2 v[9:10], v[9:10], off
	v_add_co_u32 v1, vcc_lo, 0x80, v1
	v_add_co_ci_u32_e64 v2, null, 0, v2, vcc_lo
	v_add_co_u32 v3, vcc_lo, 0x100, v3
	v_add_co_ci_u32_e64 v4, null, 0, v4, vcc_lo
	v_cmp_le_i32_e32 vcc_lo, s12, v8
	s_or_b32 s14, vcc_lo, s14
	s_waitcnt vmcnt(2)
	v_fma_mix_f32 v5, v13, v15, v5 op_sel_hi:[0,1,0]
	s_waitcnt vmcnt(1)
	v_fma_mix_f32 v7, v11, v15, v7 op_sel_hi:[0,1,0]
	;; [unrolled: 2-line block ×3, first 2 shown]
	v_fma_mix_f32 v5, v14, v15, v5 op_sel:[0,1,0] op_sel_hi:[0,1,0]
	v_fma_mix_f32 v7, v12, v15, v7 op_sel:[0,1,0] op_sel_hi:[0,1,0]
	;; [unrolled: 1-line block ×3, first 2 shown]
	s_andn2_b32 exec_lo, exec_lo, s14
	s_cbranch_execnz .LBB216_8
; %bb.9:
	s_inst_prefetch 0x2
	s_or_b32 exec_lo, exec_lo, s14
.LBB216_10:
	s_or_b32 exec_lo, exec_lo, s13
	v_mbcnt_lo_u32_b32 v1, -1, 0
	s_mov_b32 s0, exec_lo
	v_xor_b32_e32 v2, 16, v1
	v_xor_b32_e32 v8, 8, v1
	v_cmp_gt_i32_e32 vcc_lo, 32, v2
	v_cndmask_b32_e32 v2, v1, v2, vcc_lo
	v_cmp_gt_i32_e32 vcc_lo, 32, v8
	v_lshlrev_b32_e32 v2, 2, v2
	v_cndmask_b32_e32 v8, v1, v8, vcc_lo
	ds_bpermute_b32 v3, v2, v5
	ds_bpermute_b32 v4, v2, v7
	;; [unrolled: 1-line block ×3, first 2 shown]
	v_lshlrev_b32_e32 v8, 2, v8
	s_waitcnt lgkmcnt(0)
	v_add_f32_e32 v3, v5, v3
	v_add_f32_e32 v4, v7, v4
	;; [unrolled: 1-line block ×3, first 2 shown]
	ds_bpermute_b32 v5, v8, v3
	ds_bpermute_b32 v6, v8, v4
	ds_bpermute_b32 v7, v8, v2
	v_xor_b32_e32 v8, 4, v1
	v_cmp_gt_i32_e32 vcc_lo, 32, v8
	v_cndmask_b32_e32 v8, v1, v8, vcc_lo
	v_lshlrev_b32_e32 v8, 2, v8
	s_waitcnt lgkmcnt(2)
	v_add_f32_e32 v3, v3, v5
	s_waitcnt lgkmcnt(1)
	v_add_f32_e32 v4, v4, v6
	s_waitcnt lgkmcnt(0)
	v_add_f32_e32 v2, v2, v7
	ds_bpermute_b32 v5, v8, v3
	ds_bpermute_b32 v6, v8, v4
	ds_bpermute_b32 v7, v8, v2
	v_xor_b32_e32 v8, 2, v1
	v_cmp_gt_i32_e32 vcc_lo, 32, v8
	v_cndmask_b32_e32 v8, v1, v8, vcc_lo
	v_lshlrev_b32_e32 v8, 2, v8
	s_waitcnt lgkmcnt(2)
	v_add_f32_e32 v3, v3, v5
	s_waitcnt lgkmcnt(1)
	v_add_f32_e32 v4, v4, v6
	s_waitcnt lgkmcnt(0)
	v_add_f32_e32 v5, v2, v7
	;; [unrolled: 13-line block ×3, first 2 shown]
	ds_bpermute_b32 v4, v8, v1
	ds_bpermute_b32 v5, v8, v2
	;; [unrolled: 1-line block ×3, first 2 shown]
	v_cmpx_gt_u32_e32 3, v0
	s_cbranch_execz .LBB216_12
; %bb.11:
	s_load_dwordx2 s[0:1], s[4:5], 0x38
	v_mad_u64_u32 v[7:8], null, s18, v0, s[6:7]
	s_waitcnt lgkmcnt(0)
	v_add_f32_e32 v1, v1, v4
	v_add_f32_e32 v2, v2, v5
	v_cmp_eq_u32_e32 vcc_lo, 1, v0
	s_mul_hi_i32 s5, s2, s3
	s_mul_i32 s4, s2, s3
	s_mul_i32 s2, s22, s7
	v_ashrrev_i32_e32 v8, 31, v7
	s_lshl_b64 s[4:5], s[4:5], 2
	s_ashr_i32 s3, s2, 31
	v_cndmask_b32_e32 v4, v1, v2, vcc_lo
	v_add_f32_e32 v3, v3, v6
	v_lshlrev_b64 v[1:2], 2, v[7:8]
	v_cmp_eq_u32_e32 vcc_lo, 2, v0
	v_cndmask_b32_e32 v3, v4, v3, vcc_lo
	s_add_u32 s4, s0, s4
	s_addc_u32 s5, s1, s5
	s_lshl_b64 s[0:1], s[2:3], 2
	s_add_u32 s0, s4, s0
	s_addc_u32 s1, s5, s1
	v_add_co_u32 v0, vcc_lo, s0, v1
	v_add_co_ci_u32_e64 v1, null, s1, v2, vcc_lo
	global_store_dword v[0:1], v3, off
.LBB216_12:
	s_endpgm
	.section	.rodata,"a",@progbits
	.p2align	6, 0x0
	.amdhsa_kernel _ZL13mul_mat_vec_fI6__halffLi3ELi32ELb0ELb0EEvPKT_PKfPKi31ggml_cuda_mm_fusion_args_devicePfi15HIP_vector_typeIjLj3EEiiiSB_iiiSB_iiii
		.amdhsa_group_segment_fixed_size 0
		.amdhsa_private_segment_fixed_size 0
		.amdhsa_kernarg_size 144
		.amdhsa_user_sgpr_count 6
		.amdhsa_user_sgpr_private_segment_buffer 1
		.amdhsa_user_sgpr_dispatch_ptr 0
		.amdhsa_user_sgpr_queue_ptr 0
		.amdhsa_user_sgpr_kernarg_segment_ptr 1
		.amdhsa_user_sgpr_dispatch_id 0
		.amdhsa_user_sgpr_flat_scratch_init 0
		.amdhsa_user_sgpr_private_segment_size 0
		.amdhsa_wavefront_size32 1
		.amdhsa_uses_dynamic_stack 0
		.amdhsa_system_sgpr_private_segment_wavefront_offset 0
		.amdhsa_system_sgpr_workgroup_id_x 1
		.amdhsa_system_sgpr_workgroup_id_y 1
		.amdhsa_system_sgpr_workgroup_id_z 1
		.amdhsa_system_sgpr_workgroup_info 0
		.amdhsa_system_vgpr_workitem_id 0
		.amdhsa_next_free_vgpr 16
		.amdhsa_next_free_sgpr 32
		.amdhsa_reserve_vcc 1
		.amdhsa_reserve_flat_scratch 0
		.amdhsa_float_round_mode_32 0
		.amdhsa_float_round_mode_16_64 0
		.amdhsa_float_denorm_mode_32 3
		.amdhsa_float_denorm_mode_16_64 3
		.amdhsa_dx10_clamp 1
		.amdhsa_ieee_mode 1
		.amdhsa_fp16_overflow 0
		.amdhsa_workgroup_processor_mode 1
		.amdhsa_memory_ordered 1
		.amdhsa_forward_progress 1
		.amdhsa_shared_vgpr_count 0
		.amdhsa_exception_fp_ieee_invalid_op 0
		.amdhsa_exception_fp_denorm_src 0
		.amdhsa_exception_fp_ieee_div_zero 0
		.amdhsa_exception_fp_ieee_overflow 0
		.amdhsa_exception_fp_ieee_underflow 0
		.amdhsa_exception_fp_ieee_inexact 0
		.amdhsa_exception_int_div_zero 0
	.end_amdhsa_kernel
	.section	.text._ZL13mul_mat_vec_fI6__halffLi3ELi32ELb0ELb0EEvPKT_PKfPKi31ggml_cuda_mm_fusion_args_devicePfi15HIP_vector_typeIjLj3EEiiiSB_iiiSB_iiii,"axG",@progbits,_ZL13mul_mat_vec_fI6__halffLi3ELi32ELb0ELb0EEvPKT_PKfPKi31ggml_cuda_mm_fusion_args_devicePfi15HIP_vector_typeIjLj3EEiiiSB_iiiSB_iiii,comdat
.Lfunc_end216:
	.size	_ZL13mul_mat_vec_fI6__halffLi3ELi32ELb0ELb0EEvPKT_PKfPKi31ggml_cuda_mm_fusion_args_devicePfi15HIP_vector_typeIjLj3EEiiiSB_iiiSB_iiii, .Lfunc_end216-_ZL13mul_mat_vec_fI6__halffLi3ELi32ELb0ELb0EEvPKT_PKfPKi31ggml_cuda_mm_fusion_args_devicePfi15HIP_vector_typeIjLj3EEiiiSB_iiiSB_iiii
                                        ; -- End function
	.set _ZL13mul_mat_vec_fI6__halffLi3ELi32ELb0ELb0EEvPKT_PKfPKi31ggml_cuda_mm_fusion_args_devicePfi15HIP_vector_typeIjLj3EEiiiSB_iiiSB_iiii.num_vgpr, 16
	.set _ZL13mul_mat_vec_fI6__halffLi3ELi32ELb0ELb0EEvPKT_PKfPKi31ggml_cuda_mm_fusion_args_devicePfi15HIP_vector_typeIjLj3EEiiiSB_iiiSB_iiii.num_agpr, 0
	.set _ZL13mul_mat_vec_fI6__halffLi3ELi32ELb0ELb0EEvPKT_PKfPKi31ggml_cuda_mm_fusion_args_devicePfi15HIP_vector_typeIjLj3EEiiiSB_iiiSB_iiii.numbered_sgpr, 32
	.set _ZL13mul_mat_vec_fI6__halffLi3ELi32ELb0ELb0EEvPKT_PKfPKi31ggml_cuda_mm_fusion_args_devicePfi15HIP_vector_typeIjLj3EEiiiSB_iiiSB_iiii.num_named_barrier, 0
	.set _ZL13mul_mat_vec_fI6__halffLi3ELi32ELb0ELb0EEvPKT_PKfPKi31ggml_cuda_mm_fusion_args_devicePfi15HIP_vector_typeIjLj3EEiiiSB_iiiSB_iiii.private_seg_size, 0
	.set _ZL13mul_mat_vec_fI6__halffLi3ELi32ELb0ELb0EEvPKT_PKfPKi31ggml_cuda_mm_fusion_args_devicePfi15HIP_vector_typeIjLj3EEiiiSB_iiiSB_iiii.uses_vcc, 1
	.set _ZL13mul_mat_vec_fI6__halffLi3ELi32ELb0ELb0EEvPKT_PKfPKi31ggml_cuda_mm_fusion_args_devicePfi15HIP_vector_typeIjLj3EEiiiSB_iiiSB_iiii.uses_flat_scratch, 0
	.set _ZL13mul_mat_vec_fI6__halffLi3ELi32ELb0ELb0EEvPKT_PKfPKi31ggml_cuda_mm_fusion_args_devicePfi15HIP_vector_typeIjLj3EEiiiSB_iiiSB_iiii.has_dyn_sized_stack, 0
	.set _ZL13mul_mat_vec_fI6__halffLi3ELi32ELb0ELb0EEvPKT_PKfPKi31ggml_cuda_mm_fusion_args_devicePfi15HIP_vector_typeIjLj3EEiiiSB_iiiSB_iiii.has_recursion, 0
	.set _ZL13mul_mat_vec_fI6__halffLi3ELi32ELb0ELb0EEvPKT_PKfPKi31ggml_cuda_mm_fusion_args_devicePfi15HIP_vector_typeIjLj3EEiiiSB_iiiSB_iiii.has_indirect_call, 0
	.section	.AMDGPU.csdata,"",@progbits
; Kernel info:
; codeLenInByte = 1100
; TotalNumSgprs: 34
; NumVgprs: 16
; ScratchSize: 0
; MemoryBound: 0
; FloatMode: 240
; IeeeMode: 1
; LDSByteSize: 0 bytes/workgroup (compile time only)
; SGPRBlocks: 0
; VGPRBlocks: 1
; NumSGPRsForWavesPerEU: 34
; NumVGPRsForWavesPerEU: 16
; Occupancy: 16
; WaveLimiterHint : 0
; COMPUTE_PGM_RSRC2:SCRATCH_EN: 0
; COMPUTE_PGM_RSRC2:USER_SGPR: 6
; COMPUTE_PGM_RSRC2:TRAP_HANDLER: 0
; COMPUTE_PGM_RSRC2:TGID_X_EN: 1
; COMPUTE_PGM_RSRC2:TGID_Y_EN: 1
; COMPUTE_PGM_RSRC2:TGID_Z_EN: 1
; COMPUTE_PGM_RSRC2:TIDIG_COMP_CNT: 0
	.section	.text._ZL13mul_mat_vec_fI6__halffLi3ELi64ELb0ELb0EEvPKT_PKfPKi31ggml_cuda_mm_fusion_args_devicePfi15HIP_vector_typeIjLj3EEiiiSB_iiiSB_iiii,"axG",@progbits,_ZL13mul_mat_vec_fI6__halffLi3ELi64ELb0ELb0EEvPKT_PKfPKi31ggml_cuda_mm_fusion_args_devicePfi15HIP_vector_typeIjLj3EEiiiSB_iiiSB_iiii,comdat
	.globl	_ZL13mul_mat_vec_fI6__halffLi3ELi64ELb0ELb0EEvPKT_PKfPKi31ggml_cuda_mm_fusion_args_devicePfi15HIP_vector_typeIjLj3EEiiiSB_iiiSB_iiii ; -- Begin function _ZL13mul_mat_vec_fI6__halffLi3ELi64ELb0ELb0EEvPKT_PKfPKi31ggml_cuda_mm_fusion_args_devicePfi15HIP_vector_typeIjLj3EEiiiSB_iiiSB_iiii
	.p2align	8
	.type	_ZL13mul_mat_vec_fI6__halffLi3ELi64ELb0ELb0EEvPKT_PKfPKi31ggml_cuda_mm_fusion_args_devicePfi15HIP_vector_typeIjLj3EEiiiSB_iiiSB_iiii,@function
_ZL13mul_mat_vec_fI6__halffLi3ELi64ELb0ELb0EEvPKT_PKfPKi31ggml_cuda_mm_fusion_args_devicePfi15HIP_vector_typeIjLj3EEiiiSB_iiiSB_iiii: ; @_ZL13mul_mat_vec_fI6__halffLi3ELi64ELb0ELb0EEvPKT_PKfPKi31ggml_cuda_mm_fusion_args_devicePfi15HIP_vector_typeIjLj3EEiiiSB_iiiSB_iiii
; %bb.0:
	s_clause 0x2
	s_load_dwordx2 s[0:1], s[4:5], 0x10
	s_load_dwordx8 s[12:19], s[4:5], 0x40
	s_load_dwordx4 s[20:23], s[4:5], 0x80
	s_waitcnt lgkmcnt(0)
	s_cmp_eq_u64 s[0:1], 0
	s_cselect_b32 s10, -1, 0
	s_cmp_lg_u64 s[0:1], 0
	s_cselect_b32 s9, -1, 0
	s_and_b32 vcc_lo, exec_lo, s10
	s_cbranch_vccnz .LBB217_2
; %bb.1:
	s_mul_i32 s2, s23, s8
	s_mov_b32 s3, 0
	s_add_i32 s2, s2, s7
	s_lshl_b64 s[24:25], s[2:3], 2
	s_add_u32 s0, s0, s24
	s_addc_u32 s1, s1, s25
	s_load_dword s19, s[0:1], 0x0
	s_cbranch_execz .LBB217_3
	s_branch .LBB217_4
.LBB217_2:
                                        ; implicit-def: $sgpr19
.LBB217_3:
	s_load_dwordx2 s[0:1], s[4:5], 0x5c
	s_waitcnt lgkmcnt(0)
	s_mul_hi_u32 s0, s0, s7
	s_add_i32 s0, s7, s0
	s_lshr_b32 s19, s0, s1
.LBB217_4:
	s_load_dwordx4 s[24:27], s[4:5], 0x68
	s_andn2_b32 vcc_lo, exec_lo, s9
	s_mov_b32 s23, s7
	s_cbranch_vccnz .LBB217_6
; %bb.5:
	s_mul_hi_u32 s0, s13, s7
	s_add_i32 s0, s7, s0
	s_lshr_b32 s0, s0, s14
	s_mul_i32 s0, s0, s15
	s_sub_i32 s23, s7, s0
.LBB217_6:
	s_load_dword s9, s[4:5], 0x78
	v_cmp_gt_u32_e32 vcc_lo, 32, v0
	v_lshl_add_u32 v5, v0, 2, 0
	s_and_saveexec_b32 s0, vcc_lo
; %bb.7:
	v_mov_b32_e32 v1, 0
	ds_write_b32 v5, v1
; %bb.8:
	s_or_b32 exec_lo, exec_lo, s0
	v_mov_b32_e32 v6, 0
	v_mov_b32_e32 v7, 0
	;; [unrolled: 1-line block ×3, first 2 shown]
	s_and_b32 s0, exec_lo, s10
	s_mov_b32 s11, 0
	s_cselect_b32 s10, s8, 0
	s_mov_b32 s13, exec_lo
	s_waitcnt lgkmcnt(0)
	s_barrier
	buffer_gl0_inv
	v_cmpx_gt_i32_e64 s12, v0
	s_cbranch_execz .LBB217_12
; %bb.9:
	s_load_dwordx4 s[0:3], s[4:5], 0x0
	s_mul_hi_u32 s27, s27, s10
	s_mul_hi_i32 s15, s21, s10
	s_mul_i32 s14, s21, s10
	s_mul_i32 s24, s19, s24
	;; [unrolled: 1-line block ×4, first 2 shown]
	s_add_i32 s16, s10, s27
	s_lshl_b64 s[34:35], s[14:15], 2
	s_ashr_i32 s25, s24, 31
	s_ashr_i32 s29, s28, 31
	;; [unrolled: 1-line block ×3, first 2 shown]
	s_lshr_b32 s9, s16, s9
	s_mov_b32 s8, s17
	s_mul_hi_i32 s21, s9, s20
	s_mul_i32 s20, s9, s20
	v_lshlrev_b32_e32 v2, 3, v0
	v_lshlrev_b32_e32 v1, 2, v0
	v_mov_b32_e32 v8, 0
	v_mov_b32_e32 v9, v0
	s_waitcnt lgkmcnt(0)
	s_add_u32 s14, s2, s34
	s_addc_u32 s15, s3, s35
	s_lshl_b64 s[30:31], s[30:31], 2
	v_mov_b32_e32 v7, 0
	s_add_u32 s14, s14, s30
	s_addc_u32 s15, s15, s31
	s_lshl_b64 s[24:25], s[24:25], 1
	s_ashr_i32 s9, s17, 31
	s_add_i32 s16, s17, s17
	s_lshl_b64 s[20:21], s[20:21], 1
	s_lshl_b64 s[28:29], s[28:29], 1
	s_add_u32 s0, s0, s24
	s_addc_u32 s1, s1, s25
	s_add_u32 s0, s0, s28
	s_addc_u32 s1, s1, s29
	;; [unrolled: 2-line block ×3, first 2 shown]
	s_lshl_b64 s[8:9], s[8:9], 3
	s_add_u32 s2, s2, s30
	s_addc_u32 s3, s3, s31
	s_add_u32 s2, s2, s34
	s_addc_u32 s3, s3, s35
	v_add_co_u32 v3, s2, s2, v2
	v_add_co_ci_u32_e64 v4, null, s3, 0, s2
	v_add_co_u32 v1, s0, s0, v1
	v_add_co_ci_u32_e64 v2, null, s1, 0, s0
	;; [unrolled: 2-line block ×3, first 2 shown]
	v_mov_b32_e32 v6, 0
	s_inst_prefetch 0x1
	.p2align	6
.LBB217_10:                             ; =>This Inner Loop Header: Depth=1
	v_add_nc_u32_e32 v10, s16, v9
	v_add_co_u32 v12, s0, v3, s8
	v_add_co_ci_u32_e64 v13, null, s9, v4, s0
	v_ashrrev_i32_e32 v11, 31, v10
	v_add_nc_u32_e32 v9, 64, v9
	v_lshlrev_b64 v[10:11], 3, v[10:11]
	v_add_co_u32 v10, s0, s14, v10
	v_add_co_ci_u32_e64 v11, null, s15, v11, s0
	global_load_dword v16, v[1:2], off
	s_clause 0x1
	global_load_dwordx2 v[14:15], v[3:4], off offset:-4
	global_load_dwordx2 v[12:13], v[12:13], off offset:-4
	global_load_dwordx2 v[10:11], v[10:11], off
	v_add_co_u32 v1, s0, 0x100, v1
	v_add_co_ci_u32_e64 v2, null, 0, v2, s0
	v_add_co_u32 v3, s0, 0x200, v3
	v_add_co_ci_u32_e64 v4, null, 0, v4, s0
	v_cmp_le_i32_e64 s0, s12, v9
	s_or_b32 s11, s0, s11
	s_waitcnt vmcnt(2)
	v_fma_mix_f32 v8, v14, v16, v8 op_sel_hi:[0,1,0]
	s_waitcnt vmcnt(1)
	v_fma_mix_f32 v7, v12, v16, v7 op_sel_hi:[0,1,0]
	;; [unrolled: 2-line block ×3, first 2 shown]
	v_fma_mix_f32 v8, v15, v16, v8 op_sel:[0,1,0] op_sel_hi:[0,1,0]
	v_fma_mix_f32 v7, v13, v16, v7 op_sel:[0,1,0] op_sel_hi:[0,1,0]
	;; [unrolled: 1-line block ×3, first 2 shown]
	s_andn2_b32 exec_lo, exec_lo, s11
	s_cbranch_execnz .LBB217_10
; %bb.11:
	s_inst_prefetch 0x2
	s_or_b32 exec_lo, exec_lo, s11
.LBB217_12:
	s_or_b32 exec_lo, exec_lo, s13
	v_mbcnt_lo_u32_b32 v2, -1, 0
	v_xor_b32_e32 v1, 16, v2
	v_xor_b32_e32 v3, 8, v2
	v_cmp_gt_i32_e64 s0, 32, v1
	v_cndmask_b32_e64 v1, v2, v1, s0
	v_cmp_gt_i32_e64 s0, 32, v3
	v_lshlrev_b32_e32 v1, 2, v1
	v_cndmask_b32_e64 v3, v2, v3, s0
	ds_bpermute_b32 v4, v1, v8
	v_lshlrev_b32_e32 v3, 2, v3
	s_waitcnt lgkmcnt(0)
	v_add_f32_e32 v8, v8, v4
	v_xor_b32_e32 v4, 4, v2
	ds_bpermute_b32 v9, v3, v8
	v_cmp_gt_i32_e64 s0, 32, v4
	v_cndmask_b32_e64 v4, v2, v4, s0
	v_lshlrev_b32_e32 v4, 2, v4
	s_waitcnt lgkmcnt(0)
	v_add_f32_e32 v9, v8, v9
	v_xor_b32_e32 v8, 2, v2
	ds_bpermute_b32 v10, v4, v9
	v_cmp_gt_i32_e64 s0, 32, v8
	v_cndmask_b32_e64 v8, v2, v8, s0
	;; [unrolled: 7-line block ×3, first 2 shown]
	v_lshlrev_b32_e32 v9, 2, v2
	s_waitcnt lgkmcnt(0)
	v_add_f32_e32 v2, v10, v11
	v_lshrrev_b32_e32 v10, 3, v0
	ds_bpermute_b32 v11, v9, v2
	v_and_b32_e32 v10, 0x7c, v10
	v_add_nc_u32_e32 v10, 0, v10
	s_waitcnt lgkmcnt(0)
	v_add_f32_e32 v2, v2, v11
	ds_write_b32 v10, v2
	s_waitcnt lgkmcnt(0)
	s_barrier
	buffer_gl0_inv
	s_and_saveexec_b32 s0, vcc_lo
	s_cbranch_execz .LBB217_14
; %bb.13:
	ds_read_b32 v2, v5
	s_waitcnt lgkmcnt(0)
	ds_bpermute_b32 v11, v1, v2
	s_waitcnt lgkmcnt(0)
	v_add_f32_e32 v2, v2, v11
	ds_bpermute_b32 v11, v3, v2
	s_waitcnt lgkmcnt(0)
	v_add_f32_e32 v2, v2, v11
	;; [unrolled: 3-line block ×5, first 2 shown]
.LBB217_14:
	s_or_b32 exec_lo, exec_lo, s0
	ds_bpermute_b32 v11, v1, v7
	s_waitcnt lgkmcnt(0)
	s_barrier
	buffer_gl0_inv
	v_add_f32_e32 v7, v7, v11
	ds_bpermute_b32 v11, v3, v7
	s_waitcnt lgkmcnt(0)
	v_add_f32_e32 v7, v7, v11
	ds_bpermute_b32 v11, v4, v7
	s_waitcnt lgkmcnt(0)
	;; [unrolled: 3-line block ×4, first 2 shown]
	v_add_f32_e32 v7, v7, v11
	ds_write_b32 v10, v7
	s_waitcnt lgkmcnt(0)
	s_barrier
	buffer_gl0_inv
	s_and_saveexec_b32 s0, vcc_lo
	s_cbranch_execz .LBB217_16
; %bb.15:
	ds_read_b32 v7, v5
	s_waitcnt lgkmcnt(0)
	ds_bpermute_b32 v11, v1, v7
	s_waitcnt lgkmcnt(0)
	v_add_f32_e32 v7, v7, v11
	ds_bpermute_b32 v11, v3, v7
	s_waitcnt lgkmcnt(0)
	v_add_f32_e32 v7, v7, v11
	;; [unrolled: 3-line block ×5, first 2 shown]
.LBB217_16:
	s_or_b32 exec_lo, exec_lo, s0
	ds_bpermute_b32 v11, v1, v6
	s_waitcnt lgkmcnt(0)
	s_barrier
	buffer_gl0_inv
	v_add_f32_e32 v6, v6, v11
	ds_bpermute_b32 v11, v3, v6
	s_waitcnt lgkmcnt(0)
	v_add_f32_e32 v6, v6, v11
	ds_bpermute_b32 v11, v4, v6
	s_waitcnt lgkmcnt(0)
	;; [unrolled: 3-line block ×4, first 2 shown]
	v_add_f32_e32 v6, v6, v11
	ds_write_b32 v10, v6
	s_waitcnt lgkmcnt(0)
	s_barrier
	buffer_gl0_inv
	s_and_saveexec_b32 s0, vcc_lo
	s_cbranch_execz .LBB217_18
; %bb.17:
	ds_read_b32 v5, v5
	s_waitcnt lgkmcnt(0)
	ds_bpermute_b32 v1, v1, v5
	s_waitcnt lgkmcnt(0)
	v_add_f32_e32 v1, v5, v1
	ds_bpermute_b32 v3, v3, v1
	s_waitcnt lgkmcnt(0)
	v_add_f32_e32 v1, v1, v3
	;; [unrolled: 3-line block ×5, first 2 shown]
.LBB217_18:
	s_or_b32 exec_lo, exec_lo, s0
	s_barrier
	buffer_gl0_inv
	s_mov_b32 s0, exec_lo
	v_cmpx_gt_u32_e32 3, v0
	s_cbranch_execz .LBB217_20
; %bb.19:
	s_load_dwordx2 s[0:1], s[4:5], 0x38
	v_mad_u64_u32 v[3:4], null, s18, v0, s[6:7]
	v_cmp_eq_u32_e32 vcc_lo, 1, v0
	s_mul_hi_i32 s3, s22, s10
	s_mul_i32 s2, s22, s10
	s_mul_i32 s4, s26, s7
	s_lshl_b64 s[2:3], s[2:3], 2
	v_cndmask_b32_e32 v5, v2, v7, vcc_lo
	v_ashrrev_i32_e32 v4, 31, v3
	s_ashr_i32 s5, s4, 31
	v_cmp_eq_u32_e32 vcc_lo, 2, v0
	v_lshlrev_b64 v[1:2], 2, v[3:4]
	v_cndmask_b32_e32 v3, v5, v6, vcc_lo
	s_waitcnt lgkmcnt(0)
	s_add_u32 s2, s0, s2
	s_addc_u32 s3, s1, s3
	s_lshl_b64 s[0:1], s[4:5], 2
	s_add_u32 s0, s2, s0
	s_addc_u32 s1, s3, s1
	v_add_co_u32 v0, vcc_lo, s0, v1
	v_add_co_ci_u32_e64 v1, null, s1, v2, vcc_lo
	global_store_dword v[0:1], v3, off
.LBB217_20:
	s_endpgm
	.section	.rodata,"a",@progbits
	.p2align	6, 0x0
	.amdhsa_kernel _ZL13mul_mat_vec_fI6__halffLi3ELi64ELb0ELb0EEvPKT_PKfPKi31ggml_cuda_mm_fusion_args_devicePfi15HIP_vector_typeIjLj3EEiiiSB_iiiSB_iiii
		.amdhsa_group_segment_fixed_size 0
		.amdhsa_private_segment_fixed_size 0
		.amdhsa_kernarg_size 144
		.amdhsa_user_sgpr_count 6
		.amdhsa_user_sgpr_private_segment_buffer 1
		.amdhsa_user_sgpr_dispatch_ptr 0
		.amdhsa_user_sgpr_queue_ptr 0
		.amdhsa_user_sgpr_kernarg_segment_ptr 1
		.amdhsa_user_sgpr_dispatch_id 0
		.amdhsa_user_sgpr_flat_scratch_init 0
		.amdhsa_user_sgpr_private_segment_size 0
		.amdhsa_wavefront_size32 1
		.amdhsa_uses_dynamic_stack 0
		.amdhsa_system_sgpr_private_segment_wavefront_offset 0
		.amdhsa_system_sgpr_workgroup_id_x 1
		.amdhsa_system_sgpr_workgroup_id_y 1
		.amdhsa_system_sgpr_workgroup_id_z 1
		.amdhsa_system_sgpr_workgroup_info 0
		.amdhsa_system_vgpr_workitem_id 0
		.amdhsa_next_free_vgpr 17
		.amdhsa_next_free_sgpr 36
		.amdhsa_reserve_vcc 1
		.amdhsa_reserve_flat_scratch 0
		.amdhsa_float_round_mode_32 0
		.amdhsa_float_round_mode_16_64 0
		.amdhsa_float_denorm_mode_32 3
		.amdhsa_float_denorm_mode_16_64 3
		.amdhsa_dx10_clamp 1
		.amdhsa_ieee_mode 1
		.amdhsa_fp16_overflow 0
		.amdhsa_workgroup_processor_mode 1
		.amdhsa_memory_ordered 1
		.amdhsa_forward_progress 1
		.amdhsa_shared_vgpr_count 0
		.amdhsa_exception_fp_ieee_invalid_op 0
		.amdhsa_exception_fp_denorm_src 0
		.amdhsa_exception_fp_ieee_div_zero 0
		.amdhsa_exception_fp_ieee_overflow 0
		.amdhsa_exception_fp_ieee_underflow 0
		.amdhsa_exception_fp_ieee_inexact 0
		.amdhsa_exception_int_div_zero 0
	.end_amdhsa_kernel
	.section	.text._ZL13mul_mat_vec_fI6__halffLi3ELi64ELb0ELb0EEvPKT_PKfPKi31ggml_cuda_mm_fusion_args_devicePfi15HIP_vector_typeIjLj3EEiiiSB_iiiSB_iiii,"axG",@progbits,_ZL13mul_mat_vec_fI6__halffLi3ELi64ELb0ELb0EEvPKT_PKfPKi31ggml_cuda_mm_fusion_args_devicePfi15HIP_vector_typeIjLj3EEiiiSB_iiiSB_iiii,comdat
.Lfunc_end217:
	.size	_ZL13mul_mat_vec_fI6__halffLi3ELi64ELb0ELb0EEvPKT_PKfPKi31ggml_cuda_mm_fusion_args_devicePfi15HIP_vector_typeIjLj3EEiiiSB_iiiSB_iiii, .Lfunc_end217-_ZL13mul_mat_vec_fI6__halffLi3ELi64ELb0ELb0EEvPKT_PKfPKi31ggml_cuda_mm_fusion_args_devicePfi15HIP_vector_typeIjLj3EEiiiSB_iiiSB_iiii
                                        ; -- End function
	.set _ZL13mul_mat_vec_fI6__halffLi3ELi64ELb0ELb0EEvPKT_PKfPKi31ggml_cuda_mm_fusion_args_devicePfi15HIP_vector_typeIjLj3EEiiiSB_iiiSB_iiii.num_vgpr, 17
	.set _ZL13mul_mat_vec_fI6__halffLi3ELi64ELb0ELb0EEvPKT_PKfPKi31ggml_cuda_mm_fusion_args_devicePfi15HIP_vector_typeIjLj3EEiiiSB_iiiSB_iiii.num_agpr, 0
	.set _ZL13mul_mat_vec_fI6__halffLi3ELi64ELb0ELb0EEvPKT_PKfPKi31ggml_cuda_mm_fusion_args_devicePfi15HIP_vector_typeIjLj3EEiiiSB_iiiSB_iiii.numbered_sgpr, 36
	.set _ZL13mul_mat_vec_fI6__halffLi3ELi64ELb0ELb0EEvPKT_PKfPKi31ggml_cuda_mm_fusion_args_devicePfi15HIP_vector_typeIjLj3EEiiiSB_iiiSB_iiii.num_named_barrier, 0
	.set _ZL13mul_mat_vec_fI6__halffLi3ELi64ELb0ELb0EEvPKT_PKfPKi31ggml_cuda_mm_fusion_args_devicePfi15HIP_vector_typeIjLj3EEiiiSB_iiiSB_iiii.private_seg_size, 0
	.set _ZL13mul_mat_vec_fI6__halffLi3ELi64ELb0ELb0EEvPKT_PKfPKi31ggml_cuda_mm_fusion_args_devicePfi15HIP_vector_typeIjLj3EEiiiSB_iiiSB_iiii.uses_vcc, 1
	.set _ZL13mul_mat_vec_fI6__halffLi3ELi64ELb0ELb0EEvPKT_PKfPKi31ggml_cuda_mm_fusion_args_devicePfi15HIP_vector_typeIjLj3EEiiiSB_iiiSB_iiii.uses_flat_scratch, 0
	.set _ZL13mul_mat_vec_fI6__halffLi3ELi64ELb0ELb0EEvPKT_PKfPKi31ggml_cuda_mm_fusion_args_devicePfi15HIP_vector_typeIjLj3EEiiiSB_iiiSB_iiii.has_dyn_sized_stack, 0
	.set _ZL13mul_mat_vec_fI6__halffLi3ELi64ELb0ELb0EEvPKT_PKfPKi31ggml_cuda_mm_fusion_args_devicePfi15HIP_vector_typeIjLj3EEiiiSB_iiiSB_iiii.has_recursion, 0
	.set _ZL13mul_mat_vec_fI6__halffLi3ELi64ELb0ELb0EEvPKT_PKfPKi31ggml_cuda_mm_fusion_args_devicePfi15HIP_vector_typeIjLj3EEiiiSB_iiiSB_iiii.has_indirect_call, 0
	.section	.AMDGPU.csdata,"",@progbits
; Kernel info:
; codeLenInByte = 1664
; TotalNumSgprs: 38
; NumVgprs: 17
; ScratchSize: 0
; MemoryBound: 0
; FloatMode: 240
; IeeeMode: 1
; LDSByteSize: 0 bytes/workgroup (compile time only)
; SGPRBlocks: 0
; VGPRBlocks: 2
; NumSGPRsForWavesPerEU: 38
; NumVGPRsForWavesPerEU: 17
; Occupancy: 16
; WaveLimiterHint : 0
; COMPUTE_PGM_RSRC2:SCRATCH_EN: 0
; COMPUTE_PGM_RSRC2:USER_SGPR: 6
; COMPUTE_PGM_RSRC2:TRAP_HANDLER: 0
; COMPUTE_PGM_RSRC2:TGID_X_EN: 1
; COMPUTE_PGM_RSRC2:TGID_Y_EN: 1
; COMPUTE_PGM_RSRC2:TGID_Z_EN: 1
; COMPUTE_PGM_RSRC2:TIDIG_COMP_CNT: 0
	.section	.text._ZL13mul_mat_vec_fI6__halffLi3ELi96ELb0ELb0EEvPKT_PKfPKi31ggml_cuda_mm_fusion_args_devicePfi15HIP_vector_typeIjLj3EEiiiSB_iiiSB_iiii,"axG",@progbits,_ZL13mul_mat_vec_fI6__halffLi3ELi96ELb0ELb0EEvPKT_PKfPKi31ggml_cuda_mm_fusion_args_devicePfi15HIP_vector_typeIjLj3EEiiiSB_iiiSB_iiii,comdat
	.globl	_ZL13mul_mat_vec_fI6__halffLi3ELi96ELb0ELb0EEvPKT_PKfPKi31ggml_cuda_mm_fusion_args_devicePfi15HIP_vector_typeIjLj3EEiiiSB_iiiSB_iiii ; -- Begin function _ZL13mul_mat_vec_fI6__halffLi3ELi96ELb0ELb0EEvPKT_PKfPKi31ggml_cuda_mm_fusion_args_devicePfi15HIP_vector_typeIjLj3EEiiiSB_iiiSB_iiii
	.p2align	8
	.type	_ZL13mul_mat_vec_fI6__halffLi3ELi96ELb0ELb0EEvPKT_PKfPKi31ggml_cuda_mm_fusion_args_devicePfi15HIP_vector_typeIjLj3EEiiiSB_iiiSB_iiii,@function
_ZL13mul_mat_vec_fI6__halffLi3ELi96ELb0ELb0EEvPKT_PKfPKi31ggml_cuda_mm_fusion_args_devicePfi15HIP_vector_typeIjLj3EEiiiSB_iiiSB_iiii: ; @_ZL13mul_mat_vec_fI6__halffLi3ELi96ELb0ELb0EEvPKT_PKfPKi31ggml_cuda_mm_fusion_args_devicePfi15HIP_vector_typeIjLj3EEiiiSB_iiiSB_iiii
; %bb.0:
	s_clause 0x2
	s_load_dwordx2 s[0:1], s[4:5], 0x10
	s_load_dwordx8 s[12:19], s[4:5], 0x40
	s_load_dwordx4 s[20:23], s[4:5], 0x80
	s_waitcnt lgkmcnt(0)
	s_cmp_eq_u64 s[0:1], 0
	s_cselect_b32 s10, -1, 0
	s_cmp_lg_u64 s[0:1], 0
	s_cselect_b32 s9, -1, 0
	s_and_b32 vcc_lo, exec_lo, s10
	s_cbranch_vccnz .LBB218_2
; %bb.1:
	s_mul_i32 s2, s23, s8
	s_mov_b32 s3, 0
	s_add_i32 s2, s2, s7
	s_lshl_b64 s[24:25], s[2:3], 2
	s_add_u32 s0, s0, s24
	s_addc_u32 s1, s1, s25
	s_load_dword s19, s[0:1], 0x0
	s_cbranch_execz .LBB218_3
	s_branch .LBB218_4
.LBB218_2:
                                        ; implicit-def: $sgpr19
.LBB218_3:
	s_load_dwordx2 s[0:1], s[4:5], 0x5c
	s_waitcnt lgkmcnt(0)
	s_mul_hi_u32 s0, s0, s7
	s_add_i32 s0, s7, s0
	s_lshr_b32 s19, s0, s1
.LBB218_4:
	s_load_dwordx4 s[24:27], s[4:5], 0x68
	s_andn2_b32 vcc_lo, exec_lo, s9
	s_mov_b32 s23, s7
	s_cbranch_vccnz .LBB218_6
; %bb.5:
	s_mul_hi_u32 s0, s13, s7
	s_add_i32 s0, s7, s0
	s_lshr_b32 s0, s0, s14
	s_mul_i32 s0, s0, s15
	s_sub_i32 s23, s7, s0
.LBB218_6:
	s_load_dword s9, s[4:5], 0x78
	v_cmp_gt_u32_e32 vcc_lo, 32, v0
	v_lshl_add_u32 v5, v0, 2, 0
	s_and_saveexec_b32 s0, vcc_lo
; %bb.7:
	v_mov_b32_e32 v1, 0
	ds_write_b32 v5, v1
; %bb.8:
	s_or_b32 exec_lo, exec_lo, s0
	v_mov_b32_e32 v6, 0
	v_mov_b32_e32 v7, 0
	;; [unrolled: 1-line block ×3, first 2 shown]
	s_and_b32 s0, exec_lo, s10
	s_mov_b32 s11, 0
	s_cselect_b32 s10, s8, 0
	s_mov_b32 s13, exec_lo
	s_waitcnt lgkmcnt(0)
	s_barrier
	buffer_gl0_inv
	v_cmpx_gt_i32_e64 s12, v0
	s_cbranch_execz .LBB218_12
; %bb.9:
	s_load_dwordx4 s[0:3], s[4:5], 0x0
	s_mul_hi_u32 s27, s27, s10
	s_mul_hi_i32 s15, s21, s10
	s_mul_i32 s14, s21, s10
	s_mul_i32 s24, s19, s24
	;; [unrolled: 1-line block ×4, first 2 shown]
	s_add_i32 s16, s10, s27
	s_lshl_b64 s[34:35], s[14:15], 2
	s_ashr_i32 s25, s24, 31
	s_ashr_i32 s29, s28, 31
	;; [unrolled: 1-line block ×3, first 2 shown]
	s_lshr_b32 s9, s16, s9
	s_mov_b32 s8, s17
	s_mul_hi_i32 s21, s9, s20
	s_mul_i32 s20, s9, s20
	v_lshlrev_b32_e32 v2, 3, v0
	v_lshlrev_b32_e32 v1, 2, v0
	v_mov_b32_e32 v8, 0
	v_mov_b32_e32 v9, v0
	s_waitcnt lgkmcnt(0)
	s_add_u32 s14, s2, s34
	s_addc_u32 s15, s3, s35
	s_lshl_b64 s[30:31], s[30:31], 2
	v_mov_b32_e32 v7, 0
	s_add_u32 s14, s14, s30
	s_addc_u32 s15, s15, s31
	s_lshl_b64 s[24:25], s[24:25], 1
	s_ashr_i32 s9, s17, 31
	s_add_i32 s16, s17, s17
	s_lshl_b64 s[20:21], s[20:21], 1
	s_lshl_b64 s[28:29], s[28:29], 1
	s_add_u32 s0, s0, s24
	s_addc_u32 s1, s1, s25
	s_add_u32 s0, s0, s28
	s_addc_u32 s1, s1, s29
	;; [unrolled: 2-line block ×3, first 2 shown]
	s_lshl_b64 s[8:9], s[8:9], 3
	s_add_u32 s2, s2, s30
	s_addc_u32 s3, s3, s31
	s_add_u32 s2, s2, s34
	s_addc_u32 s3, s3, s35
	v_add_co_u32 v3, s2, s2, v2
	v_add_co_ci_u32_e64 v4, null, s3, 0, s2
	v_add_co_u32 v1, s0, s0, v1
	v_add_co_ci_u32_e64 v2, null, s1, 0, s0
	;; [unrolled: 2-line block ×3, first 2 shown]
	v_mov_b32_e32 v6, 0
.LBB218_10:                             ; =>This Inner Loop Header: Depth=1
	v_add_nc_u32_e32 v10, s16, v9
	v_add_co_u32 v12, s0, v3, s8
	v_add_co_ci_u32_e64 v13, null, s9, v4, s0
	v_ashrrev_i32_e32 v11, 31, v10
	v_add_nc_u32_e32 v9, 0x60, v9
	v_lshlrev_b64 v[10:11], 3, v[10:11]
	v_add_co_u32 v10, s0, s14, v10
	v_add_co_ci_u32_e64 v11, null, s15, v11, s0
	global_load_dword v16, v[1:2], off
	s_clause 0x1
	global_load_dwordx2 v[14:15], v[3:4], off offset:-4
	global_load_dwordx2 v[12:13], v[12:13], off offset:-4
	global_load_dwordx2 v[10:11], v[10:11], off
	v_add_co_u32 v1, s0, 0x180, v1
	v_add_co_ci_u32_e64 v2, null, 0, v2, s0
	v_add_co_u32 v3, s0, 0x300, v3
	v_add_co_ci_u32_e64 v4, null, 0, v4, s0
	v_cmp_le_i32_e64 s0, s12, v9
	s_or_b32 s11, s0, s11
	s_waitcnt vmcnt(2)
	v_fma_mix_f32 v8, v14, v16, v8 op_sel_hi:[0,1,0]
	s_waitcnt vmcnt(1)
	v_fma_mix_f32 v7, v12, v16, v7 op_sel_hi:[0,1,0]
	s_waitcnt vmcnt(0)
	v_fma_mix_f32 v6, v10, v16, v6 op_sel_hi:[0,1,0]
	v_fma_mix_f32 v8, v15, v16, v8 op_sel:[0,1,0] op_sel_hi:[0,1,0]
	v_fma_mix_f32 v7, v13, v16, v7 op_sel:[0,1,0] op_sel_hi:[0,1,0]
	;; [unrolled: 1-line block ×3, first 2 shown]
	s_andn2_b32 exec_lo, exec_lo, s11
	s_cbranch_execnz .LBB218_10
; %bb.11:
	s_or_b32 exec_lo, exec_lo, s11
.LBB218_12:
	s_or_b32 exec_lo, exec_lo, s13
	v_mbcnt_lo_u32_b32 v2, -1, 0
	v_xor_b32_e32 v1, 16, v2
	v_xor_b32_e32 v3, 8, v2
	v_cmp_gt_i32_e64 s0, 32, v1
	v_cndmask_b32_e64 v1, v2, v1, s0
	v_cmp_gt_i32_e64 s0, 32, v3
	v_lshlrev_b32_e32 v1, 2, v1
	v_cndmask_b32_e64 v3, v2, v3, s0
	ds_bpermute_b32 v4, v1, v8
	v_lshlrev_b32_e32 v3, 2, v3
	s_waitcnt lgkmcnt(0)
	v_add_f32_e32 v8, v8, v4
	v_xor_b32_e32 v4, 4, v2
	ds_bpermute_b32 v9, v3, v8
	v_cmp_gt_i32_e64 s0, 32, v4
	v_cndmask_b32_e64 v4, v2, v4, s0
	v_lshlrev_b32_e32 v4, 2, v4
	s_waitcnt lgkmcnt(0)
	v_add_f32_e32 v9, v8, v9
	v_xor_b32_e32 v8, 2, v2
	ds_bpermute_b32 v10, v4, v9
	v_cmp_gt_i32_e64 s0, 32, v8
	v_cndmask_b32_e64 v8, v2, v8, s0
	;; [unrolled: 7-line block ×3, first 2 shown]
	v_lshlrev_b32_e32 v9, 2, v2
	s_waitcnt lgkmcnt(0)
	v_add_f32_e32 v2, v10, v11
	v_lshrrev_b32_e32 v10, 3, v0
	ds_bpermute_b32 v11, v9, v2
	v_and_b32_e32 v10, 0x7c, v10
	v_add_nc_u32_e32 v10, 0, v10
	s_waitcnt lgkmcnt(0)
	v_add_f32_e32 v2, v2, v11
	ds_write_b32 v10, v2
	s_waitcnt lgkmcnt(0)
	s_barrier
	buffer_gl0_inv
	s_and_saveexec_b32 s0, vcc_lo
	s_cbranch_execz .LBB218_14
; %bb.13:
	ds_read_b32 v2, v5
	s_waitcnt lgkmcnt(0)
	ds_bpermute_b32 v11, v1, v2
	s_waitcnt lgkmcnt(0)
	v_add_f32_e32 v2, v2, v11
	ds_bpermute_b32 v11, v3, v2
	s_waitcnt lgkmcnt(0)
	v_add_f32_e32 v2, v2, v11
	ds_bpermute_b32 v11, v4, v2
	s_waitcnt lgkmcnt(0)
	v_add_f32_e32 v2, v2, v11
	ds_bpermute_b32 v11, v8, v2
	s_waitcnt lgkmcnt(0)
	v_add_f32_e32 v2, v2, v11
	ds_bpermute_b32 v11, v9, v2
	s_waitcnt lgkmcnt(0)
	v_add_f32_e32 v2, v2, v11
.LBB218_14:
	s_or_b32 exec_lo, exec_lo, s0
	ds_bpermute_b32 v11, v1, v7
	s_waitcnt lgkmcnt(0)
	s_barrier
	buffer_gl0_inv
	v_add_f32_e32 v7, v7, v11
	ds_bpermute_b32 v11, v3, v7
	s_waitcnt lgkmcnt(0)
	v_add_f32_e32 v7, v7, v11
	ds_bpermute_b32 v11, v4, v7
	s_waitcnt lgkmcnt(0)
	;; [unrolled: 3-line block ×4, first 2 shown]
	v_add_f32_e32 v7, v7, v11
	ds_write_b32 v10, v7
	s_waitcnt lgkmcnt(0)
	s_barrier
	buffer_gl0_inv
	s_and_saveexec_b32 s0, vcc_lo
	s_cbranch_execz .LBB218_16
; %bb.15:
	ds_read_b32 v7, v5
	s_waitcnt lgkmcnt(0)
	ds_bpermute_b32 v11, v1, v7
	s_waitcnt lgkmcnt(0)
	v_add_f32_e32 v7, v7, v11
	ds_bpermute_b32 v11, v3, v7
	s_waitcnt lgkmcnt(0)
	v_add_f32_e32 v7, v7, v11
	;; [unrolled: 3-line block ×5, first 2 shown]
.LBB218_16:
	s_or_b32 exec_lo, exec_lo, s0
	ds_bpermute_b32 v11, v1, v6
	s_waitcnt lgkmcnt(0)
	s_barrier
	buffer_gl0_inv
	v_add_f32_e32 v6, v6, v11
	ds_bpermute_b32 v11, v3, v6
	s_waitcnt lgkmcnt(0)
	v_add_f32_e32 v6, v6, v11
	ds_bpermute_b32 v11, v4, v6
	s_waitcnt lgkmcnt(0)
	v_add_f32_e32 v6, v6, v11
	ds_bpermute_b32 v11, v8, v6
	s_waitcnt lgkmcnt(0)
	v_add_f32_e32 v6, v6, v11
	ds_bpermute_b32 v11, v9, v6
	s_waitcnt lgkmcnt(0)
	v_add_f32_e32 v6, v6, v11
	ds_write_b32 v10, v6
	s_waitcnt lgkmcnt(0)
	s_barrier
	buffer_gl0_inv
	s_and_saveexec_b32 s0, vcc_lo
	s_cbranch_execz .LBB218_18
; %bb.17:
	ds_read_b32 v5, v5
	s_waitcnt lgkmcnt(0)
	ds_bpermute_b32 v1, v1, v5
	s_waitcnt lgkmcnt(0)
	v_add_f32_e32 v1, v5, v1
	ds_bpermute_b32 v3, v3, v1
	s_waitcnt lgkmcnt(0)
	v_add_f32_e32 v1, v1, v3
	;; [unrolled: 3-line block ×5, first 2 shown]
.LBB218_18:
	s_or_b32 exec_lo, exec_lo, s0
	s_barrier
	buffer_gl0_inv
	s_mov_b32 s0, exec_lo
	v_cmpx_gt_u32_e32 3, v0
	s_cbranch_execz .LBB218_20
; %bb.19:
	s_load_dwordx2 s[0:1], s[4:5], 0x38
	v_mad_u64_u32 v[3:4], null, s18, v0, s[6:7]
	v_cmp_eq_u32_e32 vcc_lo, 1, v0
	s_mul_hi_i32 s3, s22, s10
	s_mul_i32 s2, s22, s10
	s_mul_i32 s4, s26, s7
	s_lshl_b64 s[2:3], s[2:3], 2
	v_cndmask_b32_e32 v5, v2, v7, vcc_lo
	v_ashrrev_i32_e32 v4, 31, v3
	s_ashr_i32 s5, s4, 31
	v_cmp_eq_u32_e32 vcc_lo, 2, v0
	v_lshlrev_b64 v[1:2], 2, v[3:4]
	v_cndmask_b32_e32 v3, v5, v6, vcc_lo
	s_waitcnt lgkmcnt(0)
	s_add_u32 s2, s0, s2
	s_addc_u32 s3, s1, s3
	s_lshl_b64 s[0:1], s[4:5], 2
	s_add_u32 s0, s2, s0
	s_addc_u32 s1, s3, s1
	v_add_co_u32 v0, vcc_lo, s0, v1
	v_add_co_ci_u32_e64 v1, null, s1, v2, vcc_lo
	global_store_dword v[0:1], v3, off
.LBB218_20:
	s_endpgm
	.section	.rodata,"a",@progbits
	.p2align	6, 0x0
	.amdhsa_kernel _ZL13mul_mat_vec_fI6__halffLi3ELi96ELb0ELb0EEvPKT_PKfPKi31ggml_cuda_mm_fusion_args_devicePfi15HIP_vector_typeIjLj3EEiiiSB_iiiSB_iiii
		.amdhsa_group_segment_fixed_size 0
		.amdhsa_private_segment_fixed_size 0
		.amdhsa_kernarg_size 144
		.amdhsa_user_sgpr_count 6
		.amdhsa_user_sgpr_private_segment_buffer 1
		.amdhsa_user_sgpr_dispatch_ptr 0
		.amdhsa_user_sgpr_queue_ptr 0
		.amdhsa_user_sgpr_kernarg_segment_ptr 1
		.amdhsa_user_sgpr_dispatch_id 0
		.amdhsa_user_sgpr_flat_scratch_init 0
		.amdhsa_user_sgpr_private_segment_size 0
		.amdhsa_wavefront_size32 1
		.amdhsa_uses_dynamic_stack 0
		.amdhsa_system_sgpr_private_segment_wavefront_offset 0
		.amdhsa_system_sgpr_workgroup_id_x 1
		.amdhsa_system_sgpr_workgroup_id_y 1
		.amdhsa_system_sgpr_workgroup_id_z 1
		.amdhsa_system_sgpr_workgroup_info 0
		.amdhsa_system_vgpr_workitem_id 0
		.amdhsa_next_free_vgpr 17
		.amdhsa_next_free_sgpr 36
		.amdhsa_reserve_vcc 1
		.amdhsa_reserve_flat_scratch 0
		.amdhsa_float_round_mode_32 0
		.amdhsa_float_round_mode_16_64 0
		.amdhsa_float_denorm_mode_32 3
		.amdhsa_float_denorm_mode_16_64 3
		.amdhsa_dx10_clamp 1
		.amdhsa_ieee_mode 1
		.amdhsa_fp16_overflow 0
		.amdhsa_workgroup_processor_mode 1
		.amdhsa_memory_ordered 1
		.amdhsa_forward_progress 1
		.amdhsa_shared_vgpr_count 0
		.amdhsa_exception_fp_ieee_invalid_op 0
		.amdhsa_exception_fp_denorm_src 0
		.amdhsa_exception_fp_ieee_div_zero 0
		.amdhsa_exception_fp_ieee_overflow 0
		.amdhsa_exception_fp_ieee_underflow 0
		.amdhsa_exception_fp_ieee_inexact 0
		.amdhsa_exception_int_div_zero 0
	.end_amdhsa_kernel
	.section	.text._ZL13mul_mat_vec_fI6__halffLi3ELi96ELb0ELb0EEvPKT_PKfPKi31ggml_cuda_mm_fusion_args_devicePfi15HIP_vector_typeIjLj3EEiiiSB_iiiSB_iiii,"axG",@progbits,_ZL13mul_mat_vec_fI6__halffLi3ELi96ELb0ELb0EEvPKT_PKfPKi31ggml_cuda_mm_fusion_args_devicePfi15HIP_vector_typeIjLj3EEiiiSB_iiiSB_iiii,comdat
.Lfunc_end218:
	.size	_ZL13mul_mat_vec_fI6__halffLi3ELi96ELb0ELb0EEvPKT_PKfPKi31ggml_cuda_mm_fusion_args_devicePfi15HIP_vector_typeIjLj3EEiiiSB_iiiSB_iiii, .Lfunc_end218-_ZL13mul_mat_vec_fI6__halffLi3ELi96ELb0ELb0EEvPKT_PKfPKi31ggml_cuda_mm_fusion_args_devicePfi15HIP_vector_typeIjLj3EEiiiSB_iiiSB_iiii
                                        ; -- End function
	.set _ZL13mul_mat_vec_fI6__halffLi3ELi96ELb0ELb0EEvPKT_PKfPKi31ggml_cuda_mm_fusion_args_devicePfi15HIP_vector_typeIjLj3EEiiiSB_iiiSB_iiii.num_vgpr, 17
	.set _ZL13mul_mat_vec_fI6__halffLi3ELi96ELb0ELb0EEvPKT_PKfPKi31ggml_cuda_mm_fusion_args_devicePfi15HIP_vector_typeIjLj3EEiiiSB_iiiSB_iiii.num_agpr, 0
	.set _ZL13mul_mat_vec_fI6__halffLi3ELi96ELb0ELb0EEvPKT_PKfPKi31ggml_cuda_mm_fusion_args_devicePfi15HIP_vector_typeIjLj3EEiiiSB_iiiSB_iiii.numbered_sgpr, 36
	.set _ZL13mul_mat_vec_fI6__halffLi3ELi96ELb0ELb0EEvPKT_PKfPKi31ggml_cuda_mm_fusion_args_devicePfi15HIP_vector_typeIjLj3EEiiiSB_iiiSB_iiii.num_named_barrier, 0
	.set _ZL13mul_mat_vec_fI6__halffLi3ELi96ELb0ELb0EEvPKT_PKfPKi31ggml_cuda_mm_fusion_args_devicePfi15HIP_vector_typeIjLj3EEiiiSB_iiiSB_iiii.private_seg_size, 0
	.set _ZL13mul_mat_vec_fI6__halffLi3ELi96ELb0ELb0EEvPKT_PKfPKi31ggml_cuda_mm_fusion_args_devicePfi15HIP_vector_typeIjLj3EEiiiSB_iiiSB_iiii.uses_vcc, 1
	.set _ZL13mul_mat_vec_fI6__halffLi3ELi96ELb0ELb0EEvPKT_PKfPKi31ggml_cuda_mm_fusion_args_devicePfi15HIP_vector_typeIjLj3EEiiiSB_iiiSB_iiii.uses_flat_scratch, 0
	.set _ZL13mul_mat_vec_fI6__halffLi3ELi96ELb0ELb0EEvPKT_PKfPKi31ggml_cuda_mm_fusion_args_devicePfi15HIP_vector_typeIjLj3EEiiiSB_iiiSB_iiii.has_dyn_sized_stack, 0
	.set _ZL13mul_mat_vec_fI6__halffLi3ELi96ELb0ELb0EEvPKT_PKfPKi31ggml_cuda_mm_fusion_args_devicePfi15HIP_vector_typeIjLj3EEiiiSB_iiiSB_iiii.has_recursion, 0
	.set _ZL13mul_mat_vec_fI6__halffLi3ELi96ELb0ELb0EEvPKT_PKfPKi31ggml_cuda_mm_fusion_args_devicePfi15HIP_vector_typeIjLj3EEiiiSB_iiiSB_iiii.has_indirect_call, 0
	.section	.AMDGPU.csdata,"",@progbits
; Kernel info:
; codeLenInByte = 1636
; TotalNumSgprs: 38
; NumVgprs: 17
; ScratchSize: 0
; MemoryBound: 0
; FloatMode: 240
; IeeeMode: 1
; LDSByteSize: 0 bytes/workgroup (compile time only)
; SGPRBlocks: 0
; VGPRBlocks: 2
; NumSGPRsForWavesPerEU: 38
; NumVGPRsForWavesPerEU: 17
; Occupancy: 16
; WaveLimiterHint : 0
; COMPUTE_PGM_RSRC2:SCRATCH_EN: 0
; COMPUTE_PGM_RSRC2:USER_SGPR: 6
; COMPUTE_PGM_RSRC2:TRAP_HANDLER: 0
; COMPUTE_PGM_RSRC2:TGID_X_EN: 1
; COMPUTE_PGM_RSRC2:TGID_Y_EN: 1
; COMPUTE_PGM_RSRC2:TGID_Z_EN: 1
; COMPUTE_PGM_RSRC2:TIDIG_COMP_CNT: 0
	.section	.text._ZL13mul_mat_vec_fI6__halffLi3ELi128ELb0ELb0EEvPKT_PKfPKi31ggml_cuda_mm_fusion_args_devicePfi15HIP_vector_typeIjLj3EEiiiSB_iiiSB_iiii,"axG",@progbits,_ZL13mul_mat_vec_fI6__halffLi3ELi128ELb0ELb0EEvPKT_PKfPKi31ggml_cuda_mm_fusion_args_devicePfi15HIP_vector_typeIjLj3EEiiiSB_iiiSB_iiii,comdat
	.globl	_ZL13mul_mat_vec_fI6__halffLi3ELi128ELb0ELb0EEvPKT_PKfPKi31ggml_cuda_mm_fusion_args_devicePfi15HIP_vector_typeIjLj3EEiiiSB_iiiSB_iiii ; -- Begin function _ZL13mul_mat_vec_fI6__halffLi3ELi128ELb0ELb0EEvPKT_PKfPKi31ggml_cuda_mm_fusion_args_devicePfi15HIP_vector_typeIjLj3EEiiiSB_iiiSB_iiii
	.p2align	8
	.type	_ZL13mul_mat_vec_fI6__halffLi3ELi128ELb0ELb0EEvPKT_PKfPKi31ggml_cuda_mm_fusion_args_devicePfi15HIP_vector_typeIjLj3EEiiiSB_iiiSB_iiii,@function
_ZL13mul_mat_vec_fI6__halffLi3ELi128ELb0ELb0EEvPKT_PKfPKi31ggml_cuda_mm_fusion_args_devicePfi15HIP_vector_typeIjLj3EEiiiSB_iiiSB_iiii: ; @_ZL13mul_mat_vec_fI6__halffLi3ELi128ELb0ELb0EEvPKT_PKfPKi31ggml_cuda_mm_fusion_args_devicePfi15HIP_vector_typeIjLj3EEiiiSB_iiiSB_iiii
; %bb.0:
	s_clause 0x2
	s_load_dwordx2 s[0:1], s[4:5], 0x10
	s_load_dwordx8 s[12:19], s[4:5], 0x40
	s_load_dwordx4 s[20:23], s[4:5], 0x80
	s_waitcnt lgkmcnt(0)
	s_cmp_eq_u64 s[0:1], 0
	s_cselect_b32 s10, -1, 0
	s_cmp_lg_u64 s[0:1], 0
	s_cselect_b32 s9, -1, 0
	s_and_b32 vcc_lo, exec_lo, s10
	s_cbranch_vccnz .LBB219_2
; %bb.1:
	s_mul_i32 s2, s23, s8
	s_mov_b32 s3, 0
	s_add_i32 s2, s2, s7
	s_lshl_b64 s[24:25], s[2:3], 2
	s_add_u32 s0, s0, s24
	s_addc_u32 s1, s1, s25
	s_load_dword s19, s[0:1], 0x0
	s_cbranch_execz .LBB219_3
	s_branch .LBB219_4
.LBB219_2:
                                        ; implicit-def: $sgpr19
.LBB219_3:
	s_load_dwordx2 s[0:1], s[4:5], 0x5c
	s_waitcnt lgkmcnt(0)
	s_mul_hi_u32 s0, s0, s7
	s_add_i32 s0, s7, s0
	s_lshr_b32 s19, s0, s1
.LBB219_4:
	s_load_dwordx4 s[24:27], s[4:5], 0x68
	s_andn2_b32 vcc_lo, exec_lo, s9
	s_mov_b32 s23, s7
	s_cbranch_vccnz .LBB219_6
; %bb.5:
	s_mul_hi_u32 s0, s13, s7
	s_add_i32 s0, s7, s0
	s_lshr_b32 s0, s0, s14
	s_mul_i32 s0, s0, s15
	s_sub_i32 s23, s7, s0
.LBB219_6:
	s_load_dword s9, s[4:5], 0x78
	v_cmp_gt_u32_e32 vcc_lo, 32, v0
	v_lshl_add_u32 v5, v0, 2, 0
	s_and_saveexec_b32 s0, vcc_lo
; %bb.7:
	v_mov_b32_e32 v1, 0
	ds_write_b32 v5, v1
; %bb.8:
	s_or_b32 exec_lo, exec_lo, s0
	v_mov_b32_e32 v6, 0
	v_mov_b32_e32 v7, 0
	;; [unrolled: 1-line block ×3, first 2 shown]
	s_and_b32 s0, exec_lo, s10
	s_mov_b32 s11, 0
	s_cselect_b32 s10, s8, 0
	s_mov_b32 s13, exec_lo
	s_waitcnt lgkmcnt(0)
	s_barrier
	buffer_gl0_inv
	v_cmpx_gt_i32_e64 s12, v0
	s_cbranch_execz .LBB219_12
; %bb.9:
	s_load_dwordx4 s[0:3], s[4:5], 0x0
	s_mul_hi_u32 s27, s27, s10
	s_mul_hi_i32 s15, s21, s10
	s_mul_i32 s14, s21, s10
	s_mul_i32 s24, s19, s24
	;; [unrolled: 1-line block ×4, first 2 shown]
	s_add_i32 s16, s10, s27
	s_lshl_b64 s[34:35], s[14:15], 2
	s_ashr_i32 s25, s24, 31
	s_ashr_i32 s29, s28, 31
	;; [unrolled: 1-line block ×3, first 2 shown]
	s_lshr_b32 s9, s16, s9
	s_mov_b32 s8, s17
	s_mul_hi_i32 s21, s9, s20
	s_mul_i32 s20, s9, s20
	v_lshlrev_b32_e32 v2, 3, v0
	v_lshlrev_b32_e32 v1, 2, v0
	v_mov_b32_e32 v8, 0
	v_mov_b32_e32 v9, v0
	s_waitcnt lgkmcnt(0)
	s_add_u32 s14, s2, s34
	s_addc_u32 s15, s3, s35
	s_lshl_b64 s[30:31], s[30:31], 2
	v_mov_b32_e32 v7, 0
	s_add_u32 s14, s14, s30
	s_addc_u32 s15, s15, s31
	s_lshl_b64 s[24:25], s[24:25], 1
	s_ashr_i32 s9, s17, 31
	s_add_i32 s16, s17, s17
	s_lshl_b64 s[20:21], s[20:21], 1
	s_lshl_b64 s[28:29], s[28:29], 1
	s_add_u32 s0, s0, s24
	s_addc_u32 s1, s1, s25
	s_add_u32 s0, s0, s28
	s_addc_u32 s1, s1, s29
	;; [unrolled: 2-line block ×3, first 2 shown]
	s_lshl_b64 s[8:9], s[8:9], 3
	s_add_u32 s2, s2, s30
	s_addc_u32 s3, s3, s31
	s_add_u32 s2, s2, s34
	s_addc_u32 s3, s3, s35
	v_add_co_u32 v3, s2, s2, v2
	v_add_co_ci_u32_e64 v4, null, s3, 0, s2
	v_add_co_u32 v1, s0, s0, v1
	v_add_co_ci_u32_e64 v2, null, s1, 0, s0
	;; [unrolled: 2-line block ×3, first 2 shown]
	v_mov_b32_e32 v6, 0
.LBB219_10:                             ; =>This Inner Loop Header: Depth=1
	v_add_nc_u32_e32 v10, s16, v9
	v_add_co_u32 v12, s0, v3, s8
	v_add_co_ci_u32_e64 v13, null, s9, v4, s0
	v_ashrrev_i32_e32 v11, 31, v10
	v_add_nc_u32_e32 v9, 0x80, v9
	v_lshlrev_b64 v[10:11], 3, v[10:11]
	v_add_co_u32 v10, s0, s14, v10
	v_add_co_ci_u32_e64 v11, null, s15, v11, s0
	global_load_dword v16, v[1:2], off
	s_clause 0x1
	global_load_dwordx2 v[14:15], v[3:4], off offset:-4
	global_load_dwordx2 v[12:13], v[12:13], off offset:-4
	global_load_dwordx2 v[10:11], v[10:11], off
	v_add_co_u32 v1, s0, 0x200, v1
	v_add_co_ci_u32_e64 v2, null, 0, v2, s0
	v_add_co_u32 v3, s0, 0x400, v3
	v_add_co_ci_u32_e64 v4, null, 0, v4, s0
	v_cmp_le_i32_e64 s0, s12, v9
	s_or_b32 s11, s0, s11
	s_waitcnt vmcnt(2)
	v_fma_mix_f32 v8, v14, v16, v8 op_sel_hi:[0,1,0]
	s_waitcnt vmcnt(1)
	v_fma_mix_f32 v7, v12, v16, v7 op_sel_hi:[0,1,0]
	;; [unrolled: 2-line block ×3, first 2 shown]
	v_fma_mix_f32 v8, v15, v16, v8 op_sel:[0,1,0] op_sel_hi:[0,1,0]
	v_fma_mix_f32 v7, v13, v16, v7 op_sel:[0,1,0] op_sel_hi:[0,1,0]
	;; [unrolled: 1-line block ×3, first 2 shown]
	s_andn2_b32 exec_lo, exec_lo, s11
	s_cbranch_execnz .LBB219_10
; %bb.11:
	s_or_b32 exec_lo, exec_lo, s11
.LBB219_12:
	s_or_b32 exec_lo, exec_lo, s13
	v_mbcnt_lo_u32_b32 v2, -1, 0
	v_xor_b32_e32 v1, 16, v2
	v_xor_b32_e32 v3, 8, v2
	v_cmp_gt_i32_e64 s0, 32, v1
	v_cndmask_b32_e64 v1, v2, v1, s0
	v_cmp_gt_i32_e64 s0, 32, v3
	v_lshlrev_b32_e32 v1, 2, v1
	v_cndmask_b32_e64 v3, v2, v3, s0
	ds_bpermute_b32 v4, v1, v8
	v_lshlrev_b32_e32 v3, 2, v3
	s_waitcnt lgkmcnt(0)
	v_add_f32_e32 v8, v8, v4
	v_xor_b32_e32 v4, 4, v2
	ds_bpermute_b32 v9, v3, v8
	v_cmp_gt_i32_e64 s0, 32, v4
	v_cndmask_b32_e64 v4, v2, v4, s0
	v_lshlrev_b32_e32 v4, 2, v4
	s_waitcnt lgkmcnt(0)
	v_add_f32_e32 v9, v8, v9
	v_xor_b32_e32 v8, 2, v2
	ds_bpermute_b32 v10, v4, v9
	v_cmp_gt_i32_e64 s0, 32, v8
	v_cndmask_b32_e64 v8, v2, v8, s0
	;; [unrolled: 7-line block ×3, first 2 shown]
	v_lshlrev_b32_e32 v9, 2, v2
	s_waitcnt lgkmcnt(0)
	v_add_f32_e32 v2, v10, v11
	v_lshrrev_b32_e32 v10, 3, v0
	ds_bpermute_b32 v11, v9, v2
	v_and_b32_e32 v10, 0x7c, v10
	v_add_nc_u32_e32 v10, 0, v10
	s_waitcnt lgkmcnt(0)
	v_add_f32_e32 v2, v2, v11
	ds_write_b32 v10, v2
	s_waitcnt lgkmcnt(0)
	s_barrier
	buffer_gl0_inv
	s_and_saveexec_b32 s0, vcc_lo
	s_cbranch_execz .LBB219_14
; %bb.13:
	ds_read_b32 v2, v5
	s_waitcnt lgkmcnt(0)
	ds_bpermute_b32 v11, v1, v2
	s_waitcnt lgkmcnt(0)
	v_add_f32_e32 v2, v2, v11
	ds_bpermute_b32 v11, v3, v2
	s_waitcnt lgkmcnt(0)
	v_add_f32_e32 v2, v2, v11
	;; [unrolled: 3-line block ×5, first 2 shown]
.LBB219_14:
	s_or_b32 exec_lo, exec_lo, s0
	ds_bpermute_b32 v11, v1, v7
	s_waitcnt lgkmcnt(0)
	s_barrier
	buffer_gl0_inv
	v_add_f32_e32 v7, v7, v11
	ds_bpermute_b32 v11, v3, v7
	s_waitcnt lgkmcnt(0)
	v_add_f32_e32 v7, v7, v11
	ds_bpermute_b32 v11, v4, v7
	s_waitcnt lgkmcnt(0)
	v_add_f32_e32 v7, v7, v11
	ds_bpermute_b32 v11, v8, v7
	s_waitcnt lgkmcnt(0)
	v_add_f32_e32 v7, v7, v11
	ds_bpermute_b32 v11, v9, v7
	s_waitcnt lgkmcnt(0)
	v_add_f32_e32 v7, v7, v11
	ds_write_b32 v10, v7
	s_waitcnt lgkmcnt(0)
	s_barrier
	buffer_gl0_inv
	s_and_saveexec_b32 s0, vcc_lo
	s_cbranch_execz .LBB219_16
; %bb.15:
	ds_read_b32 v7, v5
	s_waitcnt lgkmcnt(0)
	ds_bpermute_b32 v11, v1, v7
	s_waitcnt lgkmcnt(0)
	v_add_f32_e32 v7, v7, v11
	ds_bpermute_b32 v11, v3, v7
	s_waitcnt lgkmcnt(0)
	v_add_f32_e32 v7, v7, v11
	;; [unrolled: 3-line block ×5, first 2 shown]
.LBB219_16:
	s_or_b32 exec_lo, exec_lo, s0
	ds_bpermute_b32 v11, v1, v6
	s_waitcnt lgkmcnt(0)
	s_barrier
	buffer_gl0_inv
	v_add_f32_e32 v6, v6, v11
	ds_bpermute_b32 v11, v3, v6
	s_waitcnt lgkmcnt(0)
	v_add_f32_e32 v6, v6, v11
	ds_bpermute_b32 v11, v4, v6
	s_waitcnt lgkmcnt(0)
	v_add_f32_e32 v6, v6, v11
	ds_bpermute_b32 v11, v8, v6
	s_waitcnt lgkmcnt(0)
	v_add_f32_e32 v6, v6, v11
	ds_bpermute_b32 v11, v9, v6
	s_waitcnt lgkmcnt(0)
	v_add_f32_e32 v6, v6, v11
	ds_write_b32 v10, v6
	s_waitcnt lgkmcnt(0)
	s_barrier
	buffer_gl0_inv
	s_and_saveexec_b32 s0, vcc_lo
	s_cbranch_execz .LBB219_18
; %bb.17:
	ds_read_b32 v5, v5
	s_waitcnt lgkmcnt(0)
	ds_bpermute_b32 v1, v1, v5
	s_waitcnt lgkmcnt(0)
	v_add_f32_e32 v1, v5, v1
	ds_bpermute_b32 v3, v3, v1
	s_waitcnt lgkmcnt(0)
	v_add_f32_e32 v1, v1, v3
	;; [unrolled: 3-line block ×5, first 2 shown]
.LBB219_18:
	s_or_b32 exec_lo, exec_lo, s0
	s_barrier
	buffer_gl0_inv
	s_mov_b32 s0, exec_lo
	v_cmpx_gt_u32_e32 3, v0
	s_cbranch_execz .LBB219_20
; %bb.19:
	s_load_dwordx2 s[0:1], s[4:5], 0x38
	v_mad_u64_u32 v[3:4], null, s18, v0, s[6:7]
	v_cmp_eq_u32_e32 vcc_lo, 1, v0
	s_mul_hi_i32 s3, s22, s10
	s_mul_i32 s2, s22, s10
	s_mul_i32 s4, s26, s7
	s_lshl_b64 s[2:3], s[2:3], 2
	v_cndmask_b32_e32 v5, v2, v7, vcc_lo
	v_ashrrev_i32_e32 v4, 31, v3
	s_ashr_i32 s5, s4, 31
	v_cmp_eq_u32_e32 vcc_lo, 2, v0
	v_lshlrev_b64 v[1:2], 2, v[3:4]
	v_cndmask_b32_e32 v3, v5, v6, vcc_lo
	s_waitcnt lgkmcnt(0)
	s_add_u32 s2, s0, s2
	s_addc_u32 s3, s1, s3
	s_lshl_b64 s[0:1], s[4:5], 2
	s_add_u32 s0, s2, s0
	s_addc_u32 s1, s3, s1
	v_add_co_u32 v0, vcc_lo, s0, v1
	v_add_co_ci_u32_e64 v1, null, s1, v2, vcc_lo
	global_store_dword v[0:1], v3, off
.LBB219_20:
	s_endpgm
	.section	.rodata,"a",@progbits
	.p2align	6, 0x0
	.amdhsa_kernel _ZL13mul_mat_vec_fI6__halffLi3ELi128ELb0ELb0EEvPKT_PKfPKi31ggml_cuda_mm_fusion_args_devicePfi15HIP_vector_typeIjLj3EEiiiSB_iiiSB_iiii
		.amdhsa_group_segment_fixed_size 0
		.amdhsa_private_segment_fixed_size 0
		.amdhsa_kernarg_size 144
		.amdhsa_user_sgpr_count 6
		.amdhsa_user_sgpr_private_segment_buffer 1
		.amdhsa_user_sgpr_dispatch_ptr 0
		.amdhsa_user_sgpr_queue_ptr 0
		.amdhsa_user_sgpr_kernarg_segment_ptr 1
		.amdhsa_user_sgpr_dispatch_id 0
		.amdhsa_user_sgpr_flat_scratch_init 0
		.amdhsa_user_sgpr_private_segment_size 0
		.amdhsa_wavefront_size32 1
		.amdhsa_uses_dynamic_stack 0
		.amdhsa_system_sgpr_private_segment_wavefront_offset 0
		.amdhsa_system_sgpr_workgroup_id_x 1
		.amdhsa_system_sgpr_workgroup_id_y 1
		.amdhsa_system_sgpr_workgroup_id_z 1
		.amdhsa_system_sgpr_workgroup_info 0
		.amdhsa_system_vgpr_workitem_id 0
		.amdhsa_next_free_vgpr 17
		.amdhsa_next_free_sgpr 36
		.amdhsa_reserve_vcc 1
		.amdhsa_reserve_flat_scratch 0
		.amdhsa_float_round_mode_32 0
		.amdhsa_float_round_mode_16_64 0
		.amdhsa_float_denorm_mode_32 3
		.amdhsa_float_denorm_mode_16_64 3
		.amdhsa_dx10_clamp 1
		.amdhsa_ieee_mode 1
		.amdhsa_fp16_overflow 0
		.amdhsa_workgroup_processor_mode 1
		.amdhsa_memory_ordered 1
		.amdhsa_forward_progress 1
		.amdhsa_shared_vgpr_count 0
		.amdhsa_exception_fp_ieee_invalid_op 0
		.amdhsa_exception_fp_denorm_src 0
		.amdhsa_exception_fp_ieee_div_zero 0
		.amdhsa_exception_fp_ieee_overflow 0
		.amdhsa_exception_fp_ieee_underflow 0
		.amdhsa_exception_fp_ieee_inexact 0
		.amdhsa_exception_int_div_zero 0
	.end_amdhsa_kernel
	.section	.text._ZL13mul_mat_vec_fI6__halffLi3ELi128ELb0ELb0EEvPKT_PKfPKi31ggml_cuda_mm_fusion_args_devicePfi15HIP_vector_typeIjLj3EEiiiSB_iiiSB_iiii,"axG",@progbits,_ZL13mul_mat_vec_fI6__halffLi3ELi128ELb0ELb0EEvPKT_PKfPKi31ggml_cuda_mm_fusion_args_devicePfi15HIP_vector_typeIjLj3EEiiiSB_iiiSB_iiii,comdat
.Lfunc_end219:
	.size	_ZL13mul_mat_vec_fI6__halffLi3ELi128ELb0ELb0EEvPKT_PKfPKi31ggml_cuda_mm_fusion_args_devicePfi15HIP_vector_typeIjLj3EEiiiSB_iiiSB_iiii, .Lfunc_end219-_ZL13mul_mat_vec_fI6__halffLi3ELi128ELb0ELb0EEvPKT_PKfPKi31ggml_cuda_mm_fusion_args_devicePfi15HIP_vector_typeIjLj3EEiiiSB_iiiSB_iiii
                                        ; -- End function
	.set _ZL13mul_mat_vec_fI6__halffLi3ELi128ELb0ELb0EEvPKT_PKfPKi31ggml_cuda_mm_fusion_args_devicePfi15HIP_vector_typeIjLj3EEiiiSB_iiiSB_iiii.num_vgpr, 17
	.set _ZL13mul_mat_vec_fI6__halffLi3ELi128ELb0ELb0EEvPKT_PKfPKi31ggml_cuda_mm_fusion_args_devicePfi15HIP_vector_typeIjLj3EEiiiSB_iiiSB_iiii.num_agpr, 0
	.set _ZL13mul_mat_vec_fI6__halffLi3ELi128ELb0ELb0EEvPKT_PKfPKi31ggml_cuda_mm_fusion_args_devicePfi15HIP_vector_typeIjLj3EEiiiSB_iiiSB_iiii.numbered_sgpr, 36
	.set _ZL13mul_mat_vec_fI6__halffLi3ELi128ELb0ELb0EEvPKT_PKfPKi31ggml_cuda_mm_fusion_args_devicePfi15HIP_vector_typeIjLj3EEiiiSB_iiiSB_iiii.num_named_barrier, 0
	.set _ZL13mul_mat_vec_fI6__halffLi3ELi128ELb0ELb0EEvPKT_PKfPKi31ggml_cuda_mm_fusion_args_devicePfi15HIP_vector_typeIjLj3EEiiiSB_iiiSB_iiii.private_seg_size, 0
	.set _ZL13mul_mat_vec_fI6__halffLi3ELi128ELb0ELb0EEvPKT_PKfPKi31ggml_cuda_mm_fusion_args_devicePfi15HIP_vector_typeIjLj3EEiiiSB_iiiSB_iiii.uses_vcc, 1
	.set _ZL13mul_mat_vec_fI6__halffLi3ELi128ELb0ELb0EEvPKT_PKfPKi31ggml_cuda_mm_fusion_args_devicePfi15HIP_vector_typeIjLj3EEiiiSB_iiiSB_iiii.uses_flat_scratch, 0
	.set _ZL13mul_mat_vec_fI6__halffLi3ELi128ELb0ELb0EEvPKT_PKfPKi31ggml_cuda_mm_fusion_args_devicePfi15HIP_vector_typeIjLj3EEiiiSB_iiiSB_iiii.has_dyn_sized_stack, 0
	.set _ZL13mul_mat_vec_fI6__halffLi3ELi128ELb0ELb0EEvPKT_PKfPKi31ggml_cuda_mm_fusion_args_devicePfi15HIP_vector_typeIjLj3EEiiiSB_iiiSB_iiii.has_recursion, 0
	.set _ZL13mul_mat_vec_fI6__halffLi3ELi128ELb0ELb0EEvPKT_PKfPKi31ggml_cuda_mm_fusion_args_devicePfi15HIP_vector_typeIjLj3EEiiiSB_iiiSB_iiii.has_indirect_call, 0
	.section	.AMDGPU.csdata,"",@progbits
; Kernel info:
; codeLenInByte = 1636
; TotalNumSgprs: 38
; NumVgprs: 17
; ScratchSize: 0
; MemoryBound: 0
; FloatMode: 240
; IeeeMode: 1
; LDSByteSize: 0 bytes/workgroup (compile time only)
; SGPRBlocks: 0
; VGPRBlocks: 2
; NumSGPRsForWavesPerEU: 38
; NumVGPRsForWavesPerEU: 17
; Occupancy: 16
; WaveLimiterHint : 0
; COMPUTE_PGM_RSRC2:SCRATCH_EN: 0
; COMPUTE_PGM_RSRC2:USER_SGPR: 6
; COMPUTE_PGM_RSRC2:TRAP_HANDLER: 0
; COMPUTE_PGM_RSRC2:TGID_X_EN: 1
; COMPUTE_PGM_RSRC2:TGID_Y_EN: 1
; COMPUTE_PGM_RSRC2:TGID_Z_EN: 1
; COMPUTE_PGM_RSRC2:TIDIG_COMP_CNT: 0
	.section	.text._ZL13mul_mat_vec_fI6__halffLi3ELi160ELb0ELb0EEvPKT_PKfPKi31ggml_cuda_mm_fusion_args_devicePfi15HIP_vector_typeIjLj3EEiiiSB_iiiSB_iiii,"axG",@progbits,_ZL13mul_mat_vec_fI6__halffLi3ELi160ELb0ELb0EEvPKT_PKfPKi31ggml_cuda_mm_fusion_args_devicePfi15HIP_vector_typeIjLj3EEiiiSB_iiiSB_iiii,comdat
	.globl	_ZL13mul_mat_vec_fI6__halffLi3ELi160ELb0ELb0EEvPKT_PKfPKi31ggml_cuda_mm_fusion_args_devicePfi15HIP_vector_typeIjLj3EEiiiSB_iiiSB_iiii ; -- Begin function _ZL13mul_mat_vec_fI6__halffLi3ELi160ELb0ELb0EEvPKT_PKfPKi31ggml_cuda_mm_fusion_args_devicePfi15HIP_vector_typeIjLj3EEiiiSB_iiiSB_iiii
	.p2align	8
	.type	_ZL13mul_mat_vec_fI6__halffLi3ELi160ELb0ELb0EEvPKT_PKfPKi31ggml_cuda_mm_fusion_args_devicePfi15HIP_vector_typeIjLj3EEiiiSB_iiiSB_iiii,@function
_ZL13mul_mat_vec_fI6__halffLi3ELi160ELb0ELb0EEvPKT_PKfPKi31ggml_cuda_mm_fusion_args_devicePfi15HIP_vector_typeIjLj3EEiiiSB_iiiSB_iiii: ; @_ZL13mul_mat_vec_fI6__halffLi3ELi160ELb0ELb0EEvPKT_PKfPKi31ggml_cuda_mm_fusion_args_devicePfi15HIP_vector_typeIjLj3EEiiiSB_iiiSB_iiii
; %bb.0:
	s_clause 0x2
	s_load_dwordx2 s[0:1], s[4:5], 0x10
	s_load_dwordx8 s[12:19], s[4:5], 0x40
	s_load_dwordx4 s[20:23], s[4:5], 0x80
	s_waitcnt lgkmcnt(0)
	s_cmp_eq_u64 s[0:1], 0
	s_cselect_b32 s10, -1, 0
	s_cmp_lg_u64 s[0:1], 0
	s_cselect_b32 s9, -1, 0
	s_and_b32 vcc_lo, exec_lo, s10
	s_cbranch_vccnz .LBB220_2
; %bb.1:
	s_mul_i32 s2, s23, s8
	s_mov_b32 s3, 0
	s_add_i32 s2, s2, s7
	s_lshl_b64 s[24:25], s[2:3], 2
	s_add_u32 s0, s0, s24
	s_addc_u32 s1, s1, s25
	s_load_dword s19, s[0:1], 0x0
	s_cbranch_execz .LBB220_3
	s_branch .LBB220_4
.LBB220_2:
                                        ; implicit-def: $sgpr19
.LBB220_3:
	s_load_dwordx2 s[0:1], s[4:5], 0x5c
	s_waitcnt lgkmcnt(0)
	s_mul_hi_u32 s0, s0, s7
	s_add_i32 s0, s7, s0
	s_lshr_b32 s19, s0, s1
.LBB220_4:
	s_load_dwordx4 s[24:27], s[4:5], 0x68
	s_andn2_b32 vcc_lo, exec_lo, s9
	s_mov_b32 s23, s7
	s_cbranch_vccnz .LBB220_6
; %bb.5:
	s_mul_hi_u32 s0, s13, s7
	s_add_i32 s0, s7, s0
	s_lshr_b32 s0, s0, s14
	s_mul_i32 s0, s0, s15
	s_sub_i32 s23, s7, s0
.LBB220_6:
	s_load_dword s9, s[4:5], 0x78
	v_cmp_gt_u32_e32 vcc_lo, 32, v0
	v_lshl_add_u32 v5, v0, 2, 0
	s_and_saveexec_b32 s0, vcc_lo
; %bb.7:
	v_mov_b32_e32 v1, 0
	ds_write_b32 v5, v1
; %bb.8:
	s_or_b32 exec_lo, exec_lo, s0
	v_mov_b32_e32 v6, 0
	v_mov_b32_e32 v7, 0
	;; [unrolled: 1-line block ×3, first 2 shown]
	s_and_b32 s0, exec_lo, s10
	s_mov_b32 s11, 0
	s_cselect_b32 s10, s8, 0
	s_mov_b32 s13, exec_lo
	s_waitcnt lgkmcnt(0)
	s_barrier
	buffer_gl0_inv
	v_cmpx_gt_i32_e64 s12, v0
	s_cbranch_execz .LBB220_12
; %bb.9:
	s_load_dwordx4 s[0:3], s[4:5], 0x0
	s_mul_hi_u32 s27, s27, s10
	s_mul_hi_i32 s15, s21, s10
	s_mul_i32 s14, s21, s10
	s_mul_i32 s24, s19, s24
	;; [unrolled: 1-line block ×4, first 2 shown]
	s_add_i32 s16, s10, s27
	s_lshl_b64 s[34:35], s[14:15], 2
	s_ashr_i32 s25, s24, 31
	s_ashr_i32 s29, s28, 31
	;; [unrolled: 1-line block ×3, first 2 shown]
	s_lshr_b32 s9, s16, s9
	s_mov_b32 s8, s17
	s_mul_hi_i32 s21, s9, s20
	s_mul_i32 s20, s9, s20
	v_lshlrev_b32_e32 v2, 3, v0
	v_lshlrev_b32_e32 v1, 2, v0
	v_mov_b32_e32 v8, 0
	v_mov_b32_e32 v9, v0
	s_waitcnt lgkmcnt(0)
	s_add_u32 s14, s2, s34
	s_addc_u32 s15, s3, s35
	s_lshl_b64 s[30:31], s[30:31], 2
	v_mov_b32_e32 v7, 0
	s_add_u32 s14, s14, s30
	s_addc_u32 s15, s15, s31
	s_lshl_b64 s[24:25], s[24:25], 1
	s_ashr_i32 s9, s17, 31
	s_add_i32 s16, s17, s17
	s_lshl_b64 s[20:21], s[20:21], 1
	s_lshl_b64 s[28:29], s[28:29], 1
	s_add_u32 s0, s0, s24
	s_addc_u32 s1, s1, s25
	s_add_u32 s0, s0, s28
	s_addc_u32 s1, s1, s29
	;; [unrolled: 2-line block ×3, first 2 shown]
	s_lshl_b64 s[8:9], s[8:9], 3
	s_add_u32 s2, s2, s30
	s_addc_u32 s3, s3, s31
	s_add_u32 s2, s2, s34
	s_addc_u32 s3, s3, s35
	v_add_co_u32 v3, s2, s2, v2
	v_add_co_ci_u32_e64 v4, null, s3, 0, s2
	v_add_co_u32 v1, s0, s0, v1
	v_add_co_ci_u32_e64 v2, null, s1, 0, s0
	;; [unrolled: 2-line block ×3, first 2 shown]
	v_mov_b32_e32 v6, 0
.LBB220_10:                             ; =>This Inner Loop Header: Depth=1
	v_add_nc_u32_e32 v10, s16, v9
	v_add_co_u32 v12, s0, v3, s8
	v_add_co_ci_u32_e64 v13, null, s9, v4, s0
	v_ashrrev_i32_e32 v11, 31, v10
	v_add_nc_u32_e32 v9, 0xa0, v9
	v_lshlrev_b64 v[10:11], 3, v[10:11]
	v_add_co_u32 v10, s0, s14, v10
	v_add_co_ci_u32_e64 v11, null, s15, v11, s0
	global_load_dword v16, v[1:2], off
	s_clause 0x1
	global_load_dwordx2 v[14:15], v[3:4], off offset:-4
	global_load_dwordx2 v[12:13], v[12:13], off offset:-4
	global_load_dwordx2 v[10:11], v[10:11], off
	v_add_co_u32 v1, s0, 0x280, v1
	v_add_co_ci_u32_e64 v2, null, 0, v2, s0
	v_add_co_u32 v3, s0, 0x500, v3
	v_add_co_ci_u32_e64 v4, null, 0, v4, s0
	v_cmp_le_i32_e64 s0, s12, v9
	s_or_b32 s11, s0, s11
	s_waitcnt vmcnt(2)
	v_fma_mix_f32 v8, v14, v16, v8 op_sel_hi:[0,1,0]
	s_waitcnt vmcnt(1)
	v_fma_mix_f32 v7, v12, v16, v7 op_sel_hi:[0,1,0]
	;; [unrolled: 2-line block ×3, first 2 shown]
	v_fma_mix_f32 v8, v15, v16, v8 op_sel:[0,1,0] op_sel_hi:[0,1,0]
	v_fma_mix_f32 v7, v13, v16, v7 op_sel:[0,1,0] op_sel_hi:[0,1,0]
	v_fma_mix_f32 v6, v11, v16, v6 op_sel:[0,1,0] op_sel_hi:[0,1,0]
	s_andn2_b32 exec_lo, exec_lo, s11
	s_cbranch_execnz .LBB220_10
; %bb.11:
	s_or_b32 exec_lo, exec_lo, s11
.LBB220_12:
	s_or_b32 exec_lo, exec_lo, s13
	v_mbcnt_lo_u32_b32 v2, -1, 0
	v_xor_b32_e32 v1, 16, v2
	v_xor_b32_e32 v3, 8, v2
	v_cmp_gt_i32_e64 s0, 32, v1
	v_cndmask_b32_e64 v1, v2, v1, s0
	v_cmp_gt_i32_e64 s0, 32, v3
	v_lshlrev_b32_e32 v1, 2, v1
	v_cndmask_b32_e64 v3, v2, v3, s0
	ds_bpermute_b32 v4, v1, v8
	v_lshlrev_b32_e32 v3, 2, v3
	s_waitcnt lgkmcnt(0)
	v_add_f32_e32 v8, v8, v4
	v_xor_b32_e32 v4, 4, v2
	ds_bpermute_b32 v9, v3, v8
	v_cmp_gt_i32_e64 s0, 32, v4
	v_cndmask_b32_e64 v4, v2, v4, s0
	v_lshlrev_b32_e32 v4, 2, v4
	s_waitcnt lgkmcnt(0)
	v_add_f32_e32 v9, v8, v9
	v_xor_b32_e32 v8, 2, v2
	ds_bpermute_b32 v10, v4, v9
	v_cmp_gt_i32_e64 s0, 32, v8
	v_cndmask_b32_e64 v8, v2, v8, s0
	;; [unrolled: 7-line block ×3, first 2 shown]
	v_lshlrev_b32_e32 v9, 2, v2
	s_waitcnt lgkmcnt(0)
	v_add_f32_e32 v2, v10, v11
	v_lshrrev_b32_e32 v10, 3, v0
	ds_bpermute_b32 v11, v9, v2
	v_and_b32_e32 v10, 0x7c, v10
	v_add_nc_u32_e32 v10, 0, v10
	s_waitcnt lgkmcnt(0)
	v_add_f32_e32 v2, v2, v11
	ds_write_b32 v10, v2
	s_waitcnt lgkmcnt(0)
	s_barrier
	buffer_gl0_inv
	s_and_saveexec_b32 s0, vcc_lo
	s_cbranch_execz .LBB220_14
; %bb.13:
	ds_read_b32 v2, v5
	s_waitcnt lgkmcnt(0)
	ds_bpermute_b32 v11, v1, v2
	s_waitcnt lgkmcnt(0)
	v_add_f32_e32 v2, v2, v11
	ds_bpermute_b32 v11, v3, v2
	s_waitcnt lgkmcnt(0)
	v_add_f32_e32 v2, v2, v11
	;; [unrolled: 3-line block ×5, first 2 shown]
.LBB220_14:
	s_or_b32 exec_lo, exec_lo, s0
	ds_bpermute_b32 v11, v1, v7
	s_waitcnt lgkmcnt(0)
	s_barrier
	buffer_gl0_inv
	v_add_f32_e32 v7, v7, v11
	ds_bpermute_b32 v11, v3, v7
	s_waitcnt lgkmcnt(0)
	v_add_f32_e32 v7, v7, v11
	ds_bpermute_b32 v11, v4, v7
	s_waitcnt lgkmcnt(0)
	;; [unrolled: 3-line block ×4, first 2 shown]
	v_add_f32_e32 v7, v7, v11
	ds_write_b32 v10, v7
	s_waitcnt lgkmcnt(0)
	s_barrier
	buffer_gl0_inv
	s_and_saveexec_b32 s0, vcc_lo
	s_cbranch_execz .LBB220_16
; %bb.15:
	ds_read_b32 v7, v5
	s_waitcnt lgkmcnt(0)
	ds_bpermute_b32 v11, v1, v7
	s_waitcnt lgkmcnt(0)
	v_add_f32_e32 v7, v7, v11
	ds_bpermute_b32 v11, v3, v7
	s_waitcnt lgkmcnt(0)
	v_add_f32_e32 v7, v7, v11
	;; [unrolled: 3-line block ×5, first 2 shown]
.LBB220_16:
	s_or_b32 exec_lo, exec_lo, s0
	ds_bpermute_b32 v11, v1, v6
	s_waitcnt lgkmcnt(0)
	s_barrier
	buffer_gl0_inv
	v_add_f32_e32 v6, v6, v11
	ds_bpermute_b32 v11, v3, v6
	s_waitcnt lgkmcnt(0)
	v_add_f32_e32 v6, v6, v11
	ds_bpermute_b32 v11, v4, v6
	s_waitcnt lgkmcnt(0)
	;; [unrolled: 3-line block ×4, first 2 shown]
	v_add_f32_e32 v6, v6, v11
	ds_write_b32 v10, v6
	s_waitcnt lgkmcnt(0)
	s_barrier
	buffer_gl0_inv
	s_and_saveexec_b32 s0, vcc_lo
	s_cbranch_execz .LBB220_18
; %bb.17:
	ds_read_b32 v5, v5
	s_waitcnt lgkmcnt(0)
	ds_bpermute_b32 v1, v1, v5
	s_waitcnt lgkmcnt(0)
	v_add_f32_e32 v1, v5, v1
	ds_bpermute_b32 v3, v3, v1
	s_waitcnt lgkmcnt(0)
	v_add_f32_e32 v1, v1, v3
	;; [unrolled: 3-line block ×5, first 2 shown]
.LBB220_18:
	s_or_b32 exec_lo, exec_lo, s0
	s_barrier
	buffer_gl0_inv
	s_mov_b32 s0, exec_lo
	v_cmpx_gt_u32_e32 3, v0
	s_cbranch_execz .LBB220_20
; %bb.19:
	s_load_dwordx2 s[0:1], s[4:5], 0x38
	v_mad_u64_u32 v[3:4], null, s18, v0, s[6:7]
	v_cmp_eq_u32_e32 vcc_lo, 1, v0
	s_mul_hi_i32 s3, s22, s10
	s_mul_i32 s2, s22, s10
	s_mul_i32 s4, s26, s7
	s_lshl_b64 s[2:3], s[2:3], 2
	v_cndmask_b32_e32 v5, v2, v7, vcc_lo
	v_ashrrev_i32_e32 v4, 31, v3
	s_ashr_i32 s5, s4, 31
	v_cmp_eq_u32_e32 vcc_lo, 2, v0
	v_lshlrev_b64 v[1:2], 2, v[3:4]
	v_cndmask_b32_e32 v3, v5, v6, vcc_lo
	s_waitcnt lgkmcnt(0)
	s_add_u32 s2, s0, s2
	s_addc_u32 s3, s1, s3
	s_lshl_b64 s[0:1], s[4:5], 2
	s_add_u32 s0, s2, s0
	s_addc_u32 s1, s3, s1
	v_add_co_u32 v0, vcc_lo, s0, v1
	v_add_co_ci_u32_e64 v1, null, s1, v2, vcc_lo
	global_store_dword v[0:1], v3, off
.LBB220_20:
	s_endpgm
	.section	.rodata,"a",@progbits
	.p2align	6, 0x0
	.amdhsa_kernel _ZL13mul_mat_vec_fI6__halffLi3ELi160ELb0ELb0EEvPKT_PKfPKi31ggml_cuda_mm_fusion_args_devicePfi15HIP_vector_typeIjLj3EEiiiSB_iiiSB_iiii
		.amdhsa_group_segment_fixed_size 0
		.amdhsa_private_segment_fixed_size 0
		.amdhsa_kernarg_size 144
		.amdhsa_user_sgpr_count 6
		.amdhsa_user_sgpr_private_segment_buffer 1
		.amdhsa_user_sgpr_dispatch_ptr 0
		.amdhsa_user_sgpr_queue_ptr 0
		.amdhsa_user_sgpr_kernarg_segment_ptr 1
		.amdhsa_user_sgpr_dispatch_id 0
		.amdhsa_user_sgpr_flat_scratch_init 0
		.amdhsa_user_sgpr_private_segment_size 0
		.amdhsa_wavefront_size32 1
		.amdhsa_uses_dynamic_stack 0
		.amdhsa_system_sgpr_private_segment_wavefront_offset 0
		.amdhsa_system_sgpr_workgroup_id_x 1
		.amdhsa_system_sgpr_workgroup_id_y 1
		.amdhsa_system_sgpr_workgroup_id_z 1
		.amdhsa_system_sgpr_workgroup_info 0
		.amdhsa_system_vgpr_workitem_id 0
		.amdhsa_next_free_vgpr 17
		.amdhsa_next_free_sgpr 36
		.amdhsa_reserve_vcc 1
		.amdhsa_reserve_flat_scratch 0
		.amdhsa_float_round_mode_32 0
		.amdhsa_float_round_mode_16_64 0
		.amdhsa_float_denorm_mode_32 3
		.amdhsa_float_denorm_mode_16_64 3
		.amdhsa_dx10_clamp 1
		.amdhsa_ieee_mode 1
		.amdhsa_fp16_overflow 0
		.amdhsa_workgroup_processor_mode 1
		.amdhsa_memory_ordered 1
		.amdhsa_forward_progress 1
		.amdhsa_shared_vgpr_count 0
		.amdhsa_exception_fp_ieee_invalid_op 0
		.amdhsa_exception_fp_denorm_src 0
		.amdhsa_exception_fp_ieee_div_zero 0
		.amdhsa_exception_fp_ieee_overflow 0
		.amdhsa_exception_fp_ieee_underflow 0
		.amdhsa_exception_fp_ieee_inexact 0
		.amdhsa_exception_int_div_zero 0
	.end_amdhsa_kernel
	.section	.text._ZL13mul_mat_vec_fI6__halffLi3ELi160ELb0ELb0EEvPKT_PKfPKi31ggml_cuda_mm_fusion_args_devicePfi15HIP_vector_typeIjLj3EEiiiSB_iiiSB_iiii,"axG",@progbits,_ZL13mul_mat_vec_fI6__halffLi3ELi160ELb0ELb0EEvPKT_PKfPKi31ggml_cuda_mm_fusion_args_devicePfi15HIP_vector_typeIjLj3EEiiiSB_iiiSB_iiii,comdat
.Lfunc_end220:
	.size	_ZL13mul_mat_vec_fI6__halffLi3ELi160ELb0ELb0EEvPKT_PKfPKi31ggml_cuda_mm_fusion_args_devicePfi15HIP_vector_typeIjLj3EEiiiSB_iiiSB_iiii, .Lfunc_end220-_ZL13mul_mat_vec_fI6__halffLi3ELi160ELb0ELb0EEvPKT_PKfPKi31ggml_cuda_mm_fusion_args_devicePfi15HIP_vector_typeIjLj3EEiiiSB_iiiSB_iiii
                                        ; -- End function
	.set _ZL13mul_mat_vec_fI6__halffLi3ELi160ELb0ELb0EEvPKT_PKfPKi31ggml_cuda_mm_fusion_args_devicePfi15HIP_vector_typeIjLj3EEiiiSB_iiiSB_iiii.num_vgpr, 17
	.set _ZL13mul_mat_vec_fI6__halffLi3ELi160ELb0ELb0EEvPKT_PKfPKi31ggml_cuda_mm_fusion_args_devicePfi15HIP_vector_typeIjLj3EEiiiSB_iiiSB_iiii.num_agpr, 0
	.set _ZL13mul_mat_vec_fI6__halffLi3ELi160ELb0ELb0EEvPKT_PKfPKi31ggml_cuda_mm_fusion_args_devicePfi15HIP_vector_typeIjLj3EEiiiSB_iiiSB_iiii.numbered_sgpr, 36
	.set _ZL13mul_mat_vec_fI6__halffLi3ELi160ELb0ELb0EEvPKT_PKfPKi31ggml_cuda_mm_fusion_args_devicePfi15HIP_vector_typeIjLj3EEiiiSB_iiiSB_iiii.num_named_barrier, 0
	.set _ZL13mul_mat_vec_fI6__halffLi3ELi160ELb0ELb0EEvPKT_PKfPKi31ggml_cuda_mm_fusion_args_devicePfi15HIP_vector_typeIjLj3EEiiiSB_iiiSB_iiii.private_seg_size, 0
	.set _ZL13mul_mat_vec_fI6__halffLi3ELi160ELb0ELb0EEvPKT_PKfPKi31ggml_cuda_mm_fusion_args_devicePfi15HIP_vector_typeIjLj3EEiiiSB_iiiSB_iiii.uses_vcc, 1
	.set _ZL13mul_mat_vec_fI6__halffLi3ELi160ELb0ELb0EEvPKT_PKfPKi31ggml_cuda_mm_fusion_args_devicePfi15HIP_vector_typeIjLj3EEiiiSB_iiiSB_iiii.uses_flat_scratch, 0
	.set _ZL13mul_mat_vec_fI6__halffLi3ELi160ELb0ELb0EEvPKT_PKfPKi31ggml_cuda_mm_fusion_args_devicePfi15HIP_vector_typeIjLj3EEiiiSB_iiiSB_iiii.has_dyn_sized_stack, 0
	.set _ZL13mul_mat_vec_fI6__halffLi3ELi160ELb0ELb0EEvPKT_PKfPKi31ggml_cuda_mm_fusion_args_devicePfi15HIP_vector_typeIjLj3EEiiiSB_iiiSB_iiii.has_recursion, 0
	.set _ZL13mul_mat_vec_fI6__halffLi3ELi160ELb0ELb0EEvPKT_PKfPKi31ggml_cuda_mm_fusion_args_devicePfi15HIP_vector_typeIjLj3EEiiiSB_iiiSB_iiii.has_indirect_call, 0
	.section	.AMDGPU.csdata,"",@progbits
; Kernel info:
; codeLenInByte = 1636
; TotalNumSgprs: 38
; NumVgprs: 17
; ScratchSize: 0
; MemoryBound: 0
; FloatMode: 240
; IeeeMode: 1
; LDSByteSize: 0 bytes/workgroup (compile time only)
; SGPRBlocks: 0
; VGPRBlocks: 2
; NumSGPRsForWavesPerEU: 38
; NumVGPRsForWavesPerEU: 17
; Occupancy: 16
; WaveLimiterHint : 0
; COMPUTE_PGM_RSRC2:SCRATCH_EN: 0
; COMPUTE_PGM_RSRC2:USER_SGPR: 6
; COMPUTE_PGM_RSRC2:TRAP_HANDLER: 0
; COMPUTE_PGM_RSRC2:TGID_X_EN: 1
; COMPUTE_PGM_RSRC2:TGID_Y_EN: 1
; COMPUTE_PGM_RSRC2:TGID_Z_EN: 1
; COMPUTE_PGM_RSRC2:TIDIG_COMP_CNT: 0
	.section	.text._ZL13mul_mat_vec_fI6__halffLi3ELi192ELb0ELb0EEvPKT_PKfPKi31ggml_cuda_mm_fusion_args_devicePfi15HIP_vector_typeIjLj3EEiiiSB_iiiSB_iiii,"axG",@progbits,_ZL13mul_mat_vec_fI6__halffLi3ELi192ELb0ELb0EEvPKT_PKfPKi31ggml_cuda_mm_fusion_args_devicePfi15HIP_vector_typeIjLj3EEiiiSB_iiiSB_iiii,comdat
	.globl	_ZL13mul_mat_vec_fI6__halffLi3ELi192ELb0ELb0EEvPKT_PKfPKi31ggml_cuda_mm_fusion_args_devicePfi15HIP_vector_typeIjLj3EEiiiSB_iiiSB_iiii ; -- Begin function _ZL13mul_mat_vec_fI6__halffLi3ELi192ELb0ELb0EEvPKT_PKfPKi31ggml_cuda_mm_fusion_args_devicePfi15HIP_vector_typeIjLj3EEiiiSB_iiiSB_iiii
	.p2align	8
	.type	_ZL13mul_mat_vec_fI6__halffLi3ELi192ELb0ELb0EEvPKT_PKfPKi31ggml_cuda_mm_fusion_args_devicePfi15HIP_vector_typeIjLj3EEiiiSB_iiiSB_iiii,@function
_ZL13mul_mat_vec_fI6__halffLi3ELi192ELb0ELb0EEvPKT_PKfPKi31ggml_cuda_mm_fusion_args_devicePfi15HIP_vector_typeIjLj3EEiiiSB_iiiSB_iiii: ; @_ZL13mul_mat_vec_fI6__halffLi3ELi192ELb0ELb0EEvPKT_PKfPKi31ggml_cuda_mm_fusion_args_devicePfi15HIP_vector_typeIjLj3EEiiiSB_iiiSB_iiii
; %bb.0:
	s_clause 0x2
	s_load_dwordx2 s[0:1], s[4:5], 0x10
	s_load_dwordx8 s[12:19], s[4:5], 0x40
	s_load_dwordx4 s[20:23], s[4:5], 0x80
	s_waitcnt lgkmcnt(0)
	s_cmp_eq_u64 s[0:1], 0
	s_cselect_b32 s10, -1, 0
	s_cmp_lg_u64 s[0:1], 0
	s_cselect_b32 s9, -1, 0
	s_and_b32 vcc_lo, exec_lo, s10
	s_cbranch_vccnz .LBB221_2
; %bb.1:
	s_mul_i32 s2, s23, s8
	s_mov_b32 s3, 0
	s_add_i32 s2, s2, s7
	s_lshl_b64 s[24:25], s[2:3], 2
	s_add_u32 s0, s0, s24
	s_addc_u32 s1, s1, s25
	s_load_dword s19, s[0:1], 0x0
	s_cbranch_execz .LBB221_3
	s_branch .LBB221_4
.LBB221_2:
                                        ; implicit-def: $sgpr19
.LBB221_3:
	s_load_dwordx2 s[0:1], s[4:5], 0x5c
	s_waitcnt lgkmcnt(0)
	s_mul_hi_u32 s0, s0, s7
	s_add_i32 s0, s7, s0
	s_lshr_b32 s19, s0, s1
.LBB221_4:
	s_load_dwordx4 s[24:27], s[4:5], 0x68
	s_andn2_b32 vcc_lo, exec_lo, s9
	s_mov_b32 s23, s7
	s_cbranch_vccnz .LBB221_6
; %bb.5:
	s_mul_hi_u32 s0, s13, s7
	s_add_i32 s0, s7, s0
	s_lshr_b32 s0, s0, s14
	s_mul_i32 s0, s0, s15
	s_sub_i32 s23, s7, s0
.LBB221_6:
	s_load_dword s9, s[4:5], 0x78
	v_cmp_gt_u32_e32 vcc_lo, 32, v0
	v_lshl_add_u32 v5, v0, 2, 0
	s_and_saveexec_b32 s0, vcc_lo
; %bb.7:
	v_mov_b32_e32 v1, 0
	ds_write_b32 v5, v1
; %bb.8:
	s_or_b32 exec_lo, exec_lo, s0
	v_mov_b32_e32 v6, 0
	v_mov_b32_e32 v7, 0
	;; [unrolled: 1-line block ×3, first 2 shown]
	s_and_b32 s0, exec_lo, s10
	s_mov_b32 s11, 0
	s_cselect_b32 s10, s8, 0
	s_mov_b32 s13, exec_lo
	s_waitcnt lgkmcnt(0)
	s_barrier
	buffer_gl0_inv
	v_cmpx_gt_i32_e64 s12, v0
	s_cbranch_execz .LBB221_12
; %bb.9:
	s_load_dwordx4 s[0:3], s[4:5], 0x0
	s_mul_hi_u32 s27, s27, s10
	s_mul_hi_i32 s15, s21, s10
	s_mul_i32 s14, s21, s10
	s_mul_i32 s24, s19, s24
	;; [unrolled: 1-line block ×4, first 2 shown]
	s_add_i32 s16, s10, s27
	s_lshl_b64 s[34:35], s[14:15], 2
	s_ashr_i32 s25, s24, 31
	s_ashr_i32 s29, s28, 31
	;; [unrolled: 1-line block ×3, first 2 shown]
	s_lshr_b32 s9, s16, s9
	s_mov_b32 s8, s17
	s_mul_hi_i32 s21, s9, s20
	s_mul_i32 s20, s9, s20
	v_lshlrev_b32_e32 v2, 3, v0
	v_lshlrev_b32_e32 v1, 2, v0
	v_mov_b32_e32 v8, 0
	v_mov_b32_e32 v9, v0
	s_waitcnt lgkmcnt(0)
	s_add_u32 s14, s2, s34
	s_addc_u32 s15, s3, s35
	s_lshl_b64 s[30:31], s[30:31], 2
	v_mov_b32_e32 v7, 0
	s_add_u32 s14, s14, s30
	s_addc_u32 s15, s15, s31
	s_lshl_b64 s[24:25], s[24:25], 1
	s_ashr_i32 s9, s17, 31
	s_add_i32 s16, s17, s17
	s_lshl_b64 s[20:21], s[20:21], 1
	s_lshl_b64 s[28:29], s[28:29], 1
	s_add_u32 s0, s0, s24
	s_addc_u32 s1, s1, s25
	s_add_u32 s0, s0, s28
	s_addc_u32 s1, s1, s29
	s_add_u32 s0, s0, s20
	s_addc_u32 s1, s1, s21
	s_lshl_b64 s[8:9], s[8:9], 3
	s_add_u32 s2, s2, s30
	s_addc_u32 s3, s3, s31
	s_add_u32 s2, s2, s34
	s_addc_u32 s3, s3, s35
	v_add_co_u32 v3, s2, s2, v2
	v_add_co_ci_u32_e64 v4, null, s3, 0, s2
	v_add_co_u32 v1, s0, s0, v1
	v_add_co_ci_u32_e64 v2, null, s1, 0, s0
	;; [unrolled: 2-line block ×3, first 2 shown]
	v_mov_b32_e32 v6, 0
.LBB221_10:                             ; =>This Inner Loop Header: Depth=1
	v_add_nc_u32_e32 v10, s16, v9
	v_add_co_u32 v12, s0, v3, s8
	v_add_co_ci_u32_e64 v13, null, s9, v4, s0
	v_ashrrev_i32_e32 v11, 31, v10
	v_add_nc_u32_e32 v9, 0xc0, v9
	v_lshlrev_b64 v[10:11], 3, v[10:11]
	v_add_co_u32 v10, s0, s14, v10
	v_add_co_ci_u32_e64 v11, null, s15, v11, s0
	global_load_dword v16, v[1:2], off
	s_clause 0x1
	global_load_dwordx2 v[14:15], v[3:4], off offset:-4
	global_load_dwordx2 v[12:13], v[12:13], off offset:-4
	global_load_dwordx2 v[10:11], v[10:11], off
	v_add_co_u32 v1, s0, 0x300, v1
	v_add_co_ci_u32_e64 v2, null, 0, v2, s0
	v_add_co_u32 v3, s0, 0x600, v3
	v_add_co_ci_u32_e64 v4, null, 0, v4, s0
	v_cmp_le_i32_e64 s0, s12, v9
	s_or_b32 s11, s0, s11
	s_waitcnt vmcnt(2)
	v_fma_mix_f32 v8, v14, v16, v8 op_sel_hi:[0,1,0]
	s_waitcnt vmcnt(1)
	v_fma_mix_f32 v7, v12, v16, v7 op_sel_hi:[0,1,0]
	;; [unrolled: 2-line block ×3, first 2 shown]
	v_fma_mix_f32 v8, v15, v16, v8 op_sel:[0,1,0] op_sel_hi:[0,1,0]
	v_fma_mix_f32 v7, v13, v16, v7 op_sel:[0,1,0] op_sel_hi:[0,1,0]
	;; [unrolled: 1-line block ×3, first 2 shown]
	s_andn2_b32 exec_lo, exec_lo, s11
	s_cbranch_execnz .LBB221_10
; %bb.11:
	s_or_b32 exec_lo, exec_lo, s11
.LBB221_12:
	s_or_b32 exec_lo, exec_lo, s13
	v_mbcnt_lo_u32_b32 v2, -1, 0
	v_xor_b32_e32 v1, 16, v2
	v_xor_b32_e32 v3, 8, v2
	v_cmp_gt_i32_e64 s0, 32, v1
	v_cndmask_b32_e64 v1, v2, v1, s0
	v_cmp_gt_i32_e64 s0, 32, v3
	v_lshlrev_b32_e32 v1, 2, v1
	v_cndmask_b32_e64 v3, v2, v3, s0
	ds_bpermute_b32 v4, v1, v8
	v_lshlrev_b32_e32 v3, 2, v3
	s_waitcnt lgkmcnt(0)
	v_add_f32_e32 v8, v8, v4
	v_xor_b32_e32 v4, 4, v2
	ds_bpermute_b32 v9, v3, v8
	v_cmp_gt_i32_e64 s0, 32, v4
	v_cndmask_b32_e64 v4, v2, v4, s0
	v_lshlrev_b32_e32 v4, 2, v4
	s_waitcnt lgkmcnt(0)
	v_add_f32_e32 v9, v8, v9
	v_xor_b32_e32 v8, 2, v2
	ds_bpermute_b32 v10, v4, v9
	v_cmp_gt_i32_e64 s0, 32, v8
	v_cndmask_b32_e64 v8, v2, v8, s0
	;; [unrolled: 7-line block ×3, first 2 shown]
	v_lshlrev_b32_e32 v9, 2, v2
	s_waitcnt lgkmcnt(0)
	v_add_f32_e32 v2, v10, v11
	v_lshrrev_b32_e32 v10, 3, v0
	ds_bpermute_b32 v11, v9, v2
	v_and_b32_e32 v10, 0x7c, v10
	v_add_nc_u32_e32 v10, 0, v10
	s_waitcnt lgkmcnt(0)
	v_add_f32_e32 v2, v2, v11
	ds_write_b32 v10, v2
	s_waitcnt lgkmcnt(0)
	s_barrier
	buffer_gl0_inv
	s_and_saveexec_b32 s0, vcc_lo
	s_cbranch_execz .LBB221_14
; %bb.13:
	ds_read_b32 v2, v5
	s_waitcnt lgkmcnt(0)
	ds_bpermute_b32 v11, v1, v2
	s_waitcnt lgkmcnt(0)
	v_add_f32_e32 v2, v2, v11
	ds_bpermute_b32 v11, v3, v2
	s_waitcnt lgkmcnt(0)
	v_add_f32_e32 v2, v2, v11
	ds_bpermute_b32 v11, v4, v2
	s_waitcnt lgkmcnt(0)
	v_add_f32_e32 v2, v2, v11
	ds_bpermute_b32 v11, v8, v2
	s_waitcnt lgkmcnt(0)
	v_add_f32_e32 v2, v2, v11
	ds_bpermute_b32 v11, v9, v2
	s_waitcnt lgkmcnt(0)
	v_add_f32_e32 v2, v2, v11
.LBB221_14:
	s_or_b32 exec_lo, exec_lo, s0
	ds_bpermute_b32 v11, v1, v7
	s_waitcnt lgkmcnt(0)
	s_barrier
	buffer_gl0_inv
	v_add_f32_e32 v7, v7, v11
	ds_bpermute_b32 v11, v3, v7
	s_waitcnt lgkmcnt(0)
	v_add_f32_e32 v7, v7, v11
	ds_bpermute_b32 v11, v4, v7
	s_waitcnt lgkmcnt(0)
	;; [unrolled: 3-line block ×4, first 2 shown]
	v_add_f32_e32 v7, v7, v11
	ds_write_b32 v10, v7
	s_waitcnt lgkmcnt(0)
	s_barrier
	buffer_gl0_inv
	s_and_saveexec_b32 s0, vcc_lo
	s_cbranch_execz .LBB221_16
; %bb.15:
	ds_read_b32 v7, v5
	s_waitcnt lgkmcnt(0)
	ds_bpermute_b32 v11, v1, v7
	s_waitcnt lgkmcnt(0)
	v_add_f32_e32 v7, v7, v11
	ds_bpermute_b32 v11, v3, v7
	s_waitcnt lgkmcnt(0)
	v_add_f32_e32 v7, v7, v11
	;; [unrolled: 3-line block ×5, first 2 shown]
.LBB221_16:
	s_or_b32 exec_lo, exec_lo, s0
	ds_bpermute_b32 v11, v1, v6
	s_waitcnt lgkmcnt(0)
	s_barrier
	buffer_gl0_inv
	v_add_f32_e32 v6, v6, v11
	ds_bpermute_b32 v11, v3, v6
	s_waitcnt lgkmcnt(0)
	v_add_f32_e32 v6, v6, v11
	ds_bpermute_b32 v11, v4, v6
	s_waitcnt lgkmcnt(0)
	;; [unrolled: 3-line block ×4, first 2 shown]
	v_add_f32_e32 v6, v6, v11
	ds_write_b32 v10, v6
	s_waitcnt lgkmcnt(0)
	s_barrier
	buffer_gl0_inv
	s_and_saveexec_b32 s0, vcc_lo
	s_cbranch_execz .LBB221_18
; %bb.17:
	ds_read_b32 v5, v5
	s_waitcnt lgkmcnt(0)
	ds_bpermute_b32 v1, v1, v5
	s_waitcnt lgkmcnt(0)
	v_add_f32_e32 v1, v5, v1
	ds_bpermute_b32 v3, v3, v1
	s_waitcnt lgkmcnt(0)
	v_add_f32_e32 v1, v1, v3
	ds_bpermute_b32 v3, v4, v1
	s_waitcnt lgkmcnt(0)
	v_add_f32_e32 v1, v1, v3
	ds_bpermute_b32 v3, v8, v1
	s_waitcnt lgkmcnt(0)
	v_add_f32_e32 v1, v1, v3
	ds_bpermute_b32 v3, v9, v1
	s_waitcnt lgkmcnt(0)
	v_add_f32_e32 v6, v1, v3
.LBB221_18:
	s_or_b32 exec_lo, exec_lo, s0
	s_barrier
	buffer_gl0_inv
	s_mov_b32 s0, exec_lo
	v_cmpx_gt_u32_e32 3, v0
	s_cbranch_execz .LBB221_20
; %bb.19:
	s_load_dwordx2 s[0:1], s[4:5], 0x38
	v_mad_u64_u32 v[3:4], null, s18, v0, s[6:7]
	v_cmp_eq_u32_e32 vcc_lo, 1, v0
	s_mul_hi_i32 s3, s22, s10
	s_mul_i32 s2, s22, s10
	s_mul_i32 s4, s26, s7
	s_lshl_b64 s[2:3], s[2:3], 2
	v_cndmask_b32_e32 v5, v2, v7, vcc_lo
	v_ashrrev_i32_e32 v4, 31, v3
	s_ashr_i32 s5, s4, 31
	v_cmp_eq_u32_e32 vcc_lo, 2, v0
	v_lshlrev_b64 v[1:2], 2, v[3:4]
	v_cndmask_b32_e32 v3, v5, v6, vcc_lo
	s_waitcnt lgkmcnt(0)
	s_add_u32 s2, s0, s2
	s_addc_u32 s3, s1, s3
	s_lshl_b64 s[0:1], s[4:5], 2
	s_add_u32 s0, s2, s0
	s_addc_u32 s1, s3, s1
	v_add_co_u32 v0, vcc_lo, s0, v1
	v_add_co_ci_u32_e64 v1, null, s1, v2, vcc_lo
	global_store_dword v[0:1], v3, off
.LBB221_20:
	s_endpgm
	.section	.rodata,"a",@progbits
	.p2align	6, 0x0
	.amdhsa_kernel _ZL13mul_mat_vec_fI6__halffLi3ELi192ELb0ELb0EEvPKT_PKfPKi31ggml_cuda_mm_fusion_args_devicePfi15HIP_vector_typeIjLj3EEiiiSB_iiiSB_iiii
		.amdhsa_group_segment_fixed_size 0
		.amdhsa_private_segment_fixed_size 0
		.amdhsa_kernarg_size 144
		.amdhsa_user_sgpr_count 6
		.amdhsa_user_sgpr_private_segment_buffer 1
		.amdhsa_user_sgpr_dispatch_ptr 0
		.amdhsa_user_sgpr_queue_ptr 0
		.amdhsa_user_sgpr_kernarg_segment_ptr 1
		.amdhsa_user_sgpr_dispatch_id 0
		.amdhsa_user_sgpr_flat_scratch_init 0
		.amdhsa_user_sgpr_private_segment_size 0
		.amdhsa_wavefront_size32 1
		.amdhsa_uses_dynamic_stack 0
		.amdhsa_system_sgpr_private_segment_wavefront_offset 0
		.amdhsa_system_sgpr_workgroup_id_x 1
		.amdhsa_system_sgpr_workgroup_id_y 1
		.amdhsa_system_sgpr_workgroup_id_z 1
		.amdhsa_system_sgpr_workgroup_info 0
		.amdhsa_system_vgpr_workitem_id 0
		.amdhsa_next_free_vgpr 17
		.amdhsa_next_free_sgpr 36
		.amdhsa_reserve_vcc 1
		.amdhsa_reserve_flat_scratch 0
		.amdhsa_float_round_mode_32 0
		.amdhsa_float_round_mode_16_64 0
		.amdhsa_float_denorm_mode_32 3
		.amdhsa_float_denorm_mode_16_64 3
		.amdhsa_dx10_clamp 1
		.amdhsa_ieee_mode 1
		.amdhsa_fp16_overflow 0
		.amdhsa_workgroup_processor_mode 1
		.amdhsa_memory_ordered 1
		.amdhsa_forward_progress 1
		.amdhsa_shared_vgpr_count 0
		.amdhsa_exception_fp_ieee_invalid_op 0
		.amdhsa_exception_fp_denorm_src 0
		.amdhsa_exception_fp_ieee_div_zero 0
		.amdhsa_exception_fp_ieee_overflow 0
		.amdhsa_exception_fp_ieee_underflow 0
		.amdhsa_exception_fp_ieee_inexact 0
		.amdhsa_exception_int_div_zero 0
	.end_amdhsa_kernel
	.section	.text._ZL13mul_mat_vec_fI6__halffLi3ELi192ELb0ELb0EEvPKT_PKfPKi31ggml_cuda_mm_fusion_args_devicePfi15HIP_vector_typeIjLj3EEiiiSB_iiiSB_iiii,"axG",@progbits,_ZL13mul_mat_vec_fI6__halffLi3ELi192ELb0ELb0EEvPKT_PKfPKi31ggml_cuda_mm_fusion_args_devicePfi15HIP_vector_typeIjLj3EEiiiSB_iiiSB_iiii,comdat
.Lfunc_end221:
	.size	_ZL13mul_mat_vec_fI6__halffLi3ELi192ELb0ELb0EEvPKT_PKfPKi31ggml_cuda_mm_fusion_args_devicePfi15HIP_vector_typeIjLj3EEiiiSB_iiiSB_iiii, .Lfunc_end221-_ZL13mul_mat_vec_fI6__halffLi3ELi192ELb0ELb0EEvPKT_PKfPKi31ggml_cuda_mm_fusion_args_devicePfi15HIP_vector_typeIjLj3EEiiiSB_iiiSB_iiii
                                        ; -- End function
	.set _ZL13mul_mat_vec_fI6__halffLi3ELi192ELb0ELb0EEvPKT_PKfPKi31ggml_cuda_mm_fusion_args_devicePfi15HIP_vector_typeIjLj3EEiiiSB_iiiSB_iiii.num_vgpr, 17
	.set _ZL13mul_mat_vec_fI6__halffLi3ELi192ELb0ELb0EEvPKT_PKfPKi31ggml_cuda_mm_fusion_args_devicePfi15HIP_vector_typeIjLj3EEiiiSB_iiiSB_iiii.num_agpr, 0
	.set _ZL13mul_mat_vec_fI6__halffLi3ELi192ELb0ELb0EEvPKT_PKfPKi31ggml_cuda_mm_fusion_args_devicePfi15HIP_vector_typeIjLj3EEiiiSB_iiiSB_iiii.numbered_sgpr, 36
	.set _ZL13mul_mat_vec_fI6__halffLi3ELi192ELb0ELb0EEvPKT_PKfPKi31ggml_cuda_mm_fusion_args_devicePfi15HIP_vector_typeIjLj3EEiiiSB_iiiSB_iiii.num_named_barrier, 0
	.set _ZL13mul_mat_vec_fI6__halffLi3ELi192ELb0ELb0EEvPKT_PKfPKi31ggml_cuda_mm_fusion_args_devicePfi15HIP_vector_typeIjLj3EEiiiSB_iiiSB_iiii.private_seg_size, 0
	.set _ZL13mul_mat_vec_fI6__halffLi3ELi192ELb0ELb0EEvPKT_PKfPKi31ggml_cuda_mm_fusion_args_devicePfi15HIP_vector_typeIjLj3EEiiiSB_iiiSB_iiii.uses_vcc, 1
	.set _ZL13mul_mat_vec_fI6__halffLi3ELi192ELb0ELb0EEvPKT_PKfPKi31ggml_cuda_mm_fusion_args_devicePfi15HIP_vector_typeIjLj3EEiiiSB_iiiSB_iiii.uses_flat_scratch, 0
	.set _ZL13mul_mat_vec_fI6__halffLi3ELi192ELb0ELb0EEvPKT_PKfPKi31ggml_cuda_mm_fusion_args_devicePfi15HIP_vector_typeIjLj3EEiiiSB_iiiSB_iiii.has_dyn_sized_stack, 0
	.set _ZL13mul_mat_vec_fI6__halffLi3ELi192ELb0ELb0EEvPKT_PKfPKi31ggml_cuda_mm_fusion_args_devicePfi15HIP_vector_typeIjLj3EEiiiSB_iiiSB_iiii.has_recursion, 0
	.set _ZL13mul_mat_vec_fI6__halffLi3ELi192ELb0ELb0EEvPKT_PKfPKi31ggml_cuda_mm_fusion_args_devicePfi15HIP_vector_typeIjLj3EEiiiSB_iiiSB_iiii.has_indirect_call, 0
	.section	.AMDGPU.csdata,"",@progbits
; Kernel info:
; codeLenInByte = 1636
; TotalNumSgprs: 38
; NumVgprs: 17
; ScratchSize: 0
; MemoryBound: 0
; FloatMode: 240
; IeeeMode: 1
; LDSByteSize: 0 bytes/workgroup (compile time only)
; SGPRBlocks: 0
; VGPRBlocks: 2
; NumSGPRsForWavesPerEU: 38
; NumVGPRsForWavesPerEU: 17
; Occupancy: 16
; WaveLimiterHint : 0
; COMPUTE_PGM_RSRC2:SCRATCH_EN: 0
; COMPUTE_PGM_RSRC2:USER_SGPR: 6
; COMPUTE_PGM_RSRC2:TRAP_HANDLER: 0
; COMPUTE_PGM_RSRC2:TGID_X_EN: 1
; COMPUTE_PGM_RSRC2:TGID_Y_EN: 1
; COMPUTE_PGM_RSRC2:TGID_Z_EN: 1
; COMPUTE_PGM_RSRC2:TIDIG_COMP_CNT: 0
	.section	.text._ZL13mul_mat_vec_fI6__halffLi3ELi224ELb0ELb0EEvPKT_PKfPKi31ggml_cuda_mm_fusion_args_devicePfi15HIP_vector_typeIjLj3EEiiiSB_iiiSB_iiii,"axG",@progbits,_ZL13mul_mat_vec_fI6__halffLi3ELi224ELb0ELb0EEvPKT_PKfPKi31ggml_cuda_mm_fusion_args_devicePfi15HIP_vector_typeIjLj3EEiiiSB_iiiSB_iiii,comdat
	.globl	_ZL13mul_mat_vec_fI6__halffLi3ELi224ELb0ELb0EEvPKT_PKfPKi31ggml_cuda_mm_fusion_args_devicePfi15HIP_vector_typeIjLj3EEiiiSB_iiiSB_iiii ; -- Begin function _ZL13mul_mat_vec_fI6__halffLi3ELi224ELb0ELb0EEvPKT_PKfPKi31ggml_cuda_mm_fusion_args_devicePfi15HIP_vector_typeIjLj3EEiiiSB_iiiSB_iiii
	.p2align	8
	.type	_ZL13mul_mat_vec_fI6__halffLi3ELi224ELb0ELb0EEvPKT_PKfPKi31ggml_cuda_mm_fusion_args_devicePfi15HIP_vector_typeIjLj3EEiiiSB_iiiSB_iiii,@function
_ZL13mul_mat_vec_fI6__halffLi3ELi224ELb0ELb0EEvPKT_PKfPKi31ggml_cuda_mm_fusion_args_devicePfi15HIP_vector_typeIjLj3EEiiiSB_iiiSB_iiii: ; @_ZL13mul_mat_vec_fI6__halffLi3ELi224ELb0ELb0EEvPKT_PKfPKi31ggml_cuda_mm_fusion_args_devicePfi15HIP_vector_typeIjLj3EEiiiSB_iiiSB_iiii
; %bb.0:
	s_clause 0x2
	s_load_dwordx2 s[0:1], s[4:5], 0x10
	s_load_dwordx8 s[12:19], s[4:5], 0x40
	s_load_dwordx4 s[20:23], s[4:5], 0x80
	s_waitcnt lgkmcnt(0)
	s_cmp_eq_u64 s[0:1], 0
	s_cselect_b32 s10, -1, 0
	s_cmp_lg_u64 s[0:1], 0
	s_cselect_b32 s9, -1, 0
	s_and_b32 vcc_lo, exec_lo, s10
	s_cbranch_vccnz .LBB222_2
; %bb.1:
	s_mul_i32 s2, s23, s8
	s_mov_b32 s3, 0
	s_add_i32 s2, s2, s7
	s_lshl_b64 s[24:25], s[2:3], 2
	s_add_u32 s0, s0, s24
	s_addc_u32 s1, s1, s25
	s_load_dword s19, s[0:1], 0x0
	s_cbranch_execz .LBB222_3
	s_branch .LBB222_4
.LBB222_2:
                                        ; implicit-def: $sgpr19
.LBB222_3:
	s_load_dwordx2 s[0:1], s[4:5], 0x5c
	s_waitcnt lgkmcnt(0)
	s_mul_hi_u32 s0, s0, s7
	s_add_i32 s0, s7, s0
	s_lshr_b32 s19, s0, s1
.LBB222_4:
	s_load_dwordx4 s[24:27], s[4:5], 0x68
	s_andn2_b32 vcc_lo, exec_lo, s9
	s_mov_b32 s23, s7
	s_cbranch_vccnz .LBB222_6
; %bb.5:
	s_mul_hi_u32 s0, s13, s7
	s_add_i32 s0, s7, s0
	s_lshr_b32 s0, s0, s14
	s_mul_i32 s0, s0, s15
	s_sub_i32 s23, s7, s0
.LBB222_6:
	s_load_dword s9, s[4:5], 0x78
	v_cmp_gt_u32_e32 vcc_lo, 32, v0
	v_lshl_add_u32 v5, v0, 2, 0
	s_and_saveexec_b32 s0, vcc_lo
; %bb.7:
	v_mov_b32_e32 v1, 0
	ds_write_b32 v5, v1
; %bb.8:
	s_or_b32 exec_lo, exec_lo, s0
	v_mov_b32_e32 v6, 0
	v_mov_b32_e32 v7, 0
	;; [unrolled: 1-line block ×3, first 2 shown]
	s_and_b32 s0, exec_lo, s10
	s_mov_b32 s11, 0
	s_cselect_b32 s10, s8, 0
	s_mov_b32 s13, exec_lo
	s_waitcnt lgkmcnt(0)
	s_barrier
	buffer_gl0_inv
	v_cmpx_gt_i32_e64 s12, v0
	s_cbranch_execz .LBB222_12
; %bb.9:
	s_load_dwordx4 s[0:3], s[4:5], 0x0
	s_mul_hi_u32 s27, s27, s10
	s_mul_hi_i32 s15, s21, s10
	s_mul_i32 s14, s21, s10
	s_mul_i32 s24, s19, s24
	;; [unrolled: 1-line block ×4, first 2 shown]
	s_add_i32 s16, s10, s27
	s_lshl_b64 s[34:35], s[14:15], 2
	s_ashr_i32 s25, s24, 31
	s_ashr_i32 s29, s28, 31
	;; [unrolled: 1-line block ×3, first 2 shown]
	s_lshr_b32 s9, s16, s9
	s_mov_b32 s8, s17
	s_mul_hi_i32 s21, s9, s20
	s_mul_i32 s20, s9, s20
	v_lshlrev_b32_e32 v2, 3, v0
	v_lshlrev_b32_e32 v1, 2, v0
	v_mov_b32_e32 v8, 0
	v_mov_b32_e32 v9, v0
	s_waitcnt lgkmcnt(0)
	s_add_u32 s14, s2, s34
	s_addc_u32 s15, s3, s35
	s_lshl_b64 s[30:31], s[30:31], 2
	v_mov_b32_e32 v7, 0
	s_add_u32 s14, s14, s30
	s_addc_u32 s15, s15, s31
	s_lshl_b64 s[24:25], s[24:25], 1
	s_ashr_i32 s9, s17, 31
	s_add_i32 s16, s17, s17
	s_lshl_b64 s[20:21], s[20:21], 1
	s_lshl_b64 s[28:29], s[28:29], 1
	s_add_u32 s0, s0, s24
	s_addc_u32 s1, s1, s25
	s_add_u32 s0, s0, s28
	s_addc_u32 s1, s1, s29
	;; [unrolled: 2-line block ×3, first 2 shown]
	s_lshl_b64 s[8:9], s[8:9], 3
	s_add_u32 s2, s2, s30
	s_addc_u32 s3, s3, s31
	s_add_u32 s2, s2, s34
	s_addc_u32 s3, s3, s35
	v_add_co_u32 v3, s2, s2, v2
	v_add_co_ci_u32_e64 v4, null, s3, 0, s2
	v_add_co_u32 v1, s0, s0, v1
	v_add_co_ci_u32_e64 v2, null, s1, 0, s0
	;; [unrolled: 2-line block ×3, first 2 shown]
	v_mov_b32_e32 v6, 0
.LBB222_10:                             ; =>This Inner Loop Header: Depth=1
	v_add_nc_u32_e32 v10, s16, v9
	v_add_co_u32 v12, s0, v3, s8
	v_add_co_ci_u32_e64 v13, null, s9, v4, s0
	v_ashrrev_i32_e32 v11, 31, v10
	v_add_nc_u32_e32 v9, 0xe0, v9
	v_lshlrev_b64 v[10:11], 3, v[10:11]
	v_add_co_u32 v10, s0, s14, v10
	v_add_co_ci_u32_e64 v11, null, s15, v11, s0
	global_load_dword v16, v[1:2], off
	s_clause 0x1
	global_load_dwordx2 v[14:15], v[3:4], off offset:-4
	global_load_dwordx2 v[12:13], v[12:13], off offset:-4
	global_load_dwordx2 v[10:11], v[10:11], off
	v_add_co_u32 v1, s0, 0x380, v1
	v_add_co_ci_u32_e64 v2, null, 0, v2, s0
	v_add_co_u32 v3, s0, 0x700, v3
	v_add_co_ci_u32_e64 v4, null, 0, v4, s0
	v_cmp_le_i32_e64 s0, s12, v9
	s_or_b32 s11, s0, s11
	s_waitcnt vmcnt(2)
	v_fma_mix_f32 v8, v14, v16, v8 op_sel_hi:[0,1,0]
	s_waitcnt vmcnt(1)
	v_fma_mix_f32 v7, v12, v16, v7 op_sel_hi:[0,1,0]
	;; [unrolled: 2-line block ×3, first 2 shown]
	v_fma_mix_f32 v8, v15, v16, v8 op_sel:[0,1,0] op_sel_hi:[0,1,0]
	v_fma_mix_f32 v7, v13, v16, v7 op_sel:[0,1,0] op_sel_hi:[0,1,0]
	;; [unrolled: 1-line block ×3, first 2 shown]
	s_andn2_b32 exec_lo, exec_lo, s11
	s_cbranch_execnz .LBB222_10
; %bb.11:
	s_or_b32 exec_lo, exec_lo, s11
.LBB222_12:
	s_or_b32 exec_lo, exec_lo, s13
	v_mbcnt_lo_u32_b32 v2, -1, 0
	v_xor_b32_e32 v1, 16, v2
	v_xor_b32_e32 v3, 8, v2
	v_cmp_gt_i32_e64 s0, 32, v1
	v_cndmask_b32_e64 v1, v2, v1, s0
	v_cmp_gt_i32_e64 s0, 32, v3
	v_lshlrev_b32_e32 v1, 2, v1
	v_cndmask_b32_e64 v3, v2, v3, s0
	ds_bpermute_b32 v4, v1, v8
	v_lshlrev_b32_e32 v3, 2, v3
	s_waitcnt lgkmcnt(0)
	v_add_f32_e32 v8, v8, v4
	v_xor_b32_e32 v4, 4, v2
	ds_bpermute_b32 v9, v3, v8
	v_cmp_gt_i32_e64 s0, 32, v4
	v_cndmask_b32_e64 v4, v2, v4, s0
	v_lshlrev_b32_e32 v4, 2, v4
	s_waitcnt lgkmcnt(0)
	v_add_f32_e32 v9, v8, v9
	v_xor_b32_e32 v8, 2, v2
	ds_bpermute_b32 v10, v4, v9
	v_cmp_gt_i32_e64 s0, 32, v8
	v_cndmask_b32_e64 v8, v2, v8, s0
	;; [unrolled: 7-line block ×3, first 2 shown]
	v_lshlrev_b32_e32 v9, 2, v2
	s_waitcnt lgkmcnt(0)
	v_add_f32_e32 v2, v10, v11
	v_lshrrev_b32_e32 v10, 3, v0
	ds_bpermute_b32 v11, v9, v2
	v_and_b32_e32 v10, 0x7c, v10
	v_add_nc_u32_e32 v10, 0, v10
	s_waitcnt lgkmcnt(0)
	v_add_f32_e32 v2, v2, v11
	ds_write_b32 v10, v2
	s_waitcnt lgkmcnt(0)
	s_barrier
	buffer_gl0_inv
	s_and_saveexec_b32 s0, vcc_lo
	s_cbranch_execz .LBB222_14
; %bb.13:
	ds_read_b32 v2, v5
	s_waitcnt lgkmcnt(0)
	ds_bpermute_b32 v11, v1, v2
	s_waitcnt lgkmcnt(0)
	v_add_f32_e32 v2, v2, v11
	ds_bpermute_b32 v11, v3, v2
	s_waitcnt lgkmcnt(0)
	v_add_f32_e32 v2, v2, v11
	;; [unrolled: 3-line block ×5, first 2 shown]
.LBB222_14:
	s_or_b32 exec_lo, exec_lo, s0
	ds_bpermute_b32 v11, v1, v7
	s_waitcnt lgkmcnt(0)
	s_barrier
	buffer_gl0_inv
	v_add_f32_e32 v7, v7, v11
	ds_bpermute_b32 v11, v3, v7
	s_waitcnt lgkmcnt(0)
	v_add_f32_e32 v7, v7, v11
	ds_bpermute_b32 v11, v4, v7
	s_waitcnt lgkmcnt(0)
	;; [unrolled: 3-line block ×4, first 2 shown]
	v_add_f32_e32 v7, v7, v11
	ds_write_b32 v10, v7
	s_waitcnt lgkmcnt(0)
	s_barrier
	buffer_gl0_inv
	s_and_saveexec_b32 s0, vcc_lo
	s_cbranch_execz .LBB222_16
; %bb.15:
	ds_read_b32 v7, v5
	s_waitcnt lgkmcnt(0)
	ds_bpermute_b32 v11, v1, v7
	s_waitcnt lgkmcnt(0)
	v_add_f32_e32 v7, v7, v11
	ds_bpermute_b32 v11, v3, v7
	s_waitcnt lgkmcnt(0)
	v_add_f32_e32 v7, v7, v11
	;; [unrolled: 3-line block ×5, first 2 shown]
.LBB222_16:
	s_or_b32 exec_lo, exec_lo, s0
	ds_bpermute_b32 v11, v1, v6
	s_waitcnt lgkmcnt(0)
	s_barrier
	buffer_gl0_inv
	v_add_f32_e32 v6, v6, v11
	ds_bpermute_b32 v11, v3, v6
	s_waitcnt lgkmcnt(0)
	v_add_f32_e32 v6, v6, v11
	ds_bpermute_b32 v11, v4, v6
	s_waitcnt lgkmcnt(0)
	;; [unrolled: 3-line block ×4, first 2 shown]
	v_add_f32_e32 v6, v6, v11
	ds_write_b32 v10, v6
	s_waitcnt lgkmcnt(0)
	s_barrier
	buffer_gl0_inv
	s_and_saveexec_b32 s0, vcc_lo
	s_cbranch_execz .LBB222_18
; %bb.17:
	ds_read_b32 v5, v5
	s_waitcnt lgkmcnt(0)
	ds_bpermute_b32 v1, v1, v5
	s_waitcnt lgkmcnt(0)
	v_add_f32_e32 v1, v5, v1
	ds_bpermute_b32 v3, v3, v1
	s_waitcnt lgkmcnt(0)
	v_add_f32_e32 v1, v1, v3
	;; [unrolled: 3-line block ×5, first 2 shown]
.LBB222_18:
	s_or_b32 exec_lo, exec_lo, s0
	s_barrier
	buffer_gl0_inv
	s_mov_b32 s0, exec_lo
	v_cmpx_gt_u32_e32 3, v0
	s_cbranch_execz .LBB222_20
; %bb.19:
	s_load_dwordx2 s[0:1], s[4:5], 0x38
	v_mad_u64_u32 v[3:4], null, s18, v0, s[6:7]
	v_cmp_eq_u32_e32 vcc_lo, 1, v0
	s_mul_hi_i32 s3, s22, s10
	s_mul_i32 s2, s22, s10
	s_mul_i32 s4, s26, s7
	s_lshl_b64 s[2:3], s[2:3], 2
	v_cndmask_b32_e32 v5, v2, v7, vcc_lo
	v_ashrrev_i32_e32 v4, 31, v3
	s_ashr_i32 s5, s4, 31
	v_cmp_eq_u32_e32 vcc_lo, 2, v0
	v_lshlrev_b64 v[1:2], 2, v[3:4]
	v_cndmask_b32_e32 v3, v5, v6, vcc_lo
	s_waitcnt lgkmcnt(0)
	s_add_u32 s2, s0, s2
	s_addc_u32 s3, s1, s3
	s_lshl_b64 s[0:1], s[4:5], 2
	s_add_u32 s0, s2, s0
	s_addc_u32 s1, s3, s1
	v_add_co_u32 v0, vcc_lo, s0, v1
	v_add_co_ci_u32_e64 v1, null, s1, v2, vcc_lo
	global_store_dword v[0:1], v3, off
.LBB222_20:
	s_endpgm
	.section	.rodata,"a",@progbits
	.p2align	6, 0x0
	.amdhsa_kernel _ZL13mul_mat_vec_fI6__halffLi3ELi224ELb0ELb0EEvPKT_PKfPKi31ggml_cuda_mm_fusion_args_devicePfi15HIP_vector_typeIjLj3EEiiiSB_iiiSB_iiii
		.amdhsa_group_segment_fixed_size 0
		.amdhsa_private_segment_fixed_size 0
		.amdhsa_kernarg_size 144
		.amdhsa_user_sgpr_count 6
		.amdhsa_user_sgpr_private_segment_buffer 1
		.amdhsa_user_sgpr_dispatch_ptr 0
		.amdhsa_user_sgpr_queue_ptr 0
		.amdhsa_user_sgpr_kernarg_segment_ptr 1
		.amdhsa_user_sgpr_dispatch_id 0
		.amdhsa_user_sgpr_flat_scratch_init 0
		.amdhsa_user_sgpr_private_segment_size 0
		.amdhsa_wavefront_size32 1
		.amdhsa_uses_dynamic_stack 0
		.amdhsa_system_sgpr_private_segment_wavefront_offset 0
		.amdhsa_system_sgpr_workgroup_id_x 1
		.amdhsa_system_sgpr_workgroup_id_y 1
		.amdhsa_system_sgpr_workgroup_id_z 1
		.amdhsa_system_sgpr_workgroup_info 0
		.amdhsa_system_vgpr_workitem_id 0
		.amdhsa_next_free_vgpr 17
		.amdhsa_next_free_sgpr 36
		.amdhsa_reserve_vcc 1
		.amdhsa_reserve_flat_scratch 0
		.amdhsa_float_round_mode_32 0
		.amdhsa_float_round_mode_16_64 0
		.amdhsa_float_denorm_mode_32 3
		.amdhsa_float_denorm_mode_16_64 3
		.amdhsa_dx10_clamp 1
		.amdhsa_ieee_mode 1
		.amdhsa_fp16_overflow 0
		.amdhsa_workgroup_processor_mode 1
		.amdhsa_memory_ordered 1
		.amdhsa_forward_progress 1
		.amdhsa_shared_vgpr_count 0
		.amdhsa_exception_fp_ieee_invalid_op 0
		.amdhsa_exception_fp_denorm_src 0
		.amdhsa_exception_fp_ieee_div_zero 0
		.amdhsa_exception_fp_ieee_overflow 0
		.amdhsa_exception_fp_ieee_underflow 0
		.amdhsa_exception_fp_ieee_inexact 0
		.amdhsa_exception_int_div_zero 0
	.end_amdhsa_kernel
	.section	.text._ZL13mul_mat_vec_fI6__halffLi3ELi224ELb0ELb0EEvPKT_PKfPKi31ggml_cuda_mm_fusion_args_devicePfi15HIP_vector_typeIjLj3EEiiiSB_iiiSB_iiii,"axG",@progbits,_ZL13mul_mat_vec_fI6__halffLi3ELi224ELb0ELb0EEvPKT_PKfPKi31ggml_cuda_mm_fusion_args_devicePfi15HIP_vector_typeIjLj3EEiiiSB_iiiSB_iiii,comdat
.Lfunc_end222:
	.size	_ZL13mul_mat_vec_fI6__halffLi3ELi224ELb0ELb0EEvPKT_PKfPKi31ggml_cuda_mm_fusion_args_devicePfi15HIP_vector_typeIjLj3EEiiiSB_iiiSB_iiii, .Lfunc_end222-_ZL13mul_mat_vec_fI6__halffLi3ELi224ELb0ELb0EEvPKT_PKfPKi31ggml_cuda_mm_fusion_args_devicePfi15HIP_vector_typeIjLj3EEiiiSB_iiiSB_iiii
                                        ; -- End function
	.set _ZL13mul_mat_vec_fI6__halffLi3ELi224ELb0ELb0EEvPKT_PKfPKi31ggml_cuda_mm_fusion_args_devicePfi15HIP_vector_typeIjLj3EEiiiSB_iiiSB_iiii.num_vgpr, 17
	.set _ZL13mul_mat_vec_fI6__halffLi3ELi224ELb0ELb0EEvPKT_PKfPKi31ggml_cuda_mm_fusion_args_devicePfi15HIP_vector_typeIjLj3EEiiiSB_iiiSB_iiii.num_agpr, 0
	.set _ZL13mul_mat_vec_fI6__halffLi3ELi224ELb0ELb0EEvPKT_PKfPKi31ggml_cuda_mm_fusion_args_devicePfi15HIP_vector_typeIjLj3EEiiiSB_iiiSB_iiii.numbered_sgpr, 36
	.set _ZL13mul_mat_vec_fI6__halffLi3ELi224ELb0ELb0EEvPKT_PKfPKi31ggml_cuda_mm_fusion_args_devicePfi15HIP_vector_typeIjLj3EEiiiSB_iiiSB_iiii.num_named_barrier, 0
	.set _ZL13mul_mat_vec_fI6__halffLi3ELi224ELb0ELb0EEvPKT_PKfPKi31ggml_cuda_mm_fusion_args_devicePfi15HIP_vector_typeIjLj3EEiiiSB_iiiSB_iiii.private_seg_size, 0
	.set _ZL13mul_mat_vec_fI6__halffLi3ELi224ELb0ELb0EEvPKT_PKfPKi31ggml_cuda_mm_fusion_args_devicePfi15HIP_vector_typeIjLj3EEiiiSB_iiiSB_iiii.uses_vcc, 1
	.set _ZL13mul_mat_vec_fI6__halffLi3ELi224ELb0ELb0EEvPKT_PKfPKi31ggml_cuda_mm_fusion_args_devicePfi15HIP_vector_typeIjLj3EEiiiSB_iiiSB_iiii.uses_flat_scratch, 0
	.set _ZL13mul_mat_vec_fI6__halffLi3ELi224ELb0ELb0EEvPKT_PKfPKi31ggml_cuda_mm_fusion_args_devicePfi15HIP_vector_typeIjLj3EEiiiSB_iiiSB_iiii.has_dyn_sized_stack, 0
	.set _ZL13mul_mat_vec_fI6__halffLi3ELi224ELb0ELb0EEvPKT_PKfPKi31ggml_cuda_mm_fusion_args_devicePfi15HIP_vector_typeIjLj3EEiiiSB_iiiSB_iiii.has_recursion, 0
	.set _ZL13mul_mat_vec_fI6__halffLi3ELi224ELb0ELb0EEvPKT_PKfPKi31ggml_cuda_mm_fusion_args_devicePfi15HIP_vector_typeIjLj3EEiiiSB_iiiSB_iiii.has_indirect_call, 0
	.section	.AMDGPU.csdata,"",@progbits
; Kernel info:
; codeLenInByte = 1636
; TotalNumSgprs: 38
; NumVgprs: 17
; ScratchSize: 0
; MemoryBound: 0
; FloatMode: 240
; IeeeMode: 1
; LDSByteSize: 0 bytes/workgroup (compile time only)
; SGPRBlocks: 0
; VGPRBlocks: 2
; NumSGPRsForWavesPerEU: 38
; NumVGPRsForWavesPerEU: 17
; Occupancy: 16
; WaveLimiterHint : 0
; COMPUTE_PGM_RSRC2:SCRATCH_EN: 0
; COMPUTE_PGM_RSRC2:USER_SGPR: 6
; COMPUTE_PGM_RSRC2:TRAP_HANDLER: 0
; COMPUTE_PGM_RSRC2:TGID_X_EN: 1
; COMPUTE_PGM_RSRC2:TGID_Y_EN: 1
; COMPUTE_PGM_RSRC2:TGID_Z_EN: 1
; COMPUTE_PGM_RSRC2:TIDIG_COMP_CNT: 0
	.section	.text._ZL13mul_mat_vec_fI6__halffLi3ELi256ELb0ELb0EEvPKT_PKfPKi31ggml_cuda_mm_fusion_args_devicePfi15HIP_vector_typeIjLj3EEiiiSB_iiiSB_iiii,"axG",@progbits,_ZL13mul_mat_vec_fI6__halffLi3ELi256ELb0ELb0EEvPKT_PKfPKi31ggml_cuda_mm_fusion_args_devicePfi15HIP_vector_typeIjLj3EEiiiSB_iiiSB_iiii,comdat
	.globl	_ZL13mul_mat_vec_fI6__halffLi3ELi256ELb0ELb0EEvPKT_PKfPKi31ggml_cuda_mm_fusion_args_devicePfi15HIP_vector_typeIjLj3EEiiiSB_iiiSB_iiii ; -- Begin function _ZL13mul_mat_vec_fI6__halffLi3ELi256ELb0ELb0EEvPKT_PKfPKi31ggml_cuda_mm_fusion_args_devicePfi15HIP_vector_typeIjLj3EEiiiSB_iiiSB_iiii
	.p2align	8
	.type	_ZL13mul_mat_vec_fI6__halffLi3ELi256ELb0ELb0EEvPKT_PKfPKi31ggml_cuda_mm_fusion_args_devicePfi15HIP_vector_typeIjLj3EEiiiSB_iiiSB_iiii,@function
_ZL13mul_mat_vec_fI6__halffLi3ELi256ELb0ELb0EEvPKT_PKfPKi31ggml_cuda_mm_fusion_args_devicePfi15HIP_vector_typeIjLj3EEiiiSB_iiiSB_iiii: ; @_ZL13mul_mat_vec_fI6__halffLi3ELi256ELb0ELb0EEvPKT_PKfPKi31ggml_cuda_mm_fusion_args_devicePfi15HIP_vector_typeIjLj3EEiiiSB_iiiSB_iiii
; %bb.0:
	s_clause 0x2
	s_load_dwordx2 s[0:1], s[4:5], 0x10
	s_load_dwordx8 s[12:19], s[4:5], 0x40
	s_load_dwordx4 s[20:23], s[4:5], 0x80
	s_waitcnt lgkmcnt(0)
	s_cmp_eq_u64 s[0:1], 0
	s_cselect_b32 s10, -1, 0
	s_cmp_lg_u64 s[0:1], 0
	s_cselect_b32 s9, -1, 0
	s_and_b32 vcc_lo, exec_lo, s10
	s_cbranch_vccnz .LBB223_2
; %bb.1:
	s_mul_i32 s2, s23, s8
	s_mov_b32 s3, 0
	s_add_i32 s2, s2, s7
	s_lshl_b64 s[24:25], s[2:3], 2
	s_add_u32 s0, s0, s24
	s_addc_u32 s1, s1, s25
	s_load_dword s19, s[0:1], 0x0
	s_cbranch_execz .LBB223_3
	s_branch .LBB223_4
.LBB223_2:
                                        ; implicit-def: $sgpr19
.LBB223_3:
	s_load_dwordx2 s[0:1], s[4:5], 0x5c
	s_waitcnt lgkmcnt(0)
	s_mul_hi_u32 s0, s0, s7
	s_add_i32 s0, s7, s0
	s_lshr_b32 s19, s0, s1
.LBB223_4:
	s_load_dwordx4 s[24:27], s[4:5], 0x68
	s_andn2_b32 vcc_lo, exec_lo, s9
	s_mov_b32 s23, s7
	s_cbranch_vccnz .LBB223_6
; %bb.5:
	s_mul_hi_u32 s0, s13, s7
	s_add_i32 s0, s7, s0
	s_lshr_b32 s0, s0, s14
	s_mul_i32 s0, s0, s15
	s_sub_i32 s23, s7, s0
.LBB223_6:
	s_load_dword s9, s[4:5], 0x78
	v_cmp_gt_u32_e32 vcc_lo, 32, v0
	v_lshl_add_u32 v5, v0, 2, 0
	s_and_saveexec_b32 s0, vcc_lo
; %bb.7:
	v_mov_b32_e32 v1, 0
	ds_write_b32 v5, v1
; %bb.8:
	s_or_b32 exec_lo, exec_lo, s0
	v_mov_b32_e32 v6, 0
	v_mov_b32_e32 v7, 0
	;; [unrolled: 1-line block ×3, first 2 shown]
	s_and_b32 s0, exec_lo, s10
	s_mov_b32 s11, 0
	s_cselect_b32 s10, s8, 0
	s_mov_b32 s13, exec_lo
	s_waitcnt lgkmcnt(0)
	s_barrier
	buffer_gl0_inv
	v_cmpx_gt_i32_e64 s12, v0
	s_cbranch_execz .LBB223_12
; %bb.9:
	s_load_dwordx4 s[0:3], s[4:5], 0x0
	s_mul_hi_u32 s27, s27, s10
	s_mul_hi_i32 s15, s21, s10
	s_mul_i32 s14, s21, s10
	s_mul_i32 s24, s19, s24
	;; [unrolled: 1-line block ×4, first 2 shown]
	s_add_i32 s16, s10, s27
	s_lshl_b64 s[34:35], s[14:15], 2
	s_ashr_i32 s25, s24, 31
	s_ashr_i32 s29, s28, 31
	;; [unrolled: 1-line block ×3, first 2 shown]
	s_lshr_b32 s9, s16, s9
	s_mov_b32 s8, s17
	s_mul_hi_i32 s21, s9, s20
	s_mul_i32 s20, s9, s20
	v_lshlrev_b32_e32 v2, 3, v0
	v_lshlrev_b32_e32 v1, 2, v0
	v_mov_b32_e32 v8, 0
	v_mov_b32_e32 v9, v0
	s_waitcnt lgkmcnt(0)
	s_add_u32 s14, s2, s34
	s_addc_u32 s15, s3, s35
	s_lshl_b64 s[30:31], s[30:31], 2
	v_mov_b32_e32 v7, 0
	s_add_u32 s14, s14, s30
	s_addc_u32 s15, s15, s31
	s_lshl_b64 s[24:25], s[24:25], 1
	s_ashr_i32 s9, s17, 31
	s_add_i32 s16, s17, s17
	s_lshl_b64 s[20:21], s[20:21], 1
	s_lshl_b64 s[28:29], s[28:29], 1
	s_add_u32 s0, s0, s24
	s_addc_u32 s1, s1, s25
	s_add_u32 s0, s0, s28
	s_addc_u32 s1, s1, s29
	;; [unrolled: 2-line block ×3, first 2 shown]
	s_lshl_b64 s[8:9], s[8:9], 3
	s_add_u32 s2, s2, s30
	s_addc_u32 s3, s3, s31
	s_add_u32 s2, s2, s34
	s_addc_u32 s3, s3, s35
	v_add_co_u32 v3, s2, s2, v2
	v_add_co_ci_u32_e64 v4, null, s3, 0, s2
	v_add_co_u32 v1, s0, s0, v1
	v_add_co_ci_u32_e64 v2, null, s1, 0, s0
	;; [unrolled: 2-line block ×3, first 2 shown]
	v_mov_b32_e32 v6, 0
.LBB223_10:                             ; =>This Inner Loop Header: Depth=1
	v_add_nc_u32_e32 v10, s16, v9
	v_add_co_u32 v12, s0, v3, s8
	v_add_co_ci_u32_e64 v13, null, s9, v4, s0
	v_ashrrev_i32_e32 v11, 31, v10
	v_add_nc_u32_e32 v9, 0x100, v9
	v_lshlrev_b64 v[10:11], 3, v[10:11]
	v_add_co_u32 v10, s0, s14, v10
	v_add_co_ci_u32_e64 v11, null, s15, v11, s0
	global_load_dword v16, v[1:2], off
	s_clause 0x1
	global_load_dwordx2 v[14:15], v[3:4], off offset:-4
	global_load_dwordx2 v[12:13], v[12:13], off offset:-4
	global_load_dwordx2 v[10:11], v[10:11], off
	v_add_co_u32 v1, s0, 0x400, v1
	v_add_co_ci_u32_e64 v2, null, 0, v2, s0
	v_add_co_u32 v3, s0, 0x800, v3
	v_add_co_ci_u32_e64 v4, null, 0, v4, s0
	v_cmp_le_i32_e64 s0, s12, v9
	s_or_b32 s11, s0, s11
	s_waitcnt vmcnt(2)
	v_fma_mix_f32 v8, v14, v16, v8 op_sel_hi:[0,1,0]
	s_waitcnt vmcnt(1)
	v_fma_mix_f32 v7, v12, v16, v7 op_sel_hi:[0,1,0]
	;; [unrolled: 2-line block ×3, first 2 shown]
	v_fma_mix_f32 v8, v15, v16, v8 op_sel:[0,1,0] op_sel_hi:[0,1,0]
	v_fma_mix_f32 v7, v13, v16, v7 op_sel:[0,1,0] op_sel_hi:[0,1,0]
	;; [unrolled: 1-line block ×3, first 2 shown]
	s_andn2_b32 exec_lo, exec_lo, s11
	s_cbranch_execnz .LBB223_10
; %bb.11:
	s_or_b32 exec_lo, exec_lo, s11
.LBB223_12:
	s_or_b32 exec_lo, exec_lo, s13
	v_mbcnt_lo_u32_b32 v2, -1, 0
	v_xor_b32_e32 v1, 16, v2
	v_xor_b32_e32 v3, 8, v2
	v_cmp_gt_i32_e64 s0, 32, v1
	v_cndmask_b32_e64 v1, v2, v1, s0
	v_cmp_gt_i32_e64 s0, 32, v3
	v_lshlrev_b32_e32 v1, 2, v1
	v_cndmask_b32_e64 v3, v2, v3, s0
	ds_bpermute_b32 v4, v1, v8
	v_lshlrev_b32_e32 v3, 2, v3
	s_waitcnt lgkmcnt(0)
	v_add_f32_e32 v8, v8, v4
	v_xor_b32_e32 v4, 4, v2
	ds_bpermute_b32 v9, v3, v8
	v_cmp_gt_i32_e64 s0, 32, v4
	v_cndmask_b32_e64 v4, v2, v4, s0
	v_lshlrev_b32_e32 v4, 2, v4
	s_waitcnt lgkmcnt(0)
	v_add_f32_e32 v9, v8, v9
	v_xor_b32_e32 v8, 2, v2
	ds_bpermute_b32 v10, v4, v9
	v_cmp_gt_i32_e64 s0, 32, v8
	v_cndmask_b32_e64 v8, v2, v8, s0
	;; [unrolled: 7-line block ×3, first 2 shown]
	v_lshlrev_b32_e32 v9, 2, v2
	s_waitcnt lgkmcnt(0)
	v_add_f32_e32 v2, v10, v11
	v_lshrrev_b32_e32 v10, 3, v0
	ds_bpermute_b32 v11, v9, v2
	v_and_b32_e32 v10, 0x7c, v10
	v_add_nc_u32_e32 v10, 0, v10
	s_waitcnt lgkmcnt(0)
	v_add_f32_e32 v2, v2, v11
	ds_write_b32 v10, v2
	s_waitcnt lgkmcnt(0)
	s_barrier
	buffer_gl0_inv
	s_and_saveexec_b32 s0, vcc_lo
	s_cbranch_execz .LBB223_14
; %bb.13:
	ds_read_b32 v2, v5
	s_waitcnt lgkmcnt(0)
	ds_bpermute_b32 v11, v1, v2
	s_waitcnt lgkmcnt(0)
	v_add_f32_e32 v2, v2, v11
	ds_bpermute_b32 v11, v3, v2
	s_waitcnt lgkmcnt(0)
	v_add_f32_e32 v2, v2, v11
	;; [unrolled: 3-line block ×5, first 2 shown]
.LBB223_14:
	s_or_b32 exec_lo, exec_lo, s0
	ds_bpermute_b32 v11, v1, v7
	s_waitcnt lgkmcnt(0)
	s_barrier
	buffer_gl0_inv
	v_add_f32_e32 v7, v7, v11
	ds_bpermute_b32 v11, v3, v7
	s_waitcnt lgkmcnt(0)
	v_add_f32_e32 v7, v7, v11
	ds_bpermute_b32 v11, v4, v7
	s_waitcnt lgkmcnt(0)
	;; [unrolled: 3-line block ×4, first 2 shown]
	v_add_f32_e32 v7, v7, v11
	ds_write_b32 v10, v7
	s_waitcnt lgkmcnt(0)
	s_barrier
	buffer_gl0_inv
	s_and_saveexec_b32 s0, vcc_lo
	s_cbranch_execz .LBB223_16
; %bb.15:
	ds_read_b32 v7, v5
	s_waitcnt lgkmcnt(0)
	ds_bpermute_b32 v11, v1, v7
	s_waitcnt lgkmcnt(0)
	v_add_f32_e32 v7, v7, v11
	ds_bpermute_b32 v11, v3, v7
	s_waitcnt lgkmcnt(0)
	v_add_f32_e32 v7, v7, v11
	;; [unrolled: 3-line block ×5, first 2 shown]
.LBB223_16:
	s_or_b32 exec_lo, exec_lo, s0
	ds_bpermute_b32 v11, v1, v6
	s_waitcnt lgkmcnt(0)
	s_barrier
	buffer_gl0_inv
	v_add_f32_e32 v6, v6, v11
	ds_bpermute_b32 v11, v3, v6
	s_waitcnt lgkmcnt(0)
	v_add_f32_e32 v6, v6, v11
	ds_bpermute_b32 v11, v4, v6
	s_waitcnt lgkmcnt(0)
	;; [unrolled: 3-line block ×4, first 2 shown]
	v_add_f32_e32 v6, v6, v11
	ds_write_b32 v10, v6
	s_waitcnt lgkmcnt(0)
	s_barrier
	buffer_gl0_inv
	s_and_saveexec_b32 s0, vcc_lo
	s_cbranch_execz .LBB223_18
; %bb.17:
	ds_read_b32 v5, v5
	s_waitcnt lgkmcnt(0)
	ds_bpermute_b32 v1, v1, v5
	s_waitcnt lgkmcnt(0)
	v_add_f32_e32 v1, v5, v1
	ds_bpermute_b32 v3, v3, v1
	s_waitcnt lgkmcnt(0)
	v_add_f32_e32 v1, v1, v3
	;; [unrolled: 3-line block ×5, first 2 shown]
.LBB223_18:
	s_or_b32 exec_lo, exec_lo, s0
	s_barrier
	buffer_gl0_inv
	s_mov_b32 s0, exec_lo
	v_cmpx_gt_u32_e32 3, v0
	s_cbranch_execz .LBB223_20
; %bb.19:
	s_load_dwordx2 s[0:1], s[4:5], 0x38
	v_mad_u64_u32 v[3:4], null, s18, v0, s[6:7]
	v_cmp_eq_u32_e32 vcc_lo, 1, v0
	s_mul_hi_i32 s3, s22, s10
	s_mul_i32 s2, s22, s10
	s_mul_i32 s4, s26, s7
	s_lshl_b64 s[2:3], s[2:3], 2
	v_cndmask_b32_e32 v5, v2, v7, vcc_lo
	v_ashrrev_i32_e32 v4, 31, v3
	s_ashr_i32 s5, s4, 31
	v_cmp_eq_u32_e32 vcc_lo, 2, v0
	v_lshlrev_b64 v[1:2], 2, v[3:4]
	v_cndmask_b32_e32 v3, v5, v6, vcc_lo
	s_waitcnt lgkmcnt(0)
	s_add_u32 s2, s0, s2
	s_addc_u32 s3, s1, s3
	s_lshl_b64 s[0:1], s[4:5], 2
	s_add_u32 s0, s2, s0
	s_addc_u32 s1, s3, s1
	v_add_co_u32 v0, vcc_lo, s0, v1
	v_add_co_ci_u32_e64 v1, null, s1, v2, vcc_lo
	global_store_dword v[0:1], v3, off
.LBB223_20:
	s_endpgm
	.section	.rodata,"a",@progbits
	.p2align	6, 0x0
	.amdhsa_kernel _ZL13mul_mat_vec_fI6__halffLi3ELi256ELb0ELb0EEvPKT_PKfPKi31ggml_cuda_mm_fusion_args_devicePfi15HIP_vector_typeIjLj3EEiiiSB_iiiSB_iiii
		.amdhsa_group_segment_fixed_size 0
		.amdhsa_private_segment_fixed_size 0
		.amdhsa_kernarg_size 144
		.amdhsa_user_sgpr_count 6
		.amdhsa_user_sgpr_private_segment_buffer 1
		.amdhsa_user_sgpr_dispatch_ptr 0
		.amdhsa_user_sgpr_queue_ptr 0
		.amdhsa_user_sgpr_kernarg_segment_ptr 1
		.amdhsa_user_sgpr_dispatch_id 0
		.amdhsa_user_sgpr_flat_scratch_init 0
		.amdhsa_user_sgpr_private_segment_size 0
		.amdhsa_wavefront_size32 1
		.amdhsa_uses_dynamic_stack 0
		.amdhsa_system_sgpr_private_segment_wavefront_offset 0
		.amdhsa_system_sgpr_workgroup_id_x 1
		.amdhsa_system_sgpr_workgroup_id_y 1
		.amdhsa_system_sgpr_workgroup_id_z 1
		.amdhsa_system_sgpr_workgroup_info 0
		.amdhsa_system_vgpr_workitem_id 0
		.amdhsa_next_free_vgpr 17
		.amdhsa_next_free_sgpr 36
		.amdhsa_reserve_vcc 1
		.amdhsa_reserve_flat_scratch 0
		.amdhsa_float_round_mode_32 0
		.amdhsa_float_round_mode_16_64 0
		.amdhsa_float_denorm_mode_32 3
		.amdhsa_float_denorm_mode_16_64 3
		.amdhsa_dx10_clamp 1
		.amdhsa_ieee_mode 1
		.amdhsa_fp16_overflow 0
		.amdhsa_workgroup_processor_mode 1
		.amdhsa_memory_ordered 1
		.amdhsa_forward_progress 1
		.amdhsa_shared_vgpr_count 0
		.amdhsa_exception_fp_ieee_invalid_op 0
		.amdhsa_exception_fp_denorm_src 0
		.amdhsa_exception_fp_ieee_div_zero 0
		.amdhsa_exception_fp_ieee_overflow 0
		.amdhsa_exception_fp_ieee_underflow 0
		.amdhsa_exception_fp_ieee_inexact 0
		.amdhsa_exception_int_div_zero 0
	.end_amdhsa_kernel
	.section	.text._ZL13mul_mat_vec_fI6__halffLi3ELi256ELb0ELb0EEvPKT_PKfPKi31ggml_cuda_mm_fusion_args_devicePfi15HIP_vector_typeIjLj3EEiiiSB_iiiSB_iiii,"axG",@progbits,_ZL13mul_mat_vec_fI6__halffLi3ELi256ELb0ELb0EEvPKT_PKfPKi31ggml_cuda_mm_fusion_args_devicePfi15HIP_vector_typeIjLj3EEiiiSB_iiiSB_iiii,comdat
.Lfunc_end223:
	.size	_ZL13mul_mat_vec_fI6__halffLi3ELi256ELb0ELb0EEvPKT_PKfPKi31ggml_cuda_mm_fusion_args_devicePfi15HIP_vector_typeIjLj3EEiiiSB_iiiSB_iiii, .Lfunc_end223-_ZL13mul_mat_vec_fI6__halffLi3ELi256ELb0ELb0EEvPKT_PKfPKi31ggml_cuda_mm_fusion_args_devicePfi15HIP_vector_typeIjLj3EEiiiSB_iiiSB_iiii
                                        ; -- End function
	.set _ZL13mul_mat_vec_fI6__halffLi3ELi256ELb0ELb0EEvPKT_PKfPKi31ggml_cuda_mm_fusion_args_devicePfi15HIP_vector_typeIjLj3EEiiiSB_iiiSB_iiii.num_vgpr, 17
	.set _ZL13mul_mat_vec_fI6__halffLi3ELi256ELb0ELb0EEvPKT_PKfPKi31ggml_cuda_mm_fusion_args_devicePfi15HIP_vector_typeIjLj3EEiiiSB_iiiSB_iiii.num_agpr, 0
	.set _ZL13mul_mat_vec_fI6__halffLi3ELi256ELb0ELb0EEvPKT_PKfPKi31ggml_cuda_mm_fusion_args_devicePfi15HIP_vector_typeIjLj3EEiiiSB_iiiSB_iiii.numbered_sgpr, 36
	.set _ZL13mul_mat_vec_fI6__halffLi3ELi256ELb0ELb0EEvPKT_PKfPKi31ggml_cuda_mm_fusion_args_devicePfi15HIP_vector_typeIjLj3EEiiiSB_iiiSB_iiii.num_named_barrier, 0
	.set _ZL13mul_mat_vec_fI6__halffLi3ELi256ELb0ELb0EEvPKT_PKfPKi31ggml_cuda_mm_fusion_args_devicePfi15HIP_vector_typeIjLj3EEiiiSB_iiiSB_iiii.private_seg_size, 0
	.set _ZL13mul_mat_vec_fI6__halffLi3ELi256ELb0ELb0EEvPKT_PKfPKi31ggml_cuda_mm_fusion_args_devicePfi15HIP_vector_typeIjLj3EEiiiSB_iiiSB_iiii.uses_vcc, 1
	.set _ZL13mul_mat_vec_fI6__halffLi3ELi256ELb0ELb0EEvPKT_PKfPKi31ggml_cuda_mm_fusion_args_devicePfi15HIP_vector_typeIjLj3EEiiiSB_iiiSB_iiii.uses_flat_scratch, 0
	.set _ZL13mul_mat_vec_fI6__halffLi3ELi256ELb0ELb0EEvPKT_PKfPKi31ggml_cuda_mm_fusion_args_devicePfi15HIP_vector_typeIjLj3EEiiiSB_iiiSB_iiii.has_dyn_sized_stack, 0
	.set _ZL13mul_mat_vec_fI6__halffLi3ELi256ELb0ELb0EEvPKT_PKfPKi31ggml_cuda_mm_fusion_args_devicePfi15HIP_vector_typeIjLj3EEiiiSB_iiiSB_iiii.has_recursion, 0
	.set _ZL13mul_mat_vec_fI6__halffLi3ELi256ELb0ELb0EEvPKT_PKfPKi31ggml_cuda_mm_fusion_args_devicePfi15HIP_vector_typeIjLj3EEiiiSB_iiiSB_iiii.has_indirect_call, 0
	.section	.AMDGPU.csdata,"",@progbits
; Kernel info:
; codeLenInByte = 1636
; TotalNumSgprs: 38
; NumVgprs: 17
; ScratchSize: 0
; MemoryBound: 0
; FloatMode: 240
; IeeeMode: 1
; LDSByteSize: 0 bytes/workgroup (compile time only)
; SGPRBlocks: 0
; VGPRBlocks: 2
; NumSGPRsForWavesPerEU: 38
; NumVGPRsForWavesPerEU: 17
; Occupancy: 16
; WaveLimiterHint : 0
; COMPUTE_PGM_RSRC2:SCRATCH_EN: 0
; COMPUTE_PGM_RSRC2:USER_SGPR: 6
; COMPUTE_PGM_RSRC2:TRAP_HANDLER: 0
; COMPUTE_PGM_RSRC2:TGID_X_EN: 1
; COMPUTE_PGM_RSRC2:TGID_Y_EN: 1
; COMPUTE_PGM_RSRC2:TGID_Z_EN: 1
; COMPUTE_PGM_RSRC2:TIDIG_COMP_CNT: 0
	.section	.text._ZL13mul_mat_vec_fI6__halffLi4ELi32ELb0ELb0EEvPKT_PKfPKi31ggml_cuda_mm_fusion_args_devicePfi15HIP_vector_typeIjLj3EEiiiSB_iiiSB_iiii,"axG",@progbits,_ZL13mul_mat_vec_fI6__halffLi4ELi32ELb0ELb0EEvPKT_PKfPKi31ggml_cuda_mm_fusion_args_devicePfi15HIP_vector_typeIjLj3EEiiiSB_iiiSB_iiii,comdat
	.globl	_ZL13mul_mat_vec_fI6__halffLi4ELi32ELb0ELb0EEvPKT_PKfPKi31ggml_cuda_mm_fusion_args_devicePfi15HIP_vector_typeIjLj3EEiiiSB_iiiSB_iiii ; -- Begin function _ZL13mul_mat_vec_fI6__halffLi4ELi32ELb0ELb0EEvPKT_PKfPKi31ggml_cuda_mm_fusion_args_devicePfi15HIP_vector_typeIjLj3EEiiiSB_iiiSB_iiii
	.p2align	8
	.type	_ZL13mul_mat_vec_fI6__halffLi4ELi32ELb0ELb0EEvPKT_PKfPKi31ggml_cuda_mm_fusion_args_devicePfi15HIP_vector_typeIjLj3EEiiiSB_iiiSB_iiii,@function
_ZL13mul_mat_vec_fI6__halffLi4ELi32ELb0ELb0EEvPKT_PKfPKi31ggml_cuda_mm_fusion_args_devicePfi15HIP_vector_typeIjLj3EEiiiSB_iiiSB_iiii: ; @_ZL13mul_mat_vec_fI6__halffLi4ELi32ELb0ELb0EEvPKT_PKfPKi31ggml_cuda_mm_fusion_args_devicePfi15HIP_vector_typeIjLj3EEiiiSB_iiiSB_iiii
; %bb.0:
	s_clause 0x2
	s_load_dwordx2 s[20:21], s[4:5], 0x10
	s_load_dwordx8 s[12:19], s[4:5], 0x40
	s_load_dwordx4 s[0:3], s[4:5], 0x80
	s_waitcnt lgkmcnt(0)
	s_cmp_eq_u64 s[20:21], 0
	s_cselect_b32 s9, -1, 0
	s_cmp_lg_u64 s[20:21], 0
	s_cselect_b32 s25, -1, 0
	s_and_b32 vcc_lo, exec_lo, s9
	s_cbranch_vccnz .LBB224_2
; %bb.1:
	s_mul_i32 s3, s3, s8
	s_mov_b32 s11, 0
	s_add_i32 s10, s3, s7
	s_lshl_b64 s[22:23], s[10:11], 2
	s_add_u32 s20, s20, s22
	s_addc_u32 s21, s21, s23
	s_load_dword s24, s[20:21], 0x0
	s_load_dwordx4 s[20:23], s[4:5], 0x68
	s_cbranch_execz .LBB224_3
	s_branch .LBB224_4
.LBB224_2:
                                        ; implicit-def: $sgpr24
	s_load_dwordx4 s[20:23], s[4:5], 0x68
.LBB224_3:
	s_load_dwordx2 s[10:11], s[4:5], 0x5c
	s_waitcnt lgkmcnt(0)
	s_mul_hi_u32 s3, s10, s7
	s_add_i32 s3, s7, s3
	s_lshr_b32 s24, s3, s11
.LBB224_4:
	s_load_dword s19, s[4:5], 0x78
	s_andn2_b32 vcc_lo, exec_lo, s25
	s_mov_b32 s25, s7
	s_cbranch_vccnz .LBB224_6
; %bb.5:
	s_mul_hi_u32 s3, s13, s7
	s_add_i32 s3, s7, s3
	s_lshr_b32 s3, s3, s14
	s_mul_i32 s3, s3, s15
	s_sub_i32 s25, s7, s3
.LBB224_6:
	v_mov_b32_e32 v6, 0
	v_mov_b32_e32 v7, 0
	v_mov_b32_e32 v8, 0
	v_mov_b32_e32 v5, 0
	s_and_b32 s3, exec_lo, s9
	s_mov_b32 s14, 0
	s_cselect_b32 s3, s8, 0
	s_mov_b32 s13, exec_lo
	v_cmpx_gt_i32_e64 s12, v0
	s_cbranch_execz .LBB224_10
; %bb.7:
	s_load_dwordx4 s[8:11], s[4:5], 0x0
	s_waitcnt lgkmcnt(0)
	s_mul_hi_u32 s15, s23, s3
	s_mul_hi_i32 s27, s1, s3
	s_mul_i32 s26, s1, s3
	s_mul_i32 s20, s24, s20
	;; [unrolled: 1-line block ×4, first 2 shown]
	s_add_i32 s1, s3, s15
	s_lshl_b64 s[26:27], s[26:27], 2
	s_ashr_i32 s21, s20, 31
	s_ashr_i32 s25, s24, 31
	;; [unrolled: 1-line block ×3, first 2 shown]
	s_lshr_b32 s15, s1, s19
	s_mov_b32 s30, s17
	s_mul_hi_i32 s1, s15, s0
	s_mul_i32 s0, s15, s0
	v_lshlrev_b32_e32 v2, 3, v0
	v_lshlrev_b32_e32 v1, 2, v0
	v_mov_b32_e32 v5, 0
	v_mov_b32_e32 v9, v0
	s_add_u32 s16, s10, s26
	s_addc_u32 s19, s11, s27
	s_lshl_b64 s[28:29], s[28:29], 2
	v_mov_b32_e32 v8, 0
	s_add_u32 s15, s16, s28
	s_addc_u32 s16, s19, s29
	s_lshl_b64 s[20:21], s[20:21], 1
	s_ashr_i32 s31, s17, 31
	s_add_i32 s19, s17, s17
	s_lshl_b64 s[0:1], s[0:1], 1
	s_lshl_b64 s[24:25], s[24:25], 1
	s_add_u32 s8, s8, s20
	s_addc_u32 s9, s9, s21
	s_add_u32 s8, s8, s24
	s_addc_u32 s9, s9, s25
	;; [unrolled: 2-line block ×3, first 2 shown]
	s_lshl_b64 s[0:1], s[30:31], 3
	s_add_u32 s10, s10, s28
	s_addc_u32 s11, s11, s29
	s_add_u32 s10, s10, s26
	s_addc_u32 s11, s11, s27
	v_add_co_u32 v3, s10, s10, v2
	v_add_co_ci_u32_e64 v4, null, s11, 0, s10
	v_add_co_u32 v1, s8, s8, v1
	v_add_co_u32 v3, vcc_lo, v3, 4
	v_add_co_ci_u32_e64 v2, null, s9, 0, s8
	v_add_co_ci_u32_e64 v4, null, 0, v4, vcc_lo
	v_mov_b32_e32 v7, 0
	v_mov_b32_e32 v6, 0
	s_mul_i32 s8, s17, 3
.LBB224_8:                              ; =>This Inner Loop Header: Depth=1
	v_add_nc_u32_e32 v10, s19, v9
	v_add_nc_u32_e32 v14, s8, v9
	v_add_co_u32 v12, vcc_lo, v3, s0
	v_add_co_ci_u32_e64 v13, null, s1, v4, vcc_lo
	v_ashrrev_i32_e32 v11, 31, v10
	v_ashrrev_i32_e32 v15, 31, v14
	v_add_nc_u32_e32 v9, 32, v9
	v_lshlrev_b64 v[10:11], 3, v[10:11]
	v_lshlrev_b64 v[14:15], 3, v[14:15]
	v_add_co_u32 v10, vcc_lo, s15, v10
	v_add_co_ci_u32_e64 v11, null, s16, v11, vcc_lo
	v_add_co_u32 v14, vcc_lo, s15, v14
	v_add_co_ci_u32_e64 v15, null, s16, v15, vcc_lo
	global_load_dword v18, v[1:2], off
	s_clause 0x1
	global_load_dwordx2 v[16:17], v[3:4], off offset:-4
	global_load_dwordx2 v[12:13], v[12:13], off offset:-4
	s_clause 0x1
	global_load_dwordx2 v[10:11], v[10:11], off
	global_load_dwordx2 v[14:15], v[14:15], off
	v_add_co_u32 v1, vcc_lo, 0x80, v1
	v_add_co_ci_u32_e64 v2, null, 0, v2, vcc_lo
	v_add_co_u32 v3, vcc_lo, 0x100, v3
	v_add_co_ci_u32_e64 v4, null, 0, v4, vcc_lo
	v_cmp_le_i32_e32 vcc_lo, s12, v9
	s_or_b32 s14, vcc_lo, s14
	s_waitcnt vmcnt(3)
	v_fma_mix_f32 v5, v16, v18, v5 op_sel_hi:[0,1,0]
	s_waitcnt vmcnt(2)
	v_fma_mix_f32 v8, v12, v18, v8 op_sel_hi:[0,1,0]
	;; [unrolled: 2-line block ×4, first 2 shown]
	v_fma_mix_f32 v5, v17, v18, v5 op_sel:[0,1,0] op_sel_hi:[0,1,0]
	v_fma_mix_f32 v8, v13, v18, v8 op_sel:[0,1,0] op_sel_hi:[0,1,0]
	;; [unrolled: 1-line block ×4, first 2 shown]
	s_andn2_b32 exec_lo, exec_lo, s14
	s_cbranch_execnz .LBB224_8
; %bb.9:
	s_or_b32 exec_lo, exec_lo, s14
.LBB224_10:
	s_or_b32 exec_lo, exec_lo, s13
	v_mbcnt_lo_u32_b32 v1, -1, 0
	s_mov_b32 s0, exec_lo
	v_xor_b32_e32 v2, 16, v1
	v_xor_b32_e32 v10, 8, v1
	v_cmp_gt_i32_e32 vcc_lo, 32, v2
	v_cndmask_b32_e32 v2, v1, v2, vcc_lo
	v_cmp_gt_i32_e32 vcc_lo, 32, v10
	v_lshlrev_b32_e32 v2, 2, v2
	v_cndmask_b32_e32 v10, v1, v10, vcc_lo
	ds_bpermute_b32 v3, v2, v5
	ds_bpermute_b32 v4, v2, v8
	;; [unrolled: 1-line block ×4, first 2 shown]
	v_lshlrev_b32_e32 v10, 2, v10
	s_waitcnt lgkmcnt(0)
	v_add_f32_e32 v3, v5, v3
	v_add_f32_e32 v4, v8, v4
	;; [unrolled: 1-line block ×4, first 2 shown]
	ds_bpermute_b32 v6, v10, v3
	ds_bpermute_b32 v7, v10, v4
	ds_bpermute_b32 v8, v10, v5
	ds_bpermute_b32 v9, v10, v2
	v_xor_b32_e32 v10, 4, v1
	v_cmp_gt_i32_e32 vcc_lo, 32, v10
	v_cndmask_b32_e32 v10, v1, v10, vcc_lo
	v_lshlrev_b32_e32 v10, 2, v10
	s_waitcnt lgkmcnt(3)
	v_add_f32_e32 v3, v3, v6
	s_waitcnt lgkmcnt(2)
	v_add_f32_e32 v4, v4, v7
	s_waitcnt lgkmcnt(1)
	v_add_f32_e32 v5, v5, v8
	s_waitcnt lgkmcnt(0)
	v_add_f32_e32 v2, v2, v9
	ds_bpermute_b32 v6, v10, v3
	ds_bpermute_b32 v7, v10, v4
	ds_bpermute_b32 v8, v10, v5
	ds_bpermute_b32 v9, v10, v2
	v_xor_b32_e32 v10, 2, v1
	v_cmp_gt_i32_e32 vcc_lo, 32, v10
	v_cndmask_b32_e32 v10, v1, v10, vcc_lo
	v_lshlrev_b32_e32 v10, 2, v10
	s_waitcnt lgkmcnt(3)
	v_add_f32_e32 v3, v3, v6
	s_waitcnt lgkmcnt(2)
	v_add_f32_e32 v4, v4, v7
	s_waitcnt lgkmcnt(1)
	v_add_f32_e32 v5, v5, v8
	s_waitcnt lgkmcnt(0)
	v_add_f32_e32 v2, v2, v9
	;; [unrolled: 16-line block ×3, first 2 shown]
	ds_bpermute_b32 v7, v10, v3
	ds_bpermute_b32 v8, v10, v4
	;; [unrolled: 1-line block ×4, first 2 shown]
	v_cmpx_gt_u32_e32 4, v0
	s_cbranch_execz .LBB224_12
; %bb.11:
	s_load_dwordx2 s[0:1], s[4:5], 0x38
	v_mad_u64_u32 v[9:10], null, s18, v0, s[6:7]
	s_waitcnt lgkmcnt(0)
	v_add_f32_e32 v3, v3, v7
	v_add_f32_e32 v4, v4, v8
	v_cmp_eq_u32_e32 vcc_lo, 1, v0
	v_add_f32_e32 v1, v1, v5
	v_add_f32_e32 v5, v2, v6
	s_mul_hi_i32 s5, s2, s3
	v_ashrrev_i32_e32 v10, 31, v9
	v_cndmask_b32_e32 v2, v3, v4, vcc_lo
	v_cmp_eq_u32_e32 vcc_lo, 2, v0
	s_mul_i32 s4, s2, s3
	s_mul_i32 s2, s22, s7
	s_lshl_b64 s[4:5], s[4:5], 2
	s_ashr_i32 s3, s2, 31
	v_cndmask_b32_e32 v3, v2, v1, vcc_lo
	v_lshlrev_b64 v[1:2], 2, v[9:10]
	v_cmp_eq_u32_e32 vcc_lo, 3, v0
	s_add_u32 s4, s0, s4
	s_addc_u32 s5, s1, s5
	s_lshl_b64 s[0:1], s[2:3], 2
	v_cndmask_b32_e32 v3, v3, v5, vcc_lo
	s_add_u32 s0, s4, s0
	s_addc_u32 s1, s5, s1
	v_add_co_u32 v0, vcc_lo, s0, v1
	v_add_co_ci_u32_e64 v1, null, s1, v2, vcc_lo
	global_store_dword v[0:1], v3, off
.LBB224_12:
	s_endpgm
	.section	.rodata,"a",@progbits
	.p2align	6, 0x0
	.amdhsa_kernel _ZL13mul_mat_vec_fI6__halffLi4ELi32ELb0ELb0EEvPKT_PKfPKi31ggml_cuda_mm_fusion_args_devicePfi15HIP_vector_typeIjLj3EEiiiSB_iiiSB_iiii
		.amdhsa_group_segment_fixed_size 0
		.amdhsa_private_segment_fixed_size 0
		.amdhsa_kernarg_size 144
		.amdhsa_user_sgpr_count 6
		.amdhsa_user_sgpr_private_segment_buffer 1
		.amdhsa_user_sgpr_dispatch_ptr 0
		.amdhsa_user_sgpr_queue_ptr 0
		.amdhsa_user_sgpr_kernarg_segment_ptr 1
		.amdhsa_user_sgpr_dispatch_id 0
		.amdhsa_user_sgpr_flat_scratch_init 0
		.amdhsa_user_sgpr_private_segment_size 0
		.amdhsa_wavefront_size32 1
		.amdhsa_uses_dynamic_stack 0
		.amdhsa_system_sgpr_private_segment_wavefront_offset 0
		.amdhsa_system_sgpr_workgroup_id_x 1
		.amdhsa_system_sgpr_workgroup_id_y 1
		.amdhsa_system_sgpr_workgroup_id_z 1
		.amdhsa_system_sgpr_workgroup_info 0
		.amdhsa_system_vgpr_workitem_id 0
		.amdhsa_next_free_vgpr 19
		.amdhsa_next_free_sgpr 32
		.amdhsa_reserve_vcc 1
		.amdhsa_reserve_flat_scratch 0
		.amdhsa_float_round_mode_32 0
		.amdhsa_float_round_mode_16_64 0
		.amdhsa_float_denorm_mode_32 3
		.amdhsa_float_denorm_mode_16_64 3
		.amdhsa_dx10_clamp 1
		.amdhsa_ieee_mode 1
		.amdhsa_fp16_overflow 0
		.amdhsa_workgroup_processor_mode 1
		.amdhsa_memory_ordered 1
		.amdhsa_forward_progress 1
		.amdhsa_shared_vgpr_count 0
		.amdhsa_exception_fp_ieee_invalid_op 0
		.amdhsa_exception_fp_denorm_src 0
		.amdhsa_exception_fp_ieee_div_zero 0
		.amdhsa_exception_fp_ieee_overflow 0
		.amdhsa_exception_fp_ieee_underflow 0
		.amdhsa_exception_fp_ieee_inexact 0
		.amdhsa_exception_int_div_zero 0
	.end_amdhsa_kernel
	.section	.text._ZL13mul_mat_vec_fI6__halffLi4ELi32ELb0ELb0EEvPKT_PKfPKi31ggml_cuda_mm_fusion_args_devicePfi15HIP_vector_typeIjLj3EEiiiSB_iiiSB_iiii,"axG",@progbits,_ZL13mul_mat_vec_fI6__halffLi4ELi32ELb0ELb0EEvPKT_PKfPKi31ggml_cuda_mm_fusion_args_devicePfi15HIP_vector_typeIjLj3EEiiiSB_iiiSB_iiii,comdat
.Lfunc_end224:
	.size	_ZL13mul_mat_vec_fI6__halffLi4ELi32ELb0ELb0EEvPKT_PKfPKi31ggml_cuda_mm_fusion_args_devicePfi15HIP_vector_typeIjLj3EEiiiSB_iiiSB_iiii, .Lfunc_end224-_ZL13mul_mat_vec_fI6__halffLi4ELi32ELb0ELb0EEvPKT_PKfPKi31ggml_cuda_mm_fusion_args_devicePfi15HIP_vector_typeIjLj3EEiiiSB_iiiSB_iiii
                                        ; -- End function
	.set _ZL13mul_mat_vec_fI6__halffLi4ELi32ELb0ELb0EEvPKT_PKfPKi31ggml_cuda_mm_fusion_args_devicePfi15HIP_vector_typeIjLj3EEiiiSB_iiiSB_iiii.num_vgpr, 19
	.set _ZL13mul_mat_vec_fI6__halffLi4ELi32ELb0ELb0EEvPKT_PKfPKi31ggml_cuda_mm_fusion_args_devicePfi15HIP_vector_typeIjLj3EEiiiSB_iiiSB_iiii.num_agpr, 0
	.set _ZL13mul_mat_vec_fI6__halffLi4ELi32ELb0ELb0EEvPKT_PKfPKi31ggml_cuda_mm_fusion_args_devicePfi15HIP_vector_typeIjLj3EEiiiSB_iiiSB_iiii.numbered_sgpr, 32
	.set _ZL13mul_mat_vec_fI6__halffLi4ELi32ELb0ELb0EEvPKT_PKfPKi31ggml_cuda_mm_fusion_args_devicePfi15HIP_vector_typeIjLj3EEiiiSB_iiiSB_iiii.num_named_barrier, 0
	.set _ZL13mul_mat_vec_fI6__halffLi4ELi32ELb0ELb0EEvPKT_PKfPKi31ggml_cuda_mm_fusion_args_devicePfi15HIP_vector_typeIjLj3EEiiiSB_iiiSB_iiii.private_seg_size, 0
	.set _ZL13mul_mat_vec_fI6__halffLi4ELi32ELb0ELb0EEvPKT_PKfPKi31ggml_cuda_mm_fusion_args_devicePfi15HIP_vector_typeIjLj3EEiiiSB_iiiSB_iiii.uses_vcc, 1
	.set _ZL13mul_mat_vec_fI6__halffLi4ELi32ELb0ELb0EEvPKT_PKfPKi31ggml_cuda_mm_fusion_args_devicePfi15HIP_vector_typeIjLj3EEiiiSB_iiiSB_iiii.uses_flat_scratch, 0
	.set _ZL13mul_mat_vec_fI6__halffLi4ELi32ELb0ELb0EEvPKT_PKfPKi31ggml_cuda_mm_fusion_args_devicePfi15HIP_vector_typeIjLj3EEiiiSB_iiiSB_iiii.has_dyn_sized_stack, 0
	.set _ZL13mul_mat_vec_fI6__halffLi4ELi32ELb0ELb0EEvPKT_PKfPKi31ggml_cuda_mm_fusion_args_devicePfi15HIP_vector_typeIjLj3EEiiiSB_iiiSB_iiii.has_recursion, 0
	.set _ZL13mul_mat_vec_fI6__halffLi4ELi32ELb0ELb0EEvPKT_PKfPKi31ggml_cuda_mm_fusion_args_devicePfi15HIP_vector_typeIjLj3EEiiiSB_iiiSB_iiii.has_indirect_call, 0
	.section	.AMDGPU.csdata,"",@progbits
; Kernel info:
; codeLenInByte = 1248
; TotalNumSgprs: 34
; NumVgprs: 19
; ScratchSize: 0
; MemoryBound: 0
; FloatMode: 240
; IeeeMode: 1
; LDSByteSize: 0 bytes/workgroup (compile time only)
; SGPRBlocks: 0
; VGPRBlocks: 2
; NumSGPRsForWavesPerEU: 34
; NumVGPRsForWavesPerEU: 19
; Occupancy: 16
; WaveLimiterHint : 0
; COMPUTE_PGM_RSRC2:SCRATCH_EN: 0
; COMPUTE_PGM_RSRC2:USER_SGPR: 6
; COMPUTE_PGM_RSRC2:TRAP_HANDLER: 0
; COMPUTE_PGM_RSRC2:TGID_X_EN: 1
; COMPUTE_PGM_RSRC2:TGID_Y_EN: 1
; COMPUTE_PGM_RSRC2:TGID_Z_EN: 1
; COMPUTE_PGM_RSRC2:TIDIG_COMP_CNT: 0
	.section	.text._ZL13mul_mat_vec_fI6__halffLi4ELi64ELb0ELb0EEvPKT_PKfPKi31ggml_cuda_mm_fusion_args_devicePfi15HIP_vector_typeIjLj3EEiiiSB_iiiSB_iiii,"axG",@progbits,_ZL13mul_mat_vec_fI6__halffLi4ELi64ELb0ELb0EEvPKT_PKfPKi31ggml_cuda_mm_fusion_args_devicePfi15HIP_vector_typeIjLj3EEiiiSB_iiiSB_iiii,comdat
	.globl	_ZL13mul_mat_vec_fI6__halffLi4ELi64ELb0ELb0EEvPKT_PKfPKi31ggml_cuda_mm_fusion_args_devicePfi15HIP_vector_typeIjLj3EEiiiSB_iiiSB_iiii ; -- Begin function _ZL13mul_mat_vec_fI6__halffLi4ELi64ELb0ELb0EEvPKT_PKfPKi31ggml_cuda_mm_fusion_args_devicePfi15HIP_vector_typeIjLj3EEiiiSB_iiiSB_iiii
	.p2align	8
	.type	_ZL13mul_mat_vec_fI6__halffLi4ELi64ELb0ELb0EEvPKT_PKfPKi31ggml_cuda_mm_fusion_args_devicePfi15HIP_vector_typeIjLj3EEiiiSB_iiiSB_iiii,@function
_ZL13mul_mat_vec_fI6__halffLi4ELi64ELb0ELb0EEvPKT_PKfPKi31ggml_cuda_mm_fusion_args_devicePfi15HIP_vector_typeIjLj3EEiiiSB_iiiSB_iiii: ; @_ZL13mul_mat_vec_fI6__halffLi4ELi64ELb0ELb0EEvPKT_PKfPKi31ggml_cuda_mm_fusion_args_devicePfi15HIP_vector_typeIjLj3EEiiiSB_iiiSB_iiii
; %bb.0:
	s_clause 0x2
	s_load_dwordx2 s[0:1], s[4:5], 0x10
	s_load_dwordx8 s[12:19], s[4:5], 0x40
	s_load_dwordx4 s[20:23], s[4:5], 0x80
	s_waitcnt lgkmcnt(0)
	s_cmp_eq_u64 s[0:1], 0
	s_cselect_b32 s10, -1, 0
	s_cmp_lg_u64 s[0:1], 0
	s_cselect_b32 s9, -1, 0
	s_and_b32 vcc_lo, exec_lo, s10
	s_cbranch_vccnz .LBB225_2
; %bb.1:
	s_mul_i32 s2, s23, s8
	s_mov_b32 s3, 0
	s_add_i32 s2, s2, s7
	s_lshl_b64 s[24:25], s[2:3], 2
	s_add_u32 s0, s0, s24
	s_addc_u32 s1, s1, s25
	s_load_dword s19, s[0:1], 0x0
	s_cbranch_execz .LBB225_3
	s_branch .LBB225_4
.LBB225_2:
                                        ; implicit-def: $sgpr19
.LBB225_3:
	s_load_dwordx2 s[0:1], s[4:5], 0x5c
	s_waitcnt lgkmcnt(0)
	s_mul_hi_u32 s0, s0, s7
	s_add_i32 s0, s7, s0
	s_lshr_b32 s19, s0, s1
.LBB225_4:
	s_load_dwordx4 s[24:27], s[4:5], 0x68
	s_andn2_b32 vcc_lo, exec_lo, s9
	s_mov_b32 s23, s7
	s_cbranch_vccnz .LBB225_6
; %bb.5:
	s_mul_hi_u32 s0, s13, s7
	s_add_i32 s0, s7, s0
	s_lshr_b32 s0, s0, s14
	s_mul_i32 s0, s0, s15
	s_sub_i32 s23, s7, s0
.LBB225_6:
	s_load_dword s9, s[4:5], 0x78
	v_cmp_gt_u32_e32 vcc_lo, 32, v0
	v_lshl_add_u32 v5, v0, 2, 0
	s_and_saveexec_b32 s0, vcc_lo
; %bb.7:
	v_mov_b32_e32 v1, 0
	ds_write_b32 v5, v1
; %bb.8:
	s_or_b32 exec_lo, exec_lo, s0
	v_mov_b32_e32 v6, 0
	v_mov_b32_e32 v7, 0
	;; [unrolled: 1-line block ×4, first 2 shown]
	s_and_b32 s0, exec_lo, s10
	s_mov_b32 s11, 0
	s_cselect_b32 s10, s8, 0
	s_mov_b32 s13, exec_lo
	s_waitcnt lgkmcnt(0)
	s_barrier
	buffer_gl0_inv
	v_cmpx_gt_i32_e64 s12, v0
	s_cbranch_execz .LBB225_12
; %bb.9:
	s_load_dwordx4 s[0:3], s[4:5], 0x0
	s_mul_hi_u32 s27, s27, s10
	s_mul_hi_i32 s15, s21, s10
	s_mul_i32 s14, s21, s10
	s_mul_i32 s24, s19, s24
	;; [unrolled: 1-line block ×4, first 2 shown]
	s_add_i32 s16, s10, s27
	s_lshl_b64 s[34:35], s[14:15], 2
	s_ashr_i32 s25, s24, 31
	s_ashr_i32 s29, s28, 31
	;; [unrolled: 1-line block ×3, first 2 shown]
	s_lshr_b32 s9, s16, s9
	s_mov_b32 s8, s17
	s_mul_hi_i32 s21, s9, s20
	s_mul_i32 s20, s9, s20
	v_lshlrev_b32_e32 v2, 3, v0
	v_lshlrev_b32_e32 v1, 2, v0
	v_mov_b32_e32 v9, 0
	v_mov_b32_e32 v10, v0
	s_waitcnt lgkmcnt(0)
	s_add_u32 s14, s2, s34
	s_addc_u32 s15, s3, s35
	s_lshl_b64 s[30:31], s[30:31], 2
	v_mov_b32_e32 v8, 0
	s_add_u32 s14, s14, s30
	s_addc_u32 s15, s15, s31
	s_lshl_b64 s[24:25], s[24:25], 1
	s_ashr_i32 s9, s17, 31
	s_add_i32 s16, s17, s17
	s_lshl_b64 s[20:21], s[20:21], 1
	s_lshl_b64 s[28:29], s[28:29], 1
	s_add_u32 s0, s0, s24
	s_addc_u32 s1, s1, s25
	s_add_u32 s0, s0, s28
	s_addc_u32 s1, s1, s29
	;; [unrolled: 2-line block ×3, first 2 shown]
	s_lshl_b64 s[8:9], s[8:9], 3
	s_add_u32 s2, s2, s30
	s_addc_u32 s3, s3, s31
	s_add_u32 s2, s2, s34
	s_addc_u32 s3, s3, s35
	v_add_co_u32 v3, s2, s2, v2
	v_add_co_ci_u32_e64 v4, null, s3, 0, s2
	v_add_co_u32 v1, s0, s0, v1
	v_add_co_ci_u32_e64 v2, null, s1, 0, s0
	;; [unrolled: 2-line block ×3, first 2 shown]
	v_mov_b32_e32 v7, 0
	v_mov_b32_e32 v6, 0
	s_mul_i32 s1, s17, 3
.LBB225_10:                             ; =>This Inner Loop Header: Depth=1
	v_add_nc_u32_e32 v11, s16, v10
	v_add_nc_u32_e32 v15, s1, v10
	v_add_co_u32 v13, s0, v3, s8
	v_add_co_ci_u32_e64 v14, null, s9, v4, s0
	v_ashrrev_i32_e32 v12, 31, v11
	v_ashrrev_i32_e32 v16, 31, v15
	v_add_nc_u32_e32 v10, 64, v10
	v_lshlrev_b64 v[11:12], 3, v[11:12]
	v_lshlrev_b64 v[15:16], 3, v[15:16]
	v_add_co_u32 v11, s0, s14, v11
	v_add_co_ci_u32_e64 v12, null, s15, v12, s0
	v_add_co_u32 v15, s0, s14, v15
	v_add_co_ci_u32_e64 v16, null, s15, v16, s0
	global_load_dword v19, v[1:2], off
	s_clause 0x1
	global_load_dwordx2 v[17:18], v[3:4], off offset:-4
	global_load_dwordx2 v[13:14], v[13:14], off offset:-4
	s_clause 0x1
	global_load_dwordx2 v[11:12], v[11:12], off
	global_load_dwordx2 v[15:16], v[15:16], off
	v_add_co_u32 v1, s0, 0x100, v1
	v_add_co_ci_u32_e64 v2, null, 0, v2, s0
	v_add_co_u32 v3, s0, 0x200, v3
	v_add_co_ci_u32_e64 v4, null, 0, v4, s0
	v_cmp_le_i32_e64 s0, s12, v10
	s_or_b32 s11, s0, s11
	s_waitcnt vmcnt(3)
	v_fma_mix_f32 v9, v17, v19, v9 op_sel_hi:[0,1,0]
	s_waitcnt vmcnt(2)
	v_fma_mix_f32 v8, v13, v19, v8 op_sel_hi:[0,1,0]
	;; [unrolled: 2-line block ×4, first 2 shown]
	v_fma_mix_f32 v9, v18, v19, v9 op_sel:[0,1,0] op_sel_hi:[0,1,0]
	v_fma_mix_f32 v8, v14, v19, v8 op_sel:[0,1,0] op_sel_hi:[0,1,0]
	;; [unrolled: 1-line block ×4, first 2 shown]
	s_andn2_b32 exec_lo, exec_lo, s11
	s_cbranch_execnz .LBB225_10
; %bb.11:
	s_or_b32 exec_lo, exec_lo, s11
.LBB225_12:
	s_or_b32 exec_lo, exec_lo, s13
	v_mbcnt_lo_u32_b32 v2, -1, 0
	v_xor_b32_e32 v1, 16, v2
	v_xor_b32_e32 v3, 8, v2
	v_cmp_gt_i32_e64 s0, 32, v1
	v_cndmask_b32_e64 v1, v2, v1, s0
	v_cmp_gt_i32_e64 s0, 32, v3
	v_lshlrev_b32_e32 v1, 2, v1
	v_cndmask_b32_e64 v3, v2, v3, s0
	ds_bpermute_b32 v4, v1, v9
	v_lshlrev_b32_e32 v3, 2, v3
	s_waitcnt lgkmcnt(0)
	v_add_f32_e32 v9, v9, v4
	v_xor_b32_e32 v4, 4, v2
	ds_bpermute_b32 v10, v3, v9
	v_cmp_gt_i32_e64 s0, 32, v4
	v_cndmask_b32_e64 v4, v2, v4, s0
	v_lshlrev_b32_e32 v4, 2, v4
	s_waitcnt lgkmcnt(0)
	v_add_f32_e32 v10, v9, v10
	v_xor_b32_e32 v9, 2, v2
	ds_bpermute_b32 v11, v4, v10
	v_cmp_gt_i32_e64 s0, 32, v9
	v_cndmask_b32_e64 v9, v2, v9, s0
	;; [unrolled: 7-line block ×3, first 2 shown]
	v_lshlrev_b32_e32 v10, 2, v2
	s_waitcnt lgkmcnt(0)
	v_add_f32_e32 v2, v11, v12
	v_lshrrev_b32_e32 v11, 3, v0
	ds_bpermute_b32 v12, v10, v2
	v_and_b32_e32 v11, 0x7c, v11
	v_add_nc_u32_e32 v11, 0, v11
	s_waitcnt lgkmcnt(0)
	v_add_f32_e32 v2, v2, v12
	ds_write_b32 v11, v2
	s_waitcnt lgkmcnt(0)
	s_barrier
	buffer_gl0_inv
	s_and_saveexec_b32 s0, vcc_lo
	s_cbranch_execz .LBB225_14
; %bb.13:
	ds_read_b32 v2, v5
	s_waitcnt lgkmcnt(0)
	ds_bpermute_b32 v12, v1, v2
	s_waitcnt lgkmcnt(0)
	v_add_f32_e32 v2, v2, v12
	ds_bpermute_b32 v12, v3, v2
	s_waitcnt lgkmcnt(0)
	v_add_f32_e32 v2, v2, v12
	ds_bpermute_b32 v12, v4, v2
	s_waitcnt lgkmcnt(0)
	v_add_f32_e32 v2, v2, v12
	ds_bpermute_b32 v12, v9, v2
	s_waitcnt lgkmcnt(0)
	v_add_f32_e32 v2, v2, v12
	ds_bpermute_b32 v12, v10, v2
	s_waitcnt lgkmcnt(0)
	v_add_f32_e32 v2, v2, v12
.LBB225_14:
	s_or_b32 exec_lo, exec_lo, s0
	ds_bpermute_b32 v12, v1, v8
	s_waitcnt lgkmcnt(0)
	s_barrier
	buffer_gl0_inv
	v_add_f32_e32 v8, v8, v12
	ds_bpermute_b32 v12, v3, v8
	s_waitcnt lgkmcnt(0)
	v_add_f32_e32 v8, v8, v12
	ds_bpermute_b32 v12, v4, v8
	s_waitcnt lgkmcnt(0)
	v_add_f32_e32 v8, v8, v12
	ds_bpermute_b32 v12, v9, v8
	s_waitcnt lgkmcnt(0)
	v_add_f32_e32 v8, v8, v12
	ds_bpermute_b32 v12, v10, v8
	s_waitcnt lgkmcnt(0)
	v_add_f32_e32 v8, v8, v12
	ds_write_b32 v11, v8
	s_waitcnt lgkmcnt(0)
	s_barrier
	buffer_gl0_inv
	s_and_saveexec_b32 s0, vcc_lo
	s_cbranch_execz .LBB225_16
; %bb.15:
	ds_read_b32 v8, v5
	s_waitcnt lgkmcnt(0)
	ds_bpermute_b32 v12, v1, v8
	s_waitcnt lgkmcnt(0)
	v_add_f32_e32 v8, v8, v12
	ds_bpermute_b32 v12, v3, v8
	s_waitcnt lgkmcnt(0)
	v_add_f32_e32 v8, v8, v12
	ds_bpermute_b32 v12, v4, v8
	s_waitcnt lgkmcnt(0)
	v_add_f32_e32 v8, v8, v12
	ds_bpermute_b32 v12, v9, v8
	s_waitcnt lgkmcnt(0)
	v_add_f32_e32 v8, v8, v12
	ds_bpermute_b32 v12, v10, v8
	s_waitcnt lgkmcnt(0)
	v_add_f32_e32 v8, v8, v12
.LBB225_16:
	s_or_b32 exec_lo, exec_lo, s0
	ds_bpermute_b32 v12, v1, v7
	s_waitcnt lgkmcnt(0)
	s_barrier
	buffer_gl0_inv
	v_add_f32_e32 v7, v7, v12
	ds_bpermute_b32 v12, v3, v7
	s_waitcnt lgkmcnt(0)
	v_add_f32_e32 v7, v7, v12
	ds_bpermute_b32 v12, v4, v7
	s_waitcnt lgkmcnt(0)
	v_add_f32_e32 v7, v7, v12
	ds_bpermute_b32 v12, v9, v7
	s_waitcnt lgkmcnt(0)
	v_add_f32_e32 v7, v7, v12
	ds_bpermute_b32 v12, v10, v7
	;; [unrolled: 43-line block ×3, first 2 shown]
	s_waitcnt lgkmcnt(0)
	v_add_f32_e32 v6, v6, v12
	ds_write_b32 v11, v6
	s_waitcnt lgkmcnt(0)
	s_barrier
	buffer_gl0_inv
	s_and_saveexec_b32 s0, vcc_lo
	s_cbranch_execz .LBB225_20
; %bb.19:
	ds_read_b32 v5, v5
	s_waitcnt lgkmcnt(0)
	ds_bpermute_b32 v1, v1, v5
	s_waitcnt lgkmcnt(0)
	v_add_f32_e32 v1, v5, v1
	ds_bpermute_b32 v3, v3, v1
	s_waitcnt lgkmcnt(0)
	v_add_f32_e32 v1, v1, v3
	;; [unrolled: 3-line block ×5, first 2 shown]
.LBB225_20:
	s_or_b32 exec_lo, exec_lo, s0
	s_barrier
	buffer_gl0_inv
	s_mov_b32 s0, exec_lo
	v_cmpx_gt_u32_e32 4, v0
	s_cbranch_execz .LBB225_22
; %bb.21:
	s_load_dwordx2 s[0:1], s[4:5], 0x38
	v_mad_u64_u32 v[3:4], null, s18, v0, s[6:7]
	v_cmp_eq_u32_e32 vcc_lo, 1, v0
	s_mul_hi_i32 s3, s22, s10
	s_mul_i32 s2, s22, s10
	s_mul_i32 s4, s26, s7
	s_lshl_b64 s[2:3], s[2:3], 2
	v_cndmask_b32_e32 v1, v2, v8, vcc_lo
	v_ashrrev_i32_e32 v4, 31, v3
	v_cmp_eq_u32_e32 vcc_lo, 2, v0
	s_ashr_i32 s5, s4, 31
	v_cndmask_b32_e32 v5, v1, v7, vcc_lo
	v_lshlrev_b64 v[1:2], 2, v[3:4]
	v_cmp_eq_u32_e32 vcc_lo, 3, v0
	s_waitcnt lgkmcnt(0)
	s_add_u32 s2, s0, s2
	s_addc_u32 s3, s1, s3
	s_lshl_b64 s[0:1], s[4:5], 2
	v_cndmask_b32_e32 v3, v5, v6, vcc_lo
	s_add_u32 s0, s2, s0
	s_addc_u32 s1, s3, s1
	v_add_co_u32 v0, vcc_lo, s0, v1
	v_add_co_ci_u32_e64 v1, null, s1, v2, vcc_lo
	global_store_dword v[0:1], v3, off
.LBB225_22:
	s_endpgm
	.section	.rodata,"a",@progbits
	.p2align	6, 0x0
	.amdhsa_kernel _ZL13mul_mat_vec_fI6__halffLi4ELi64ELb0ELb0EEvPKT_PKfPKi31ggml_cuda_mm_fusion_args_devicePfi15HIP_vector_typeIjLj3EEiiiSB_iiiSB_iiii
		.amdhsa_group_segment_fixed_size 0
		.amdhsa_private_segment_fixed_size 0
		.amdhsa_kernarg_size 144
		.amdhsa_user_sgpr_count 6
		.amdhsa_user_sgpr_private_segment_buffer 1
		.amdhsa_user_sgpr_dispatch_ptr 0
		.amdhsa_user_sgpr_queue_ptr 0
		.amdhsa_user_sgpr_kernarg_segment_ptr 1
		.amdhsa_user_sgpr_dispatch_id 0
		.amdhsa_user_sgpr_flat_scratch_init 0
		.amdhsa_user_sgpr_private_segment_size 0
		.amdhsa_wavefront_size32 1
		.amdhsa_uses_dynamic_stack 0
		.amdhsa_system_sgpr_private_segment_wavefront_offset 0
		.amdhsa_system_sgpr_workgroup_id_x 1
		.amdhsa_system_sgpr_workgroup_id_y 1
		.amdhsa_system_sgpr_workgroup_id_z 1
		.amdhsa_system_sgpr_workgroup_info 0
		.amdhsa_system_vgpr_workitem_id 0
		.amdhsa_next_free_vgpr 20
		.amdhsa_next_free_sgpr 36
		.amdhsa_reserve_vcc 1
		.amdhsa_reserve_flat_scratch 0
		.amdhsa_float_round_mode_32 0
		.amdhsa_float_round_mode_16_64 0
		.amdhsa_float_denorm_mode_32 3
		.amdhsa_float_denorm_mode_16_64 3
		.amdhsa_dx10_clamp 1
		.amdhsa_ieee_mode 1
		.amdhsa_fp16_overflow 0
		.amdhsa_workgroup_processor_mode 1
		.amdhsa_memory_ordered 1
		.amdhsa_forward_progress 1
		.amdhsa_shared_vgpr_count 0
		.amdhsa_exception_fp_ieee_invalid_op 0
		.amdhsa_exception_fp_denorm_src 0
		.amdhsa_exception_fp_ieee_div_zero 0
		.amdhsa_exception_fp_ieee_overflow 0
		.amdhsa_exception_fp_ieee_underflow 0
		.amdhsa_exception_fp_ieee_inexact 0
		.amdhsa_exception_int_div_zero 0
	.end_amdhsa_kernel
	.section	.text._ZL13mul_mat_vec_fI6__halffLi4ELi64ELb0ELb0EEvPKT_PKfPKi31ggml_cuda_mm_fusion_args_devicePfi15HIP_vector_typeIjLj3EEiiiSB_iiiSB_iiii,"axG",@progbits,_ZL13mul_mat_vec_fI6__halffLi4ELi64ELb0ELb0EEvPKT_PKfPKi31ggml_cuda_mm_fusion_args_devicePfi15HIP_vector_typeIjLj3EEiiiSB_iiiSB_iiii,comdat
.Lfunc_end225:
	.size	_ZL13mul_mat_vec_fI6__halffLi4ELi64ELb0ELb0EEvPKT_PKfPKi31ggml_cuda_mm_fusion_args_devicePfi15HIP_vector_typeIjLj3EEiiiSB_iiiSB_iiii, .Lfunc_end225-_ZL13mul_mat_vec_fI6__halffLi4ELi64ELb0ELb0EEvPKT_PKfPKi31ggml_cuda_mm_fusion_args_devicePfi15HIP_vector_typeIjLj3EEiiiSB_iiiSB_iiii
                                        ; -- End function
	.set _ZL13mul_mat_vec_fI6__halffLi4ELi64ELb0ELb0EEvPKT_PKfPKi31ggml_cuda_mm_fusion_args_devicePfi15HIP_vector_typeIjLj3EEiiiSB_iiiSB_iiii.num_vgpr, 20
	.set _ZL13mul_mat_vec_fI6__halffLi4ELi64ELb0ELb0EEvPKT_PKfPKi31ggml_cuda_mm_fusion_args_devicePfi15HIP_vector_typeIjLj3EEiiiSB_iiiSB_iiii.num_agpr, 0
	.set _ZL13mul_mat_vec_fI6__halffLi4ELi64ELb0ELb0EEvPKT_PKfPKi31ggml_cuda_mm_fusion_args_devicePfi15HIP_vector_typeIjLj3EEiiiSB_iiiSB_iiii.numbered_sgpr, 36
	.set _ZL13mul_mat_vec_fI6__halffLi4ELi64ELb0ELb0EEvPKT_PKfPKi31ggml_cuda_mm_fusion_args_devicePfi15HIP_vector_typeIjLj3EEiiiSB_iiiSB_iiii.num_named_barrier, 0
	.set _ZL13mul_mat_vec_fI6__halffLi4ELi64ELb0ELb0EEvPKT_PKfPKi31ggml_cuda_mm_fusion_args_devicePfi15HIP_vector_typeIjLj3EEiiiSB_iiiSB_iiii.private_seg_size, 0
	.set _ZL13mul_mat_vec_fI6__halffLi4ELi64ELb0ELb0EEvPKT_PKfPKi31ggml_cuda_mm_fusion_args_devicePfi15HIP_vector_typeIjLj3EEiiiSB_iiiSB_iiii.uses_vcc, 1
	.set _ZL13mul_mat_vec_fI6__halffLi4ELi64ELb0ELb0EEvPKT_PKfPKi31ggml_cuda_mm_fusion_args_devicePfi15HIP_vector_typeIjLj3EEiiiSB_iiiSB_iiii.uses_flat_scratch, 0
	.set _ZL13mul_mat_vec_fI6__halffLi4ELi64ELb0ELb0EEvPKT_PKfPKi31ggml_cuda_mm_fusion_args_devicePfi15HIP_vector_typeIjLj3EEiiiSB_iiiSB_iiii.has_dyn_sized_stack, 0
	.set _ZL13mul_mat_vec_fI6__halffLi4ELi64ELb0ELb0EEvPKT_PKfPKi31ggml_cuda_mm_fusion_args_devicePfi15HIP_vector_typeIjLj3EEiiiSB_iiiSB_iiii.has_recursion, 0
	.set _ZL13mul_mat_vec_fI6__halffLi4ELi64ELb0ELb0EEvPKT_PKfPKi31ggml_cuda_mm_fusion_args_devicePfi15HIP_vector_typeIjLj3EEiiiSB_iiiSB_iiii.has_indirect_call, 0
	.section	.AMDGPU.csdata,"",@progbits
; Kernel info:
; codeLenInByte = 1936
; TotalNumSgprs: 38
; NumVgprs: 20
; ScratchSize: 0
; MemoryBound: 0
; FloatMode: 240
; IeeeMode: 1
; LDSByteSize: 0 bytes/workgroup (compile time only)
; SGPRBlocks: 0
; VGPRBlocks: 2
; NumSGPRsForWavesPerEU: 38
; NumVGPRsForWavesPerEU: 20
; Occupancy: 16
; WaveLimiterHint : 0
; COMPUTE_PGM_RSRC2:SCRATCH_EN: 0
; COMPUTE_PGM_RSRC2:USER_SGPR: 6
; COMPUTE_PGM_RSRC2:TRAP_HANDLER: 0
; COMPUTE_PGM_RSRC2:TGID_X_EN: 1
; COMPUTE_PGM_RSRC2:TGID_Y_EN: 1
; COMPUTE_PGM_RSRC2:TGID_Z_EN: 1
; COMPUTE_PGM_RSRC2:TIDIG_COMP_CNT: 0
	.section	.text._ZL13mul_mat_vec_fI6__halffLi4ELi96ELb0ELb0EEvPKT_PKfPKi31ggml_cuda_mm_fusion_args_devicePfi15HIP_vector_typeIjLj3EEiiiSB_iiiSB_iiii,"axG",@progbits,_ZL13mul_mat_vec_fI6__halffLi4ELi96ELb0ELb0EEvPKT_PKfPKi31ggml_cuda_mm_fusion_args_devicePfi15HIP_vector_typeIjLj3EEiiiSB_iiiSB_iiii,comdat
	.globl	_ZL13mul_mat_vec_fI6__halffLi4ELi96ELb0ELb0EEvPKT_PKfPKi31ggml_cuda_mm_fusion_args_devicePfi15HIP_vector_typeIjLj3EEiiiSB_iiiSB_iiii ; -- Begin function _ZL13mul_mat_vec_fI6__halffLi4ELi96ELb0ELb0EEvPKT_PKfPKi31ggml_cuda_mm_fusion_args_devicePfi15HIP_vector_typeIjLj3EEiiiSB_iiiSB_iiii
	.p2align	8
	.type	_ZL13mul_mat_vec_fI6__halffLi4ELi96ELb0ELb0EEvPKT_PKfPKi31ggml_cuda_mm_fusion_args_devicePfi15HIP_vector_typeIjLj3EEiiiSB_iiiSB_iiii,@function
_ZL13mul_mat_vec_fI6__halffLi4ELi96ELb0ELb0EEvPKT_PKfPKi31ggml_cuda_mm_fusion_args_devicePfi15HIP_vector_typeIjLj3EEiiiSB_iiiSB_iiii: ; @_ZL13mul_mat_vec_fI6__halffLi4ELi96ELb0ELb0EEvPKT_PKfPKi31ggml_cuda_mm_fusion_args_devicePfi15HIP_vector_typeIjLj3EEiiiSB_iiiSB_iiii
; %bb.0:
	s_clause 0x2
	s_load_dwordx2 s[0:1], s[4:5], 0x10
	s_load_dwordx8 s[12:19], s[4:5], 0x40
	s_load_dwordx4 s[20:23], s[4:5], 0x80
	s_waitcnt lgkmcnt(0)
	s_cmp_eq_u64 s[0:1], 0
	s_cselect_b32 s10, -1, 0
	s_cmp_lg_u64 s[0:1], 0
	s_cselect_b32 s9, -1, 0
	s_and_b32 vcc_lo, exec_lo, s10
	s_cbranch_vccnz .LBB226_2
; %bb.1:
	s_mul_i32 s2, s23, s8
	s_mov_b32 s3, 0
	s_add_i32 s2, s2, s7
	s_lshl_b64 s[24:25], s[2:3], 2
	s_add_u32 s0, s0, s24
	s_addc_u32 s1, s1, s25
	s_load_dword s19, s[0:1], 0x0
	s_cbranch_execz .LBB226_3
	s_branch .LBB226_4
.LBB226_2:
                                        ; implicit-def: $sgpr19
.LBB226_3:
	s_load_dwordx2 s[0:1], s[4:5], 0x5c
	s_waitcnt lgkmcnt(0)
	s_mul_hi_u32 s0, s0, s7
	s_add_i32 s0, s7, s0
	s_lshr_b32 s19, s0, s1
.LBB226_4:
	s_load_dwordx4 s[24:27], s[4:5], 0x68
	s_andn2_b32 vcc_lo, exec_lo, s9
	s_mov_b32 s23, s7
	s_cbranch_vccnz .LBB226_6
; %bb.5:
	s_mul_hi_u32 s0, s13, s7
	s_add_i32 s0, s7, s0
	s_lshr_b32 s0, s0, s14
	s_mul_i32 s0, s0, s15
	s_sub_i32 s23, s7, s0
.LBB226_6:
	s_load_dword s9, s[4:5], 0x78
	v_cmp_gt_u32_e32 vcc_lo, 32, v0
	v_lshl_add_u32 v5, v0, 2, 0
	s_and_saveexec_b32 s0, vcc_lo
; %bb.7:
	v_mov_b32_e32 v1, 0
	ds_write_b32 v5, v1
; %bb.8:
	s_or_b32 exec_lo, exec_lo, s0
	v_mov_b32_e32 v6, 0
	v_mov_b32_e32 v7, 0
	;; [unrolled: 1-line block ×4, first 2 shown]
	s_and_b32 s0, exec_lo, s10
	s_mov_b32 s11, 0
	s_cselect_b32 s10, s8, 0
	s_mov_b32 s13, exec_lo
	s_waitcnt lgkmcnt(0)
	s_barrier
	buffer_gl0_inv
	v_cmpx_gt_i32_e64 s12, v0
	s_cbranch_execz .LBB226_12
; %bb.9:
	s_load_dwordx4 s[0:3], s[4:5], 0x0
	s_mul_hi_u32 s27, s27, s10
	s_mul_hi_i32 s15, s21, s10
	s_mul_i32 s14, s21, s10
	s_mul_i32 s24, s19, s24
	;; [unrolled: 1-line block ×4, first 2 shown]
	s_add_i32 s16, s10, s27
	s_lshl_b64 s[34:35], s[14:15], 2
	s_ashr_i32 s25, s24, 31
	s_ashr_i32 s29, s28, 31
	;; [unrolled: 1-line block ×3, first 2 shown]
	s_lshr_b32 s9, s16, s9
	s_mov_b32 s8, s17
	s_mul_hi_i32 s21, s9, s20
	s_mul_i32 s20, s9, s20
	v_lshlrev_b32_e32 v2, 3, v0
	v_lshlrev_b32_e32 v1, 2, v0
	v_mov_b32_e32 v9, 0
	v_mov_b32_e32 v10, v0
	s_waitcnt lgkmcnt(0)
	s_add_u32 s14, s2, s34
	s_addc_u32 s15, s3, s35
	s_lshl_b64 s[30:31], s[30:31], 2
	v_mov_b32_e32 v8, 0
	s_add_u32 s14, s14, s30
	s_addc_u32 s15, s15, s31
	s_lshl_b64 s[24:25], s[24:25], 1
	s_ashr_i32 s9, s17, 31
	s_add_i32 s16, s17, s17
	s_lshl_b64 s[20:21], s[20:21], 1
	s_lshl_b64 s[28:29], s[28:29], 1
	s_add_u32 s0, s0, s24
	s_addc_u32 s1, s1, s25
	s_add_u32 s0, s0, s28
	s_addc_u32 s1, s1, s29
	s_add_u32 s0, s0, s20
	s_addc_u32 s1, s1, s21
	s_lshl_b64 s[8:9], s[8:9], 3
	s_add_u32 s2, s2, s30
	s_addc_u32 s3, s3, s31
	s_add_u32 s2, s2, s34
	s_addc_u32 s3, s3, s35
	v_add_co_u32 v3, s2, s2, v2
	v_add_co_ci_u32_e64 v4, null, s3, 0, s2
	v_add_co_u32 v1, s0, s0, v1
	v_add_co_ci_u32_e64 v2, null, s1, 0, s0
	;; [unrolled: 2-line block ×3, first 2 shown]
	v_mov_b32_e32 v7, 0
	v_mov_b32_e32 v6, 0
	s_mul_i32 s1, s17, 3
.LBB226_10:                             ; =>This Inner Loop Header: Depth=1
	v_add_nc_u32_e32 v11, s16, v10
	v_add_nc_u32_e32 v15, s1, v10
	v_add_co_u32 v13, s0, v3, s8
	v_add_co_ci_u32_e64 v14, null, s9, v4, s0
	v_ashrrev_i32_e32 v12, 31, v11
	v_ashrrev_i32_e32 v16, 31, v15
	v_add_nc_u32_e32 v10, 0x60, v10
	v_lshlrev_b64 v[11:12], 3, v[11:12]
	v_lshlrev_b64 v[15:16], 3, v[15:16]
	v_add_co_u32 v11, s0, s14, v11
	v_add_co_ci_u32_e64 v12, null, s15, v12, s0
	v_add_co_u32 v15, s0, s14, v15
	v_add_co_ci_u32_e64 v16, null, s15, v16, s0
	global_load_dword v19, v[1:2], off
	s_clause 0x1
	global_load_dwordx2 v[17:18], v[3:4], off offset:-4
	global_load_dwordx2 v[13:14], v[13:14], off offset:-4
	s_clause 0x1
	global_load_dwordx2 v[11:12], v[11:12], off
	global_load_dwordx2 v[15:16], v[15:16], off
	v_add_co_u32 v1, s0, 0x180, v1
	v_add_co_ci_u32_e64 v2, null, 0, v2, s0
	v_add_co_u32 v3, s0, 0x300, v3
	v_add_co_ci_u32_e64 v4, null, 0, v4, s0
	v_cmp_le_i32_e64 s0, s12, v10
	s_or_b32 s11, s0, s11
	s_waitcnt vmcnt(3)
	v_fma_mix_f32 v9, v17, v19, v9 op_sel_hi:[0,1,0]
	s_waitcnt vmcnt(2)
	v_fma_mix_f32 v8, v13, v19, v8 op_sel_hi:[0,1,0]
	;; [unrolled: 2-line block ×4, first 2 shown]
	v_fma_mix_f32 v9, v18, v19, v9 op_sel:[0,1,0] op_sel_hi:[0,1,0]
	v_fma_mix_f32 v8, v14, v19, v8 op_sel:[0,1,0] op_sel_hi:[0,1,0]
	;; [unrolled: 1-line block ×4, first 2 shown]
	s_andn2_b32 exec_lo, exec_lo, s11
	s_cbranch_execnz .LBB226_10
; %bb.11:
	s_or_b32 exec_lo, exec_lo, s11
.LBB226_12:
	s_or_b32 exec_lo, exec_lo, s13
	v_mbcnt_lo_u32_b32 v2, -1, 0
	v_xor_b32_e32 v1, 16, v2
	v_xor_b32_e32 v3, 8, v2
	v_cmp_gt_i32_e64 s0, 32, v1
	v_cndmask_b32_e64 v1, v2, v1, s0
	v_cmp_gt_i32_e64 s0, 32, v3
	v_lshlrev_b32_e32 v1, 2, v1
	v_cndmask_b32_e64 v3, v2, v3, s0
	ds_bpermute_b32 v4, v1, v9
	v_lshlrev_b32_e32 v3, 2, v3
	s_waitcnt lgkmcnt(0)
	v_add_f32_e32 v9, v9, v4
	v_xor_b32_e32 v4, 4, v2
	ds_bpermute_b32 v10, v3, v9
	v_cmp_gt_i32_e64 s0, 32, v4
	v_cndmask_b32_e64 v4, v2, v4, s0
	v_lshlrev_b32_e32 v4, 2, v4
	s_waitcnt lgkmcnt(0)
	v_add_f32_e32 v10, v9, v10
	v_xor_b32_e32 v9, 2, v2
	ds_bpermute_b32 v11, v4, v10
	v_cmp_gt_i32_e64 s0, 32, v9
	v_cndmask_b32_e64 v9, v2, v9, s0
	;; [unrolled: 7-line block ×3, first 2 shown]
	v_lshlrev_b32_e32 v10, 2, v2
	s_waitcnt lgkmcnt(0)
	v_add_f32_e32 v2, v11, v12
	v_lshrrev_b32_e32 v11, 3, v0
	ds_bpermute_b32 v12, v10, v2
	v_and_b32_e32 v11, 0x7c, v11
	v_add_nc_u32_e32 v11, 0, v11
	s_waitcnt lgkmcnt(0)
	v_add_f32_e32 v2, v2, v12
	ds_write_b32 v11, v2
	s_waitcnt lgkmcnt(0)
	s_barrier
	buffer_gl0_inv
	s_and_saveexec_b32 s0, vcc_lo
	s_cbranch_execz .LBB226_14
; %bb.13:
	ds_read_b32 v2, v5
	s_waitcnt lgkmcnt(0)
	ds_bpermute_b32 v12, v1, v2
	s_waitcnt lgkmcnt(0)
	v_add_f32_e32 v2, v2, v12
	ds_bpermute_b32 v12, v3, v2
	s_waitcnt lgkmcnt(0)
	v_add_f32_e32 v2, v2, v12
	ds_bpermute_b32 v12, v4, v2
	s_waitcnt lgkmcnt(0)
	v_add_f32_e32 v2, v2, v12
	ds_bpermute_b32 v12, v9, v2
	s_waitcnt lgkmcnt(0)
	v_add_f32_e32 v2, v2, v12
	ds_bpermute_b32 v12, v10, v2
	s_waitcnt lgkmcnt(0)
	v_add_f32_e32 v2, v2, v12
.LBB226_14:
	s_or_b32 exec_lo, exec_lo, s0
	ds_bpermute_b32 v12, v1, v8
	s_waitcnt lgkmcnt(0)
	s_barrier
	buffer_gl0_inv
	v_add_f32_e32 v8, v8, v12
	ds_bpermute_b32 v12, v3, v8
	s_waitcnt lgkmcnt(0)
	v_add_f32_e32 v8, v8, v12
	ds_bpermute_b32 v12, v4, v8
	s_waitcnt lgkmcnt(0)
	v_add_f32_e32 v8, v8, v12
	ds_bpermute_b32 v12, v9, v8
	s_waitcnt lgkmcnt(0)
	v_add_f32_e32 v8, v8, v12
	ds_bpermute_b32 v12, v10, v8
	s_waitcnt lgkmcnt(0)
	v_add_f32_e32 v8, v8, v12
	ds_write_b32 v11, v8
	s_waitcnt lgkmcnt(0)
	s_barrier
	buffer_gl0_inv
	s_and_saveexec_b32 s0, vcc_lo
	s_cbranch_execz .LBB226_16
; %bb.15:
	ds_read_b32 v8, v5
	s_waitcnt lgkmcnt(0)
	ds_bpermute_b32 v12, v1, v8
	s_waitcnt lgkmcnt(0)
	v_add_f32_e32 v8, v8, v12
	ds_bpermute_b32 v12, v3, v8
	s_waitcnt lgkmcnt(0)
	v_add_f32_e32 v8, v8, v12
	ds_bpermute_b32 v12, v4, v8
	s_waitcnt lgkmcnt(0)
	v_add_f32_e32 v8, v8, v12
	ds_bpermute_b32 v12, v9, v8
	s_waitcnt lgkmcnt(0)
	v_add_f32_e32 v8, v8, v12
	ds_bpermute_b32 v12, v10, v8
	s_waitcnt lgkmcnt(0)
	v_add_f32_e32 v8, v8, v12
.LBB226_16:
	s_or_b32 exec_lo, exec_lo, s0
	ds_bpermute_b32 v12, v1, v7
	s_waitcnt lgkmcnt(0)
	s_barrier
	buffer_gl0_inv
	v_add_f32_e32 v7, v7, v12
	ds_bpermute_b32 v12, v3, v7
	s_waitcnt lgkmcnt(0)
	v_add_f32_e32 v7, v7, v12
	ds_bpermute_b32 v12, v4, v7
	s_waitcnt lgkmcnt(0)
	v_add_f32_e32 v7, v7, v12
	ds_bpermute_b32 v12, v9, v7
	s_waitcnt lgkmcnt(0)
	v_add_f32_e32 v7, v7, v12
	ds_bpermute_b32 v12, v10, v7
	;; [unrolled: 43-line block ×3, first 2 shown]
	s_waitcnt lgkmcnt(0)
	v_add_f32_e32 v6, v6, v12
	ds_write_b32 v11, v6
	s_waitcnt lgkmcnt(0)
	s_barrier
	buffer_gl0_inv
	s_and_saveexec_b32 s0, vcc_lo
	s_cbranch_execz .LBB226_20
; %bb.19:
	ds_read_b32 v5, v5
	s_waitcnt lgkmcnt(0)
	ds_bpermute_b32 v1, v1, v5
	s_waitcnt lgkmcnt(0)
	v_add_f32_e32 v1, v5, v1
	ds_bpermute_b32 v3, v3, v1
	s_waitcnt lgkmcnt(0)
	v_add_f32_e32 v1, v1, v3
	;; [unrolled: 3-line block ×5, first 2 shown]
.LBB226_20:
	s_or_b32 exec_lo, exec_lo, s0
	s_barrier
	buffer_gl0_inv
	s_mov_b32 s0, exec_lo
	v_cmpx_gt_u32_e32 4, v0
	s_cbranch_execz .LBB226_22
; %bb.21:
	s_load_dwordx2 s[0:1], s[4:5], 0x38
	v_mad_u64_u32 v[3:4], null, s18, v0, s[6:7]
	v_cmp_eq_u32_e32 vcc_lo, 1, v0
	s_mul_hi_i32 s3, s22, s10
	s_mul_i32 s2, s22, s10
	s_mul_i32 s4, s26, s7
	s_lshl_b64 s[2:3], s[2:3], 2
	v_cndmask_b32_e32 v1, v2, v8, vcc_lo
	v_ashrrev_i32_e32 v4, 31, v3
	v_cmp_eq_u32_e32 vcc_lo, 2, v0
	s_ashr_i32 s5, s4, 31
	v_cndmask_b32_e32 v5, v1, v7, vcc_lo
	v_lshlrev_b64 v[1:2], 2, v[3:4]
	v_cmp_eq_u32_e32 vcc_lo, 3, v0
	s_waitcnt lgkmcnt(0)
	s_add_u32 s2, s0, s2
	s_addc_u32 s3, s1, s3
	s_lshl_b64 s[0:1], s[4:5], 2
	v_cndmask_b32_e32 v3, v5, v6, vcc_lo
	s_add_u32 s0, s2, s0
	s_addc_u32 s1, s3, s1
	v_add_co_u32 v0, vcc_lo, s0, v1
	v_add_co_ci_u32_e64 v1, null, s1, v2, vcc_lo
	global_store_dword v[0:1], v3, off
.LBB226_22:
	s_endpgm
	.section	.rodata,"a",@progbits
	.p2align	6, 0x0
	.amdhsa_kernel _ZL13mul_mat_vec_fI6__halffLi4ELi96ELb0ELb0EEvPKT_PKfPKi31ggml_cuda_mm_fusion_args_devicePfi15HIP_vector_typeIjLj3EEiiiSB_iiiSB_iiii
		.amdhsa_group_segment_fixed_size 0
		.amdhsa_private_segment_fixed_size 0
		.amdhsa_kernarg_size 144
		.amdhsa_user_sgpr_count 6
		.amdhsa_user_sgpr_private_segment_buffer 1
		.amdhsa_user_sgpr_dispatch_ptr 0
		.amdhsa_user_sgpr_queue_ptr 0
		.amdhsa_user_sgpr_kernarg_segment_ptr 1
		.amdhsa_user_sgpr_dispatch_id 0
		.amdhsa_user_sgpr_flat_scratch_init 0
		.amdhsa_user_sgpr_private_segment_size 0
		.amdhsa_wavefront_size32 1
		.amdhsa_uses_dynamic_stack 0
		.amdhsa_system_sgpr_private_segment_wavefront_offset 0
		.amdhsa_system_sgpr_workgroup_id_x 1
		.amdhsa_system_sgpr_workgroup_id_y 1
		.amdhsa_system_sgpr_workgroup_id_z 1
		.amdhsa_system_sgpr_workgroup_info 0
		.amdhsa_system_vgpr_workitem_id 0
		.amdhsa_next_free_vgpr 20
		.amdhsa_next_free_sgpr 36
		.amdhsa_reserve_vcc 1
		.amdhsa_reserve_flat_scratch 0
		.amdhsa_float_round_mode_32 0
		.amdhsa_float_round_mode_16_64 0
		.amdhsa_float_denorm_mode_32 3
		.amdhsa_float_denorm_mode_16_64 3
		.amdhsa_dx10_clamp 1
		.amdhsa_ieee_mode 1
		.amdhsa_fp16_overflow 0
		.amdhsa_workgroup_processor_mode 1
		.amdhsa_memory_ordered 1
		.amdhsa_forward_progress 1
		.amdhsa_shared_vgpr_count 0
		.amdhsa_exception_fp_ieee_invalid_op 0
		.amdhsa_exception_fp_denorm_src 0
		.amdhsa_exception_fp_ieee_div_zero 0
		.amdhsa_exception_fp_ieee_overflow 0
		.amdhsa_exception_fp_ieee_underflow 0
		.amdhsa_exception_fp_ieee_inexact 0
		.amdhsa_exception_int_div_zero 0
	.end_amdhsa_kernel
	.section	.text._ZL13mul_mat_vec_fI6__halffLi4ELi96ELb0ELb0EEvPKT_PKfPKi31ggml_cuda_mm_fusion_args_devicePfi15HIP_vector_typeIjLj3EEiiiSB_iiiSB_iiii,"axG",@progbits,_ZL13mul_mat_vec_fI6__halffLi4ELi96ELb0ELb0EEvPKT_PKfPKi31ggml_cuda_mm_fusion_args_devicePfi15HIP_vector_typeIjLj3EEiiiSB_iiiSB_iiii,comdat
.Lfunc_end226:
	.size	_ZL13mul_mat_vec_fI6__halffLi4ELi96ELb0ELb0EEvPKT_PKfPKi31ggml_cuda_mm_fusion_args_devicePfi15HIP_vector_typeIjLj3EEiiiSB_iiiSB_iiii, .Lfunc_end226-_ZL13mul_mat_vec_fI6__halffLi4ELi96ELb0ELb0EEvPKT_PKfPKi31ggml_cuda_mm_fusion_args_devicePfi15HIP_vector_typeIjLj3EEiiiSB_iiiSB_iiii
                                        ; -- End function
	.set _ZL13mul_mat_vec_fI6__halffLi4ELi96ELb0ELb0EEvPKT_PKfPKi31ggml_cuda_mm_fusion_args_devicePfi15HIP_vector_typeIjLj3EEiiiSB_iiiSB_iiii.num_vgpr, 20
	.set _ZL13mul_mat_vec_fI6__halffLi4ELi96ELb0ELb0EEvPKT_PKfPKi31ggml_cuda_mm_fusion_args_devicePfi15HIP_vector_typeIjLj3EEiiiSB_iiiSB_iiii.num_agpr, 0
	.set _ZL13mul_mat_vec_fI6__halffLi4ELi96ELb0ELb0EEvPKT_PKfPKi31ggml_cuda_mm_fusion_args_devicePfi15HIP_vector_typeIjLj3EEiiiSB_iiiSB_iiii.numbered_sgpr, 36
	.set _ZL13mul_mat_vec_fI6__halffLi4ELi96ELb0ELb0EEvPKT_PKfPKi31ggml_cuda_mm_fusion_args_devicePfi15HIP_vector_typeIjLj3EEiiiSB_iiiSB_iiii.num_named_barrier, 0
	.set _ZL13mul_mat_vec_fI6__halffLi4ELi96ELb0ELb0EEvPKT_PKfPKi31ggml_cuda_mm_fusion_args_devicePfi15HIP_vector_typeIjLj3EEiiiSB_iiiSB_iiii.private_seg_size, 0
	.set _ZL13mul_mat_vec_fI6__halffLi4ELi96ELb0ELb0EEvPKT_PKfPKi31ggml_cuda_mm_fusion_args_devicePfi15HIP_vector_typeIjLj3EEiiiSB_iiiSB_iiii.uses_vcc, 1
	.set _ZL13mul_mat_vec_fI6__halffLi4ELi96ELb0ELb0EEvPKT_PKfPKi31ggml_cuda_mm_fusion_args_devicePfi15HIP_vector_typeIjLj3EEiiiSB_iiiSB_iiii.uses_flat_scratch, 0
	.set _ZL13mul_mat_vec_fI6__halffLi4ELi96ELb0ELb0EEvPKT_PKfPKi31ggml_cuda_mm_fusion_args_devicePfi15HIP_vector_typeIjLj3EEiiiSB_iiiSB_iiii.has_dyn_sized_stack, 0
	.set _ZL13mul_mat_vec_fI6__halffLi4ELi96ELb0ELb0EEvPKT_PKfPKi31ggml_cuda_mm_fusion_args_devicePfi15HIP_vector_typeIjLj3EEiiiSB_iiiSB_iiii.has_recursion, 0
	.set _ZL13mul_mat_vec_fI6__halffLi4ELi96ELb0ELb0EEvPKT_PKfPKi31ggml_cuda_mm_fusion_args_devicePfi15HIP_vector_typeIjLj3EEiiiSB_iiiSB_iiii.has_indirect_call, 0
	.section	.AMDGPU.csdata,"",@progbits
; Kernel info:
; codeLenInByte = 1940
; TotalNumSgprs: 38
; NumVgprs: 20
; ScratchSize: 0
; MemoryBound: 0
; FloatMode: 240
; IeeeMode: 1
; LDSByteSize: 0 bytes/workgroup (compile time only)
; SGPRBlocks: 0
; VGPRBlocks: 2
; NumSGPRsForWavesPerEU: 38
; NumVGPRsForWavesPerEU: 20
; Occupancy: 16
; WaveLimiterHint : 0
; COMPUTE_PGM_RSRC2:SCRATCH_EN: 0
; COMPUTE_PGM_RSRC2:USER_SGPR: 6
; COMPUTE_PGM_RSRC2:TRAP_HANDLER: 0
; COMPUTE_PGM_RSRC2:TGID_X_EN: 1
; COMPUTE_PGM_RSRC2:TGID_Y_EN: 1
; COMPUTE_PGM_RSRC2:TGID_Z_EN: 1
; COMPUTE_PGM_RSRC2:TIDIG_COMP_CNT: 0
	.section	.text._ZL13mul_mat_vec_fI6__halffLi4ELi128ELb0ELb0EEvPKT_PKfPKi31ggml_cuda_mm_fusion_args_devicePfi15HIP_vector_typeIjLj3EEiiiSB_iiiSB_iiii,"axG",@progbits,_ZL13mul_mat_vec_fI6__halffLi4ELi128ELb0ELb0EEvPKT_PKfPKi31ggml_cuda_mm_fusion_args_devicePfi15HIP_vector_typeIjLj3EEiiiSB_iiiSB_iiii,comdat
	.globl	_ZL13mul_mat_vec_fI6__halffLi4ELi128ELb0ELb0EEvPKT_PKfPKi31ggml_cuda_mm_fusion_args_devicePfi15HIP_vector_typeIjLj3EEiiiSB_iiiSB_iiii ; -- Begin function _ZL13mul_mat_vec_fI6__halffLi4ELi128ELb0ELb0EEvPKT_PKfPKi31ggml_cuda_mm_fusion_args_devicePfi15HIP_vector_typeIjLj3EEiiiSB_iiiSB_iiii
	.p2align	8
	.type	_ZL13mul_mat_vec_fI6__halffLi4ELi128ELb0ELb0EEvPKT_PKfPKi31ggml_cuda_mm_fusion_args_devicePfi15HIP_vector_typeIjLj3EEiiiSB_iiiSB_iiii,@function
_ZL13mul_mat_vec_fI6__halffLi4ELi128ELb0ELb0EEvPKT_PKfPKi31ggml_cuda_mm_fusion_args_devicePfi15HIP_vector_typeIjLj3EEiiiSB_iiiSB_iiii: ; @_ZL13mul_mat_vec_fI6__halffLi4ELi128ELb0ELb0EEvPKT_PKfPKi31ggml_cuda_mm_fusion_args_devicePfi15HIP_vector_typeIjLj3EEiiiSB_iiiSB_iiii
; %bb.0:
	s_clause 0x2
	s_load_dwordx2 s[0:1], s[4:5], 0x10
	s_load_dwordx8 s[12:19], s[4:5], 0x40
	s_load_dwordx4 s[20:23], s[4:5], 0x80
	s_waitcnt lgkmcnt(0)
	s_cmp_eq_u64 s[0:1], 0
	s_cselect_b32 s10, -1, 0
	s_cmp_lg_u64 s[0:1], 0
	s_cselect_b32 s9, -1, 0
	s_and_b32 vcc_lo, exec_lo, s10
	s_cbranch_vccnz .LBB227_2
; %bb.1:
	s_mul_i32 s2, s23, s8
	s_mov_b32 s3, 0
	s_add_i32 s2, s2, s7
	s_lshl_b64 s[24:25], s[2:3], 2
	s_add_u32 s0, s0, s24
	s_addc_u32 s1, s1, s25
	s_load_dword s19, s[0:1], 0x0
	s_cbranch_execz .LBB227_3
	s_branch .LBB227_4
.LBB227_2:
                                        ; implicit-def: $sgpr19
.LBB227_3:
	s_load_dwordx2 s[0:1], s[4:5], 0x5c
	s_waitcnt lgkmcnt(0)
	s_mul_hi_u32 s0, s0, s7
	s_add_i32 s0, s7, s0
	s_lshr_b32 s19, s0, s1
.LBB227_4:
	s_load_dwordx4 s[24:27], s[4:5], 0x68
	s_andn2_b32 vcc_lo, exec_lo, s9
	s_mov_b32 s23, s7
	s_cbranch_vccnz .LBB227_6
; %bb.5:
	s_mul_hi_u32 s0, s13, s7
	s_add_i32 s0, s7, s0
	s_lshr_b32 s0, s0, s14
	s_mul_i32 s0, s0, s15
	s_sub_i32 s23, s7, s0
.LBB227_6:
	s_load_dword s9, s[4:5], 0x78
	v_cmp_gt_u32_e32 vcc_lo, 32, v0
	v_lshl_add_u32 v5, v0, 2, 0
	s_and_saveexec_b32 s0, vcc_lo
; %bb.7:
	v_mov_b32_e32 v1, 0
	ds_write_b32 v5, v1
; %bb.8:
	s_or_b32 exec_lo, exec_lo, s0
	v_mov_b32_e32 v6, 0
	v_mov_b32_e32 v7, 0
	;; [unrolled: 1-line block ×4, first 2 shown]
	s_and_b32 s0, exec_lo, s10
	s_mov_b32 s11, 0
	s_cselect_b32 s10, s8, 0
	s_mov_b32 s13, exec_lo
	s_waitcnt lgkmcnt(0)
	s_barrier
	buffer_gl0_inv
	v_cmpx_gt_i32_e64 s12, v0
	s_cbranch_execz .LBB227_12
; %bb.9:
	s_load_dwordx4 s[0:3], s[4:5], 0x0
	s_mul_hi_u32 s27, s27, s10
	s_mul_hi_i32 s15, s21, s10
	s_mul_i32 s14, s21, s10
	s_mul_i32 s24, s19, s24
	;; [unrolled: 1-line block ×4, first 2 shown]
	s_add_i32 s16, s10, s27
	s_lshl_b64 s[34:35], s[14:15], 2
	s_ashr_i32 s25, s24, 31
	s_ashr_i32 s29, s28, 31
	;; [unrolled: 1-line block ×3, first 2 shown]
	s_lshr_b32 s9, s16, s9
	s_mov_b32 s8, s17
	s_mul_hi_i32 s21, s9, s20
	s_mul_i32 s20, s9, s20
	v_lshlrev_b32_e32 v2, 3, v0
	v_lshlrev_b32_e32 v1, 2, v0
	v_mov_b32_e32 v9, 0
	v_mov_b32_e32 v10, v0
	s_waitcnt lgkmcnt(0)
	s_add_u32 s14, s2, s34
	s_addc_u32 s15, s3, s35
	s_lshl_b64 s[30:31], s[30:31], 2
	v_mov_b32_e32 v8, 0
	s_add_u32 s14, s14, s30
	s_addc_u32 s15, s15, s31
	s_lshl_b64 s[24:25], s[24:25], 1
	s_ashr_i32 s9, s17, 31
	s_add_i32 s16, s17, s17
	s_lshl_b64 s[20:21], s[20:21], 1
	s_lshl_b64 s[28:29], s[28:29], 1
	s_add_u32 s0, s0, s24
	s_addc_u32 s1, s1, s25
	s_add_u32 s0, s0, s28
	s_addc_u32 s1, s1, s29
	s_add_u32 s0, s0, s20
	s_addc_u32 s1, s1, s21
	s_lshl_b64 s[8:9], s[8:9], 3
	s_add_u32 s2, s2, s30
	s_addc_u32 s3, s3, s31
	s_add_u32 s2, s2, s34
	s_addc_u32 s3, s3, s35
	v_add_co_u32 v3, s2, s2, v2
	v_add_co_ci_u32_e64 v4, null, s3, 0, s2
	v_add_co_u32 v1, s0, s0, v1
	v_add_co_ci_u32_e64 v2, null, s1, 0, s0
	;; [unrolled: 2-line block ×3, first 2 shown]
	v_mov_b32_e32 v7, 0
	v_mov_b32_e32 v6, 0
	s_mul_i32 s1, s17, 3
.LBB227_10:                             ; =>This Inner Loop Header: Depth=1
	v_add_nc_u32_e32 v11, s16, v10
	v_add_nc_u32_e32 v15, s1, v10
	v_add_co_u32 v13, s0, v3, s8
	v_add_co_ci_u32_e64 v14, null, s9, v4, s0
	v_ashrrev_i32_e32 v12, 31, v11
	v_ashrrev_i32_e32 v16, 31, v15
	v_add_nc_u32_e32 v10, 0x80, v10
	v_lshlrev_b64 v[11:12], 3, v[11:12]
	v_lshlrev_b64 v[15:16], 3, v[15:16]
	v_add_co_u32 v11, s0, s14, v11
	v_add_co_ci_u32_e64 v12, null, s15, v12, s0
	v_add_co_u32 v15, s0, s14, v15
	v_add_co_ci_u32_e64 v16, null, s15, v16, s0
	global_load_dword v19, v[1:2], off
	s_clause 0x1
	global_load_dwordx2 v[17:18], v[3:4], off offset:-4
	global_load_dwordx2 v[13:14], v[13:14], off offset:-4
	s_clause 0x1
	global_load_dwordx2 v[11:12], v[11:12], off
	global_load_dwordx2 v[15:16], v[15:16], off
	v_add_co_u32 v1, s0, 0x200, v1
	v_add_co_ci_u32_e64 v2, null, 0, v2, s0
	v_add_co_u32 v3, s0, 0x400, v3
	v_add_co_ci_u32_e64 v4, null, 0, v4, s0
	v_cmp_le_i32_e64 s0, s12, v10
	s_or_b32 s11, s0, s11
	s_waitcnt vmcnt(3)
	v_fma_mix_f32 v9, v17, v19, v9 op_sel_hi:[0,1,0]
	s_waitcnt vmcnt(2)
	v_fma_mix_f32 v8, v13, v19, v8 op_sel_hi:[0,1,0]
	;; [unrolled: 2-line block ×4, first 2 shown]
	v_fma_mix_f32 v9, v18, v19, v9 op_sel:[0,1,0] op_sel_hi:[0,1,0]
	v_fma_mix_f32 v8, v14, v19, v8 op_sel:[0,1,0] op_sel_hi:[0,1,0]
	v_fma_mix_f32 v7, v12, v19, v7 op_sel:[0,1,0] op_sel_hi:[0,1,0]
	v_fma_mix_f32 v6, v16, v19, v6 op_sel:[0,1,0] op_sel_hi:[0,1,0]
	s_andn2_b32 exec_lo, exec_lo, s11
	s_cbranch_execnz .LBB227_10
; %bb.11:
	s_or_b32 exec_lo, exec_lo, s11
.LBB227_12:
	s_or_b32 exec_lo, exec_lo, s13
	v_mbcnt_lo_u32_b32 v2, -1, 0
	v_xor_b32_e32 v1, 16, v2
	v_xor_b32_e32 v3, 8, v2
	v_cmp_gt_i32_e64 s0, 32, v1
	v_cndmask_b32_e64 v1, v2, v1, s0
	v_cmp_gt_i32_e64 s0, 32, v3
	v_lshlrev_b32_e32 v1, 2, v1
	v_cndmask_b32_e64 v3, v2, v3, s0
	ds_bpermute_b32 v4, v1, v9
	v_lshlrev_b32_e32 v3, 2, v3
	s_waitcnt lgkmcnt(0)
	v_add_f32_e32 v9, v9, v4
	v_xor_b32_e32 v4, 4, v2
	ds_bpermute_b32 v10, v3, v9
	v_cmp_gt_i32_e64 s0, 32, v4
	v_cndmask_b32_e64 v4, v2, v4, s0
	v_lshlrev_b32_e32 v4, 2, v4
	s_waitcnt lgkmcnt(0)
	v_add_f32_e32 v10, v9, v10
	v_xor_b32_e32 v9, 2, v2
	ds_bpermute_b32 v11, v4, v10
	v_cmp_gt_i32_e64 s0, 32, v9
	v_cndmask_b32_e64 v9, v2, v9, s0
	;; [unrolled: 7-line block ×3, first 2 shown]
	v_lshlrev_b32_e32 v10, 2, v2
	s_waitcnt lgkmcnt(0)
	v_add_f32_e32 v2, v11, v12
	v_lshrrev_b32_e32 v11, 3, v0
	ds_bpermute_b32 v12, v10, v2
	v_and_b32_e32 v11, 0x7c, v11
	v_add_nc_u32_e32 v11, 0, v11
	s_waitcnt lgkmcnt(0)
	v_add_f32_e32 v2, v2, v12
	ds_write_b32 v11, v2
	s_waitcnt lgkmcnt(0)
	s_barrier
	buffer_gl0_inv
	s_and_saveexec_b32 s0, vcc_lo
	s_cbranch_execz .LBB227_14
; %bb.13:
	ds_read_b32 v2, v5
	s_waitcnt lgkmcnt(0)
	ds_bpermute_b32 v12, v1, v2
	s_waitcnt lgkmcnt(0)
	v_add_f32_e32 v2, v2, v12
	ds_bpermute_b32 v12, v3, v2
	s_waitcnt lgkmcnt(0)
	v_add_f32_e32 v2, v2, v12
	ds_bpermute_b32 v12, v4, v2
	s_waitcnt lgkmcnt(0)
	v_add_f32_e32 v2, v2, v12
	ds_bpermute_b32 v12, v9, v2
	s_waitcnt lgkmcnt(0)
	v_add_f32_e32 v2, v2, v12
	ds_bpermute_b32 v12, v10, v2
	s_waitcnt lgkmcnt(0)
	v_add_f32_e32 v2, v2, v12
.LBB227_14:
	s_or_b32 exec_lo, exec_lo, s0
	ds_bpermute_b32 v12, v1, v8
	s_waitcnt lgkmcnt(0)
	s_barrier
	buffer_gl0_inv
	v_add_f32_e32 v8, v8, v12
	ds_bpermute_b32 v12, v3, v8
	s_waitcnt lgkmcnt(0)
	v_add_f32_e32 v8, v8, v12
	ds_bpermute_b32 v12, v4, v8
	s_waitcnt lgkmcnt(0)
	v_add_f32_e32 v8, v8, v12
	ds_bpermute_b32 v12, v9, v8
	s_waitcnt lgkmcnt(0)
	v_add_f32_e32 v8, v8, v12
	ds_bpermute_b32 v12, v10, v8
	s_waitcnt lgkmcnt(0)
	v_add_f32_e32 v8, v8, v12
	ds_write_b32 v11, v8
	s_waitcnt lgkmcnt(0)
	s_barrier
	buffer_gl0_inv
	s_and_saveexec_b32 s0, vcc_lo
	s_cbranch_execz .LBB227_16
; %bb.15:
	ds_read_b32 v8, v5
	s_waitcnt lgkmcnt(0)
	ds_bpermute_b32 v12, v1, v8
	s_waitcnt lgkmcnt(0)
	v_add_f32_e32 v8, v8, v12
	ds_bpermute_b32 v12, v3, v8
	s_waitcnt lgkmcnt(0)
	v_add_f32_e32 v8, v8, v12
	ds_bpermute_b32 v12, v4, v8
	s_waitcnt lgkmcnt(0)
	v_add_f32_e32 v8, v8, v12
	ds_bpermute_b32 v12, v9, v8
	s_waitcnt lgkmcnt(0)
	v_add_f32_e32 v8, v8, v12
	ds_bpermute_b32 v12, v10, v8
	s_waitcnt lgkmcnt(0)
	v_add_f32_e32 v8, v8, v12
.LBB227_16:
	s_or_b32 exec_lo, exec_lo, s0
	ds_bpermute_b32 v12, v1, v7
	s_waitcnt lgkmcnt(0)
	s_barrier
	buffer_gl0_inv
	v_add_f32_e32 v7, v7, v12
	ds_bpermute_b32 v12, v3, v7
	s_waitcnt lgkmcnt(0)
	v_add_f32_e32 v7, v7, v12
	ds_bpermute_b32 v12, v4, v7
	s_waitcnt lgkmcnt(0)
	v_add_f32_e32 v7, v7, v12
	ds_bpermute_b32 v12, v9, v7
	s_waitcnt lgkmcnt(0)
	v_add_f32_e32 v7, v7, v12
	ds_bpermute_b32 v12, v10, v7
	;; [unrolled: 43-line block ×3, first 2 shown]
	s_waitcnt lgkmcnt(0)
	v_add_f32_e32 v6, v6, v12
	ds_write_b32 v11, v6
	s_waitcnt lgkmcnt(0)
	s_barrier
	buffer_gl0_inv
	s_and_saveexec_b32 s0, vcc_lo
	s_cbranch_execz .LBB227_20
; %bb.19:
	ds_read_b32 v5, v5
	s_waitcnt lgkmcnt(0)
	ds_bpermute_b32 v1, v1, v5
	s_waitcnt lgkmcnt(0)
	v_add_f32_e32 v1, v5, v1
	ds_bpermute_b32 v3, v3, v1
	s_waitcnt lgkmcnt(0)
	v_add_f32_e32 v1, v1, v3
	;; [unrolled: 3-line block ×5, first 2 shown]
.LBB227_20:
	s_or_b32 exec_lo, exec_lo, s0
	s_barrier
	buffer_gl0_inv
	s_mov_b32 s0, exec_lo
	v_cmpx_gt_u32_e32 4, v0
	s_cbranch_execz .LBB227_22
; %bb.21:
	s_load_dwordx2 s[0:1], s[4:5], 0x38
	v_mad_u64_u32 v[3:4], null, s18, v0, s[6:7]
	v_cmp_eq_u32_e32 vcc_lo, 1, v0
	s_mul_hi_i32 s3, s22, s10
	s_mul_i32 s2, s22, s10
	s_mul_i32 s4, s26, s7
	s_lshl_b64 s[2:3], s[2:3], 2
	v_cndmask_b32_e32 v1, v2, v8, vcc_lo
	v_ashrrev_i32_e32 v4, 31, v3
	v_cmp_eq_u32_e32 vcc_lo, 2, v0
	s_ashr_i32 s5, s4, 31
	v_cndmask_b32_e32 v5, v1, v7, vcc_lo
	v_lshlrev_b64 v[1:2], 2, v[3:4]
	v_cmp_eq_u32_e32 vcc_lo, 3, v0
	s_waitcnt lgkmcnt(0)
	s_add_u32 s2, s0, s2
	s_addc_u32 s3, s1, s3
	s_lshl_b64 s[0:1], s[4:5], 2
	v_cndmask_b32_e32 v3, v5, v6, vcc_lo
	s_add_u32 s0, s2, s0
	s_addc_u32 s1, s3, s1
	v_add_co_u32 v0, vcc_lo, s0, v1
	v_add_co_ci_u32_e64 v1, null, s1, v2, vcc_lo
	global_store_dword v[0:1], v3, off
.LBB227_22:
	s_endpgm
	.section	.rodata,"a",@progbits
	.p2align	6, 0x0
	.amdhsa_kernel _ZL13mul_mat_vec_fI6__halffLi4ELi128ELb0ELb0EEvPKT_PKfPKi31ggml_cuda_mm_fusion_args_devicePfi15HIP_vector_typeIjLj3EEiiiSB_iiiSB_iiii
		.amdhsa_group_segment_fixed_size 0
		.amdhsa_private_segment_fixed_size 0
		.amdhsa_kernarg_size 144
		.amdhsa_user_sgpr_count 6
		.amdhsa_user_sgpr_private_segment_buffer 1
		.amdhsa_user_sgpr_dispatch_ptr 0
		.amdhsa_user_sgpr_queue_ptr 0
		.amdhsa_user_sgpr_kernarg_segment_ptr 1
		.amdhsa_user_sgpr_dispatch_id 0
		.amdhsa_user_sgpr_flat_scratch_init 0
		.amdhsa_user_sgpr_private_segment_size 0
		.amdhsa_wavefront_size32 1
		.amdhsa_uses_dynamic_stack 0
		.amdhsa_system_sgpr_private_segment_wavefront_offset 0
		.amdhsa_system_sgpr_workgroup_id_x 1
		.amdhsa_system_sgpr_workgroup_id_y 1
		.amdhsa_system_sgpr_workgroup_id_z 1
		.amdhsa_system_sgpr_workgroup_info 0
		.amdhsa_system_vgpr_workitem_id 0
		.amdhsa_next_free_vgpr 20
		.amdhsa_next_free_sgpr 36
		.amdhsa_reserve_vcc 1
		.amdhsa_reserve_flat_scratch 0
		.amdhsa_float_round_mode_32 0
		.amdhsa_float_round_mode_16_64 0
		.amdhsa_float_denorm_mode_32 3
		.amdhsa_float_denorm_mode_16_64 3
		.amdhsa_dx10_clamp 1
		.amdhsa_ieee_mode 1
		.amdhsa_fp16_overflow 0
		.amdhsa_workgroup_processor_mode 1
		.amdhsa_memory_ordered 1
		.amdhsa_forward_progress 1
		.amdhsa_shared_vgpr_count 0
		.amdhsa_exception_fp_ieee_invalid_op 0
		.amdhsa_exception_fp_denorm_src 0
		.amdhsa_exception_fp_ieee_div_zero 0
		.amdhsa_exception_fp_ieee_overflow 0
		.amdhsa_exception_fp_ieee_underflow 0
		.amdhsa_exception_fp_ieee_inexact 0
		.amdhsa_exception_int_div_zero 0
	.end_amdhsa_kernel
	.section	.text._ZL13mul_mat_vec_fI6__halffLi4ELi128ELb0ELb0EEvPKT_PKfPKi31ggml_cuda_mm_fusion_args_devicePfi15HIP_vector_typeIjLj3EEiiiSB_iiiSB_iiii,"axG",@progbits,_ZL13mul_mat_vec_fI6__halffLi4ELi128ELb0ELb0EEvPKT_PKfPKi31ggml_cuda_mm_fusion_args_devicePfi15HIP_vector_typeIjLj3EEiiiSB_iiiSB_iiii,comdat
.Lfunc_end227:
	.size	_ZL13mul_mat_vec_fI6__halffLi4ELi128ELb0ELb0EEvPKT_PKfPKi31ggml_cuda_mm_fusion_args_devicePfi15HIP_vector_typeIjLj3EEiiiSB_iiiSB_iiii, .Lfunc_end227-_ZL13mul_mat_vec_fI6__halffLi4ELi128ELb0ELb0EEvPKT_PKfPKi31ggml_cuda_mm_fusion_args_devicePfi15HIP_vector_typeIjLj3EEiiiSB_iiiSB_iiii
                                        ; -- End function
	.set _ZL13mul_mat_vec_fI6__halffLi4ELi128ELb0ELb0EEvPKT_PKfPKi31ggml_cuda_mm_fusion_args_devicePfi15HIP_vector_typeIjLj3EEiiiSB_iiiSB_iiii.num_vgpr, 20
	.set _ZL13mul_mat_vec_fI6__halffLi4ELi128ELb0ELb0EEvPKT_PKfPKi31ggml_cuda_mm_fusion_args_devicePfi15HIP_vector_typeIjLj3EEiiiSB_iiiSB_iiii.num_agpr, 0
	.set _ZL13mul_mat_vec_fI6__halffLi4ELi128ELb0ELb0EEvPKT_PKfPKi31ggml_cuda_mm_fusion_args_devicePfi15HIP_vector_typeIjLj3EEiiiSB_iiiSB_iiii.numbered_sgpr, 36
	.set _ZL13mul_mat_vec_fI6__halffLi4ELi128ELb0ELb0EEvPKT_PKfPKi31ggml_cuda_mm_fusion_args_devicePfi15HIP_vector_typeIjLj3EEiiiSB_iiiSB_iiii.num_named_barrier, 0
	.set _ZL13mul_mat_vec_fI6__halffLi4ELi128ELb0ELb0EEvPKT_PKfPKi31ggml_cuda_mm_fusion_args_devicePfi15HIP_vector_typeIjLj3EEiiiSB_iiiSB_iiii.private_seg_size, 0
	.set _ZL13mul_mat_vec_fI6__halffLi4ELi128ELb0ELb0EEvPKT_PKfPKi31ggml_cuda_mm_fusion_args_devicePfi15HIP_vector_typeIjLj3EEiiiSB_iiiSB_iiii.uses_vcc, 1
	.set _ZL13mul_mat_vec_fI6__halffLi4ELi128ELb0ELb0EEvPKT_PKfPKi31ggml_cuda_mm_fusion_args_devicePfi15HIP_vector_typeIjLj3EEiiiSB_iiiSB_iiii.uses_flat_scratch, 0
	.set _ZL13mul_mat_vec_fI6__halffLi4ELi128ELb0ELb0EEvPKT_PKfPKi31ggml_cuda_mm_fusion_args_devicePfi15HIP_vector_typeIjLj3EEiiiSB_iiiSB_iiii.has_dyn_sized_stack, 0
	.set _ZL13mul_mat_vec_fI6__halffLi4ELi128ELb0ELb0EEvPKT_PKfPKi31ggml_cuda_mm_fusion_args_devicePfi15HIP_vector_typeIjLj3EEiiiSB_iiiSB_iiii.has_recursion, 0
	.set _ZL13mul_mat_vec_fI6__halffLi4ELi128ELb0ELb0EEvPKT_PKfPKi31ggml_cuda_mm_fusion_args_devicePfi15HIP_vector_typeIjLj3EEiiiSB_iiiSB_iiii.has_indirect_call, 0
	.section	.AMDGPU.csdata,"",@progbits
; Kernel info:
; codeLenInByte = 1940
; TotalNumSgprs: 38
; NumVgprs: 20
; ScratchSize: 0
; MemoryBound: 0
; FloatMode: 240
; IeeeMode: 1
; LDSByteSize: 0 bytes/workgroup (compile time only)
; SGPRBlocks: 0
; VGPRBlocks: 2
; NumSGPRsForWavesPerEU: 38
; NumVGPRsForWavesPerEU: 20
; Occupancy: 16
; WaveLimiterHint : 0
; COMPUTE_PGM_RSRC2:SCRATCH_EN: 0
; COMPUTE_PGM_RSRC2:USER_SGPR: 6
; COMPUTE_PGM_RSRC2:TRAP_HANDLER: 0
; COMPUTE_PGM_RSRC2:TGID_X_EN: 1
; COMPUTE_PGM_RSRC2:TGID_Y_EN: 1
; COMPUTE_PGM_RSRC2:TGID_Z_EN: 1
; COMPUTE_PGM_RSRC2:TIDIG_COMP_CNT: 0
	.section	.text._ZL13mul_mat_vec_fI6__halffLi4ELi160ELb0ELb0EEvPKT_PKfPKi31ggml_cuda_mm_fusion_args_devicePfi15HIP_vector_typeIjLj3EEiiiSB_iiiSB_iiii,"axG",@progbits,_ZL13mul_mat_vec_fI6__halffLi4ELi160ELb0ELb0EEvPKT_PKfPKi31ggml_cuda_mm_fusion_args_devicePfi15HIP_vector_typeIjLj3EEiiiSB_iiiSB_iiii,comdat
	.globl	_ZL13mul_mat_vec_fI6__halffLi4ELi160ELb0ELb0EEvPKT_PKfPKi31ggml_cuda_mm_fusion_args_devicePfi15HIP_vector_typeIjLj3EEiiiSB_iiiSB_iiii ; -- Begin function _ZL13mul_mat_vec_fI6__halffLi4ELi160ELb0ELb0EEvPKT_PKfPKi31ggml_cuda_mm_fusion_args_devicePfi15HIP_vector_typeIjLj3EEiiiSB_iiiSB_iiii
	.p2align	8
	.type	_ZL13mul_mat_vec_fI6__halffLi4ELi160ELb0ELb0EEvPKT_PKfPKi31ggml_cuda_mm_fusion_args_devicePfi15HIP_vector_typeIjLj3EEiiiSB_iiiSB_iiii,@function
_ZL13mul_mat_vec_fI6__halffLi4ELi160ELb0ELb0EEvPKT_PKfPKi31ggml_cuda_mm_fusion_args_devicePfi15HIP_vector_typeIjLj3EEiiiSB_iiiSB_iiii: ; @_ZL13mul_mat_vec_fI6__halffLi4ELi160ELb0ELb0EEvPKT_PKfPKi31ggml_cuda_mm_fusion_args_devicePfi15HIP_vector_typeIjLj3EEiiiSB_iiiSB_iiii
; %bb.0:
	s_clause 0x2
	s_load_dwordx2 s[0:1], s[4:5], 0x10
	s_load_dwordx8 s[12:19], s[4:5], 0x40
	s_load_dwordx4 s[20:23], s[4:5], 0x80
	s_waitcnt lgkmcnt(0)
	s_cmp_eq_u64 s[0:1], 0
	s_cselect_b32 s10, -1, 0
	s_cmp_lg_u64 s[0:1], 0
	s_cselect_b32 s9, -1, 0
	s_and_b32 vcc_lo, exec_lo, s10
	s_cbranch_vccnz .LBB228_2
; %bb.1:
	s_mul_i32 s2, s23, s8
	s_mov_b32 s3, 0
	s_add_i32 s2, s2, s7
	s_lshl_b64 s[24:25], s[2:3], 2
	s_add_u32 s0, s0, s24
	s_addc_u32 s1, s1, s25
	s_load_dword s19, s[0:1], 0x0
	s_cbranch_execz .LBB228_3
	s_branch .LBB228_4
.LBB228_2:
                                        ; implicit-def: $sgpr19
.LBB228_3:
	s_load_dwordx2 s[0:1], s[4:5], 0x5c
	s_waitcnt lgkmcnt(0)
	s_mul_hi_u32 s0, s0, s7
	s_add_i32 s0, s7, s0
	s_lshr_b32 s19, s0, s1
.LBB228_4:
	s_load_dwordx4 s[24:27], s[4:5], 0x68
	s_andn2_b32 vcc_lo, exec_lo, s9
	s_mov_b32 s23, s7
	s_cbranch_vccnz .LBB228_6
; %bb.5:
	s_mul_hi_u32 s0, s13, s7
	s_add_i32 s0, s7, s0
	s_lshr_b32 s0, s0, s14
	s_mul_i32 s0, s0, s15
	s_sub_i32 s23, s7, s0
.LBB228_6:
	s_load_dword s9, s[4:5], 0x78
	v_cmp_gt_u32_e32 vcc_lo, 32, v0
	v_lshl_add_u32 v5, v0, 2, 0
	s_and_saveexec_b32 s0, vcc_lo
; %bb.7:
	v_mov_b32_e32 v1, 0
	ds_write_b32 v5, v1
; %bb.8:
	s_or_b32 exec_lo, exec_lo, s0
	v_mov_b32_e32 v6, 0
	v_mov_b32_e32 v7, 0
	;; [unrolled: 1-line block ×4, first 2 shown]
	s_and_b32 s0, exec_lo, s10
	s_mov_b32 s11, 0
	s_cselect_b32 s10, s8, 0
	s_mov_b32 s13, exec_lo
	s_waitcnt lgkmcnt(0)
	s_barrier
	buffer_gl0_inv
	v_cmpx_gt_i32_e64 s12, v0
	s_cbranch_execz .LBB228_12
; %bb.9:
	s_load_dwordx4 s[0:3], s[4:5], 0x0
	s_mul_hi_u32 s27, s27, s10
	s_mul_hi_i32 s15, s21, s10
	s_mul_i32 s14, s21, s10
	s_mul_i32 s24, s19, s24
	;; [unrolled: 1-line block ×4, first 2 shown]
	s_add_i32 s16, s10, s27
	s_lshl_b64 s[34:35], s[14:15], 2
	s_ashr_i32 s25, s24, 31
	s_ashr_i32 s29, s28, 31
	;; [unrolled: 1-line block ×3, first 2 shown]
	s_lshr_b32 s9, s16, s9
	s_mov_b32 s8, s17
	s_mul_hi_i32 s21, s9, s20
	s_mul_i32 s20, s9, s20
	v_lshlrev_b32_e32 v2, 3, v0
	v_lshlrev_b32_e32 v1, 2, v0
	v_mov_b32_e32 v9, 0
	v_mov_b32_e32 v10, v0
	s_waitcnt lgkmcnt(0)
	s_add_u32 s14, s2, s34
	s_addc_u32 s15, s3, s35
	s_lshl_b64 s[30:31], s[30:31], 2
	v_mov_b32_e32 v8, 0
	s_add_u32 s14, s14, s30
	s_addc_u32 s15, s15, s31
	s_lshl_b64 s[24:25], s[24:25], 1
	s_ashr_i32 s9, s17, 31
	s_add_i32 s16, s17, s17
	s_lshl_b64 s[20:21], s[20:21], 1
	s_lshl_b64 s[28:29], s[28:29], 1
	s_add_u32 s0, s0, s24
	s_addc_u32 s1, s1, s25
	s_add_u32 s0, s0, s28
	s_addc_u32 s1, s1, s29
	;; [unrolled: 2-line block ×3, first 2 shown]
	s_lshl_b64 s[8:9], s[8:9], 3
	s_add_u32 s2, s2, s30
	s_addc_u32 s3, s3, s31
	s_add_u32 s2, s2, s34
	s_addc_u32 s3, s3, s35
	v_add_co_u32 v3, s2, s2, v2
	v_add_co_ci_u32_e64 v4, null, s3, 0, s2
	v_add_co_u32 v1, s0, s0, v1
	v_add_co_ci_u32_e64 v2, null, s1, 0, s0
	;; [unrolled: 2-line block ×3, first 2 shown]
	v_mov_b32_e32 v7, 0
	v_mov_b32_e32 v6, 0
	s_mul_i32 s1, s17, 3
.LBB228_10:                             ; =>This Inner Loop Header: Depth=1
	v_add_nc_u32_e32 v11, s16, v10
	v_add_nc_u32_e32 v15, s1, v10
	v_add_co_u32 v13, s0, v3, s8
	v_add_co_ci_u32_e64 v14, null, s9, v4, s0
	v_ashrrev_i32_e32 v12, 31, v11
	v_ashrrev_i32_e32 v16, 31, v15
	v_add_nc_u32_e32 v10, 0xa0, v10
	v_lshlrev_b64 v[11:12], 3, v[11:12]
	v_lshlrev_b64 v[15:16], 3, v[15:16]
	v_add_co_u32 v11, s0, s14, v11
	v_add_co_ci_u32_e64 v12, null, s15, v12, s0
	v_add_co_u32 v15, s0, s14, v15
	v_add_co_ci_u32_e64 v16, null, s15, v16, s0
	global_load_dword v19, v[1:2], off
	s_clause 0x1
	global_load_dwordx2 v[17:18], v[3:4], off offset:-4
	global_load_dwordx2 v[13:14], v[13:14], off offset:-4
	s_clause 0x1
	global_load_dwordx2 v[11:12], v[11:12], off
	global_load_dwordx2 v[15:16], v[15:16], off
	v_add_co_u32 v1, s0, 0x280, v1
	v_add_co_ci_u32_e64 v2, null, 0, v2, s0
	v_add_co_u32 v3, s0, 0x500, v3
	v_add_co_ci_u32_e64 v4, null, 0, v4, s0
	v_cmp_le_i32_e64 s0, s12, v10
	s_or_b32 s11, s0, s11
	s_waitcnt vmcnt(3)
	v_fma_mix_f32 v9, v17, v19, v9 op_sel_hi:[0,1,0]
	s_waitcnt vmcnt(2)
	v_fma_mix_f32 v8, v13, v19, v8 op_sel_hi:[0,1,0]
	;; [unrolled: 2-line block ×4, first 2 shown]
	v_fma_mix_f32 v9, v18, v19, v9 op_sel:[0,1,0] op_sel_hi:[0,1,0]
	v_fma_mix_f32 v8, v14, v19, v8 op_sel:[0,1,0] op_sel_hi:[0,1,0]
	;; [unrolled: 1-line block ×4, first 2 shown]
	s_andn2_b32 exec_lo, exec_lo, s11
	s_cbranch_execnz .LBB228_10
; %bb.11:
	s_or_b32 exec_lo, exec_lo, s11
.LBB228_12:
	s_or_b32 exec_lo, exec_lo, s13
	v_mbcnt_lo_u32_b32 v2, -1, 0
	v_xor_b32_e32 v1, 16, v2
	v_xor_b32_e32 v3, 8, v2
	v_cmp_gt_i32_e64 s0, 32, v1
	v_cndmask_b32_e64 v1, v2, v1, s0
	v_cmp_gt_i32_e64 s0, 32, v3
	v_lshlrev_b32_e32 v1, 2, v1
	v_cndmask_b32_e64 v3, v2, v3, s0
	ds_bpermute_b32 v4, v1, v9
	v_lshlrev_b32_e32 v3, 2, v3
	s_waitcnt lgkmcnt(0)
	v_add_f32_e32 v9, v9, v4
	v_xor_b32_e32 v4, 4, v2
	ds_bpermute_b32 v10, v3, v9
	v_cmp_gt_i32_e64 s0, 32, v4
	v_cndmask_b32_e64 v4, v2, v4, s0
	v_lshlrev_b32_e32 v4, 2, v4
	s_waitcnt lgkmcnt(0)
	v_add_f32_e32 v10, v9, v10
	v_xor_b32_e32 v9, 2, v2
	ds_bpermute_b32 v11, v4, v10
	v_cmp_gt_i32_e64 s0, 32, v9
	v_cndmask_b32_e64 v9, v2, v9, s0
	;; [unrolled: 7-line block ×3, first 2 shown]
	v_lshlrev_b32_e32 v10, 2, v2
	s_waitcnt lgkmcnt(0)
	v_add_f32_e32 v2, v11, v12
	v_lshrrev_b32_e32 v11, 3, v0
	ds_bpermute_b32 v12, v10, v2
	v_and_b32_e32 v11, 0x7c, v11
	v_add_nc_u32_e32 v11, 0, v11
	s_waitcnt lgkmcnt(0)
	v_add_f32_e32 v2, v2, v12
	ds_write_b32 v11, v2
	s_waitcnt lgkmcnt(0)
	s_barrier
	buffer_gl0_inv
	s_and_saveexec_b32 s0, vcc_lo
	s_cbranch_execz .LBB228_14
; %bb.13:
	ds_read_b32 v2, v5
	s_waitcnt lgkmcnt(0)
	ds_bpermute_b32 v12, v1, v2
	s_waitcnt lgkmcnt(0)
	v_add_f32_e32 v2, v2, v12
	ds_bpermute_b32 v12, v3, v2
	s_waitcnt lgkmcnt(0)
	v_add_f32_e32 v2, v2, v12
	ds_bpermute_b32 v12, v4, v2
	s_waitcnt lgkmcnt(0)
	v_add_f32_e32 v2, v2, v12
	ds_bpermute_b32 v12, v9, v2
	s_waitcnt lgkmcnt(0)
	v_add_f32_e32 v2, v2, v12
	ds_bpermute_b32 v12, v10, v2
	s_waitcnt lgkmcnt(0)
	v_add_f32_e32 v2, v2, v12
.LBB228_14:
	s_or_b32 exec_lo, exec_lo, s0
	ds_bpermute_b32 v12, v1, v8
	s_waitcnt lgkmcnt(0)
	s_barrier
	buffer_gl0_inv
	v_add_f32_e32 v8, v8, v12
	ds_bpermute_b32 v12, v3, v8
	s_waitcnt lgkmcnt(0)
	v_add_f32_e32 v8, v8, v12
	ds_bpermute_b32 v12, v4, v8
	s_waitcnt lgkmcnt(0)
	v_add_f32_e32 v8, v8, v12
	ds_bpermute_b32 v12, v9, v8
	s_waitcnt lgkmcnt(0)
	v_add_f32_e32 v8, v8, v12
	ds_bpermute_b32 v12, v10, v8
	s_waitcnt lgkmcnt(0)
	v_add_f32_e32 v8, v8, v12
	ds_write_b32 v11, v8
	s_waitcnt lgkmcnt(0)
	s_barrier
	buffer_gl0_inv
	s_and_saveexec_b32 s0, vcc_lo
	s_cbranch_execz .LBB228_16
; %bb.15:
	ds_read_b32 v8, v5
	s_waitcnt lgkmcnt(0)
	ds_bpermute_b32 v12, v1, v8
	s_waitcnt lgkmcnt(0)
	v_add_f32_e32 v8, v8, v12
	ds_bpermute_b32 v12, v3, v8
	s_waitcnt lgkmcnt(0)
	v_add_f32_e32 v8, v8, v12
	ds_bpermute_b32 v12, v4, v8
	s_waitcnt lgkmcnt(0)
	v_add_f32_e32 v8, v8, v12
	ds_bpermute_b32 v12, v9, v8
	s_waitcnt lgkmcnt(0)
	v_add_f32_e32 v8, v8, v12
	ds_bpermute_b32 v12, v10, v8
	s_waitcnt lgkmcnt(0)
	v_add_f32_e32 v8, v8, v12
.LBB228_16:
	s_or_b32 exec_lo, exec_lo, s0
	ds_bpermute_b32 v12, v1, v7
	s_waitcnt lgkmcnt(0)
	s_barrier
	buffer_gl0_inv
	v_add_f32_e32 v7, v7, v12
	ds_bpermute_b32 v12, v3, v7
	s_waitcnt lgkmcnt(0)
	v_add_f32_e32 v7, v7, v12
	ds_bpermute_b32 v12, v4, v7
	s_waitcnt lgkmcnt(0)
	v_add_f32_e32 v7, v7, v12
	ds_bpermute_b32 v12, v9, v7
	s_waitcnt lgkmcnt(0)
	v_add_f32_e32 v7, v7, v12
	ds_bpermute_b32 v12, v10, v7
	;; [unrolled: 43-line block ×3, first 2 shown]
	s_waitcnt lgkmcnt(0)
	v_add_f32_e32 v6, v6, v12
	ds_write_b32 v11, v6
	s_waitcnt lgkmcnt(0)
	s_barrier
	buffer_gl0_inv
	s_and_saveexec_b32 s0, vcc_lo
	s_cbranch_execz .LBB228_20
; %bb.19:
	ds_read_b32 v5, v5
	s_waitcnt lgkmcnt(0)
	ds_bpermute_b32 v1, v1, v5
	s_waitcnt lgkmcnt(0)
	v_add_f32_e32 v1, v5, v1
	ds_bpermute_b32 v3, v3, v1
	s_waitcnt lgkmcnt(0)
	v_add_f32_e32 v1, v1, v3
	;; [unrolled: 3-line block ×5, first 2 shown]
.LBB228_20:
	s_or_b32 exec_lo, exec_lo, s0
	s_barrier
	buffer_gl0_inv
	s_mov_b32 s0, exec_lo
	v_cmpx_gt_u32_e32 4, v0
	s_cbranch_execz .LBB228_22
; %bb.21:
	s_load_dwordx2 s[0:1], s[4:5], 0x38
	v_mad_u64_u32 v[3:4], null, s18, v0, s[6:7]
	v_cmp_eq_u32_e32 vcc_lo, 1, v0
	s_mul_hi_i32 s3, s22, s10
	s_mul_i32 s2, s22, s10
	s_mul_i32 s4, s26, s7
	s_lshl_b64 s[2:3], s[2:3], 2
	v_cndmask_b32_e32 v1, v2, v8, vcc_lo
	v_ashrrev_i32_e32 v4, 31, v3
	v_cmp_eq_u32_e32 vcc_lo, 2, v0
	s_ashr_i32 s5, s4, 31
	v_cndmask_b32_e32 v5, v1, v7, vcc_lo
	v_lshlrev_b64 v[1:2], 2, v[3:4]
	v_cmp_eq_u32_e32 vcc_lo, 3, v0
	s_waitcnt lgkmcnt(0)
	s_add_u32 s2, s0, s2
	s_addc_u32 s3, s1, s3
	s_lshl_b64 s[0:1], s[4:5], 2
	v_cndmask_b32_e32 v3, v5, v6, vcc_lo
	s_add_u32 s0, s2, s0
	s_addc_u32 s1, s3, s1
	v_add_co_u32 v0, vcc_lo, s0, v1
	v_add_co_ci_u32_e64 v1, null, s1, v2, vcc_lo
	global_store_dword v[0:1], v3, off
.LBB228_22:
	s_endpgm
	.section	.rodata,"a",@progbits
	.p2align	6, 0x0
	.amdhsa_kernel _ZL13mul_mat_vec_fI6__halffLi4ELi160ELb0ELb0EEvPKT_PKfPKi31ggml_cuda_mm_fusion_args_devicePfi15HIP_vector_typeIjLj3EEiiiSB_iiiSB_iiii
		.amdhsa_group_segment_fixed_size 0
		.amdhsa_private_segment_fixed_size 0
		.amdhsa_kernarg_size 144
		.amdhsa_user_sgpr_count 6
		.amdhsa_user_sgpr_private_segment_buffer 1
		.amdhsa_user_sgpr_dispatch_ptr 0
		.amdhsa_user_sgpr_queue_ptr 0
		.amdhsa_user_sgpr_kernarg_segment_ptr 1
		.amdhsa_user_sgpr_dispatch_id 0
		.amdhsa_user_sgpr_flat_scratch_init 0
		.amdhsa_user_sgpr_private_segment_size 0
		.amdhsa_wavefront_size32 1
		.amdhsa_uses_dynamic_stack 0
		.amdhsa_system_sgpr_private_segment_wavefront_offset 0
		.amdhsa_system_sgpr_workgroup_id_x 1
		.amdhsa_system_sgpr_workgroup_id_y 1
		.amdhsa_system_sgpr_workgroup_id_z 1
		.amdhsa_system_sgpr_workgroup_info 0
		.amdhsa_system_vgpr_workitem_id 0
		.amdhsa_next_free_vgpr 20
		.amdhsa_next_free_sgpr 36
		.amdhsa_reserve_vcc 1
		.amdhsa_reserve_flat_scratch 0
		.amdhsa_float_round_mode_32 0
		.amdhsa_float_round_mode_16_64 0
		.amdhsa_float_denorm_mode_32 3
		.amdhsa_float_denorm_mode_16_64 3
		.amdhsa_dx10_clamp 1
		.amdhsa_ieee_mode 1
		.amdhsa_fp16_overflow 0
		.amdhsa_workgroup_processor_mode 1
		.amdhsa_memory_ordered 1
		.amdhsa_forward_progress 1
		.amdhsa_shared_vgpr_count 0
		.amdhsa_exception_fp_ieee_invalid_op 0
		.amdhsa_exception_fp_denorm_src 0
		.amdhsa_exception_fp_ieee_div_zero 0
		.amdhsa_exception_fp_ieee_overflow 0
		.amdhsa_exception_fp_ieee_underflow 0
		.amdhsa_exception_fp_ieee_inexact 0
		.amdhsa_exception_int_div_zero 0
	.end_amdhsa_kernel
	.section	.text._ZL13mul_mat_vec_fI6__halffLi4ELi160ELb0ELb0EEvPKT_PKfPKi31ggml_cuda_mm_fusion_args_devicePfi15HIP_vector_typeIjLj3EEiiiSB_iiiSB_iiii,"axG",@progbits,_ZL13mul_mat_vec_fI6__halffLi4ELi160ELb0ELb0EEvPKT_PKfPKi31ggml_cuda_mm_fusion_args_devicePfi15HIP_vector_typeIjLj3EEiiiSB_iiiSB_iiii,comdat
.Lfunc_end228:
	.size	_ZL13mul_mat_vec_fI6__halffLi4ELi160ELb0ELb0EEvPKT_PKfPKi31ggml_cuda_mm_fusion_args_devicePfi15HIP_vector_typeIjLj3EEiiiSB_iiiSB_iiii, .Lfunc_end228-_ZL13mul_mat_vec_fI6__halffLi4ELi160ELb0ELb0EEvPKT_PKfPKi31ggml_cuda_mm_fusion_args_devicePfi15HIP_vector_typeIjLj3EEiiiSB_iiiSB_iiii
                                        ; -- End function
	.set _ZL13mul_mat_vec_fI6__halffLi4ELi160ELb0ELb0EEvPKT_PKfPKi31ggml_cuda_mm_fusion_args_devicePfi15HIP_vector_typeIjLj3EEiiiSB_iiiSB_iiii.num_vgpr, 20
	.set _ZL13mul_mat_vec_fI6__halffLi4ELi160ELb0ELb0EEvPKT_PKfPKi31ggml_cuda_mm_fusion_args_devicePfi15HIP_vector_typeIjLj3EEiiiSB_iiiSB_iiii.num_agpr, 0
	.set _ZL13mul_mat_vec_fI6__halffLi4ELi160ELb0ELb0EEvPKT_PKfPKi31ggml_cuda_mm_fusion_args_devicePfi15HIP_vector_typeIjLj3EEiiiSB_iiiSB_iiii.numbered_sgpr, 36
	.set _ZL13mul_mat_vec_fI6__halffLi4ELi160ELb0ELb0EEvPKT_PKfPKi31ggml_cuda_mm_fusion_args_devicePfi15HIP_vector_typeIjLj3EEiiiSB_iiiSB_iiii.num_named_barrier, 0
	.set _ZL13mul_mat_vec_fI6__halffLi4ELi160ELb0ELb0EEvPKT_PKfPKi31ggml_cuda_mm_fusion_args_devicePfi15HIP_vector_typeIjLj3EEiiiSB_iiiSB_iiii.private_seg_size, 0
	.set _ZL13mul_mat_vec_fI6__halffLi4ELi160ELb0ELb0EEvPKT_PKfPKi31ggml_cuda_mm_fusion_args_devicePfi15HIP_vector_typeIjLj3EEiiiSB_iiiSB_iiii.uses_vcc, 1
	.set _ZL13mul_mat_vec_fI6__halffLi4ELi160ELb0ELb0EEvPKT_PKfPKi31ggml_cuda_mm_fusion_args_devicePfi15HIP_vector_typeIjLj3EEiiiSB_iiiSB_iiii.uses_flat_scratch, 0
	.set _ZL13mul_mat_vec_fI6__halffLi4ELi160ELb0ELb0EEvPKT_PKfPKi31ggml_cuda_mm_fusion_args_devicePfi15HIP_vector_typeIjLj3EEiiiSB_iiiSB_iiii.has_dyn_sized_stack, 0
	.set _ZL13mul_mat_vec_fI6__halffLi4ELi160ELb0ELb0EEvPKT_PKfPKi31ggml_cuda_mm_fusion_args_devicePfi15HIP_vector_typeIjLj3EEiiiSB_iiiSB_iiii.has_recursion, 0
	.set _ZL13mul_mat_vec_fI6__halffLi4ELi160ELb0ELb0EEvPKT_PKfPKi31ggml_cuda_mm_fusion_args_devicePfi15HIP_vector_typeIjLj3EEiiiSB_iiiSB_iiii.has_indirect_call, 0
	.section	.AMDGPU.csdata,"",@progbits
; Kernel info:
; codeLenInByte = 1940
; TotalNumSgprs: 38
; NumVgprs: 20
; ScratchSize: 0
; MemoryBound: 0
; FloatMode: 240
; IeeeMode: 1
; LDSByteSize: 0 bytes/workgroup (compile time only)
; SGPRBlocks: 0
; VGPRBlocks: 2
; NumSGPRsForWavesPerEU: 38
; NumVGPRsForWavesPerEU: 20
; Occupancy: 16
; WaveLimiterHint : 0
; COMPUTE_PGM_RSRC2:SCRATCH_EN: 0
; COMPUTE_PGM_RSRC2:USER_SGPR: 6
; COMPUTE_PGM_RSRC2:TRAP_HANDLER: 0
; COMPUTE_PGM_RSRC2:TGID_X_EN: 1
; COMPUTE_PGM_RSRC2:TGID_Y_EN: 1
; COMPUTE_PGM_RSRC2:TGID_Z_EN: 1
; COMPUTE_PGM_RSRC2:TIDIG_COMP_CNT: 0
	.section	.text._ZL13mul_mat_vec_fI6__halffLi4ELi192ELb0ELb0EEvPKT_PKfPKi31ggml_cuda_mm_fusion_args_devicePfi15HIP_vector_typeIjLj3EEiiiSB_iiiSB_iiii,"axG",@progbits,_ZL13mul_mat_vec_fI6__halffLi4ELi192ELb0ELb0EEvPKT_PKfPKi31ggml_cuda_mm_fusion_args_devicePfi15HIP_vector_typeIjLj3EEiiiSB_iiiSB_iiii,comdat
	.globl	_ZL13mul_mat_vec_fI6__halffLi4ELi192ELb0ELb0EEvPKT_PKfPKi31ggml_cuda_mm_fusion_args_devicePfi15HIP_vector_typeIjLj3EEiiiSB_iiiSB_iiii ; -- Begin function _ZL13mul_mat_vec_fI6__halffLi4ELi192ELb0ELb0EEvPKT_PKfPKi31ggml_cuda_mm_fusion_args_devicePfi15HIP_vector_typeIjLj3EEiiiSB_iiiSB_iiii
	.p2align	8
	.type	_ZL13mul_mat_vec_fI6__halffLi4ELi192ELb0ELb0EEvPKT_PKfPKi31ggml_cuda_mm_fusion_args_devicePfi15HIP_vector_typeIjLj3EEiiiSB_iiiSB_iiii,@function
_ZL13mul_mat_vec_fI6__halffLi4ELi192ELb0ELb0EEvPKT_PKfPKi31ggml_cuda_mm_fusion_args_devicePfi15HIP_vector_typeIjLj3EEiiiSB_iiiSB_iiii: ; @_ZL13mul_mat_vec_fI6__halffLi4ELi192ELb0ELb0EEvPKT_PKfPKi31ggml_cuda_mm_fusion_args_devicePfi15HIP_vector_typeIjLj3EEiiiSB_iiiSB_iiii
; %bb.0:
	s_clause 0x2
	s_load_dwordx2 s[0:1], s[4:5], 0x10
	s_load_dwordx8 s[12:19], s[4:5], 0x40
	s_load_dwordx4 s[20:23], s[4:5], 0x80
	s_waitcnt lgkmcnt(0)
	s_cmp_eq_u64 s[0:1], 0
	s_cselect_b32 s10, -1, 0
	s_cmp_lg_u64 s[0:1], 0
	s_cselect_b32 s9, -1, 0
	s_and_b32 vcc_lo, exec_lo, s10
	s_cbranch_vccnz .LBB229_2
; %bb.1:
	s_mul_i32 s2, s23, s8
	s_mov_b32 s3, 0
	s_add_i32 s2, s2, s7
	s_lshl_b64 s[24:25], s[2:3], 2
	s_add_u32 s0, s0, s24
	s_addc_u32 s1, s1, s25
	s_load_dword s19, s[0:1], 0x0
	s_cbranch_execz .LBB229_3
	s_branch .LBB229_4
.LBB229_2:
                                        ; implicit-def: $sgpr19
.LBB229_3:
	s_load_dwordx2 s[0:1], s[4:5], 0x5c
	s_waitcnt lgkmcnt(0)
	s_mul_hi_u32 s0, s0, s7
	s_add_i32 s0, s7, s0
	s_lshr_b32 s19, s0, s1
.LBB229_4:
	s_load_dwordx4 s[24:27], s[4:5], 0x68
	s_andn2_b32 vcc_lo, exec_lo, s9
	s_mov_b32 s23, s7
	s_cbranch_vccnz .LBB229_6
; %bb.5:
	s_mul_hi_u32 s0, s13, s7
	s_add_i32 s0, s7, s0
	s_lshr_b32 s0, s0, s14
	s_mul_i32 s0, s0, s15
	s_sub_i32 s23, s7, s0
.LBB229_6:
	s_load_dword s9, s[4:5], 0x78
	v_cmp_gt_u32_e32 vcc_lo, 32, v0
	v_lshl_add_u32 v5, v0, 2, 0
	s_and_saveexec_b32 s0, vcc_lo
; %bb.7:
	v_mov_b32_e32 v1, 0
	ds_write_b32 v5, v1
; %bb.8:
	s_or_b32 exec_lo, exec_lo, s0
	v_mov_b32_e32 v6, 0
	v_mov_b32_e32 v7, 0
	;; [unrolled: 1-line block ×4, first 2 shown]
	s_and_b32 s0, exec_lo, s10
	s_mov_b32 s11, 0
	s_cselect_b32 s10, s8, 0
	s_mov_b32 s13, exec_lo
	s_waitcnt lgkmcnt(0)
	s_barrier
	buffer_gl0_inv
	v_cmpx_gt_i32_e64 s12, v0
	s_cbranch_execz .LBB229_12
; %bb.9:
	s_load_dwordx4 s[0:3], s[4:5], 0x0
	s_mul_hi_u32 s27, s27, s10
	s_mul_hi_i32 s15, s21, s10
	s_mul_i32 s14, s21, s10
	s_mul_i32 s24, s19, s24
	;; [unrolled: 1-line block ×4, first 2 shown]
	s_add_i32 s16, s10, s27
	s_lshl_b64 s[34:35], s[14:15], 2
	s_ashr_i32 s25, s24, 31
	s_ashr_i32 s29, s28, 31
	;; [unrolled: 1-line block ×3, first 2 shown]
	s_lshr_b32 s9, s16, s9
	s_mov_b32 s8, s17
	s_mul_hi_i32 s21, s9, s20
	s_mul_i32 s20, s9, s20
	v_lshlrev_b32_e32 v2, 3, v0
	v_lshlrev_b32_e32 v1, 2, v0
	v_mov_b32_e32 v9, 0
	v_mov_b32_e32 v10, v0
	s_waitcnt lgkmcnt(0)
	s_add_u32 s14, s2, s34
	s_addc_u32 s15, s3, s35
	s_lshl_b64 s[30:31], s[30:31], 2
	v_mov_b32_e32 v8, 0
	s_add_u32 s14, s14, s30
	s_addc_u32 s15, s15, s31
	s_lshl_b64 s[24:25], s[24:25], 1
	s_ashr_i32 s9, s17, 31
	s_add_i32 s16, s17, s17
	s_lshl_b64 s[20:21], s[20:21], 1
	s_lshl_b64 s[28:29], s[28:29], 1
	s_add_u32 s0, s0, s24
	s_addc_u32 s1, s1, s25
	s_add_u32 s0, s0, s28
	s_addc_u32 s1, s1, s29
	;; [unrolled: 2-line block ×3, first 2 shown]
	s_lshl_b64 s[8:9], s[8:9], 3
	s_add_u32 s2, s2, s30
	s_addc_u32 s3, s3, s31
	s_add_u32 s2, s2, s34
	s_addc_u32 s3, s3, s35
	v_add_co_u32 v3, s2, s2, v2
	v_add_co_ci_u32_e64 v4, null, s3, 0, s2
	v_add_co_u32 v1, s0, s0, v1
	v_add_co_ci_u32_e64 v2, null, s1, 0, s0
	;; [unrolled: 2-line block ×3, first 2 shown]
	v_mov_b32_e32 v7, 0
	v_mov_b32_e32 v6, 0
	s_mul_i32 s1, s17, 3
.LBB229_10:                             ; =>This Inner Loop Header: Depth=1
	v_add_nc_u32_e32 v11, s16, v10
	v_add_nc_u32_e32 v15, s1, v10
	v_add_co_u32 v13, s0, v3, s8
	v_add_co_ci_u32_e64 v14, null, s9, v4, s0
	v_ashrrev_i32_e32 v12, 31, v11
	v_ashrrev_i32_e32 v16, 31, v15
	v_add_nc_u32_e32 v10, 0xc0, v10
	v_lshlrev_b64 v[11:12], 3, v[11:12]
	v_lshlrev_b64 v[15:16], 3, v[15:16]
	v_add_co_u32 v11, s0, s14, v11
	v_add_co_ci_u32_e64 v12, null, s15, v12, s0
	v_add_co_u32 v15, s0, s14, v15
	v_add_co_ci_u32_e64 v16, null, s15, v16, s0
	global_load_dword v19, v[1:2], off
	s_clause 0x1
	global_load_dwordx2 v[17:18], v[3:4], off offset:-4
	global_load_dwordx2 v[13:14], v[13:14], off offset:-4
	s_clause 0x1
	global_load_dwordx2 v[11:12], v[11:12], off
	global_load_dwordx2 v[15:16], v[15:16], off
	v_add_co_u32 v1, s0, 0x300, v1
	v_add_co_ci_u32_e64 v2, null, 0, v2, s0
	v_add_co_u32 v3, s0, 0x600, v3
	v_add_co_ci_u32_e64 v4, null, 0, v4, s0
	v_cmp_le_i32_e64 s0, s12, v10
	s_or_b32 s11, s0, s11
	s_waitcnt vmcnt(3)
	v_fma_mix_f32 v9, v17, v19, v9 op_sel_hi:[0,1,0]
	s_waitcnt vmcnt(2)
	v_fma_mix_f32 v8, v13, v19, v8 op_sel_hi:[0,1,0]
	s_waitcnt vmcnt(1)
	v_fma_mix_f32 v7, v11, v19, v7 op_sel_hi:[0,1,0]
	s_waitcnt vmcnt(0)
	v_fma_mix_f32 v6, v15, v19, v6 op_sel_hi:[0,1,0]
	v_fma_mix_f32 v9, v18, v19, v9 op_sel:[0,1,0] op_sel_hi:[0,1,0]
	v_fma_mix_f32 v8, v14, v19, v8 op_sel:[0,1,0] op_sel_hi:[0,1,0]
	;; [unrolled: 1-line block ×4, first 2 shown]
	s_andn2_b32 exec_lo, exec_lo, s11
	s_cbranch_execnz .LBB229_10
; %bb.11:
	s_or_b32 exec_lo, exec_lo, s11
.LBB229_12:
	s_or_b32 exec_lo, exec_lo, s13
	v_mbcnt_lo_u32_b32 v2, -1, 0
	v_xor_b32_e32 v1, 16, v2
	v_xor_b32_e32 v3, 8, v2
	v_cmp_gt_i32_e64 s0, 32, v1
	v_cndmask_b32_e64 v1, v2, v1, s0
	v_cmp_gt_i32_e64 s0, 32, v3
	v_lshlrev_b32_e32 v1, 2, v1
	v_cndmask_b32_e64 v3, v2, v3, s0
	ds_bpermute_b32 v4, v1, v9
	v_lshlrev_b32_e32 v3, 2, v3
	s_waitcnt lgkmcnt(0)
	v_add_f32_e32 v9, v9, v4
	v_xor_b32_e32 v4, 4, v2
	ds_bpermute_b32 v10, v3, v9
	v_cmp_gt_i32_e64 s0, 32, v4
	v_cndmask_b32_e64 v4, v2, v4, s0
	v_lshlrev_b32_e32 v4, 2, v4
	s_waitcnt lgkmcnt(0)
	v_add_f32_e32 v10, v9, v10
	v_xor_b32_e32 v9, 2, v2
	ds_bpermute_b32 v11, v4, v10
	v_cmp_gt_i32_e64 s0, 32, v9
	v_cndmask_b32_e64 v9, v2, v9, s0
	;; [unrolled: 7-line block ×3, first 2 shown]
	v_lshlrev_b32_e32 v10, 2, v2
	s_waitcnt lgkmcnt(0)
	v_add_f32_e32 v2, v11, v12
	v_lshrrev_b32_e32 v11, 3, v0
	ds_bpermute_b32 v12, v10, v2
	v_and_b32_e32 v11, 0x7c, v11
	v_add_nc_u32_e32 v11, 0, v11
	s_waitcnt lgkmcnt(0)
	v_add_f32_e32 v2, v2, v12
	ds_write_b32 v11, v2
	s_waitcnt lgkmcnt(0)
	s_barrier
	buffer_gl0_inv
	s_and_saveexec_b32 s0, vcc_lo
	s_cbranch_execz .LBB229_14
; %bb.13:
	ds_read_b32 v2, v5
	s_waitcnt lgkmcnt(0)
	ds_bpermute_b32 v12, v1, v2
	s_waitcnt lgkmcnt(0)
	v_add_f32_e32 v2, v2, v12
	ds_bpermute_b32 v12, v3, v2
	s_waitcnt lgkmcnt(0)
	v_add_f32_e32 v2, v2, v12
	ds_bpermute_b32 v12, v4, v2
	s_waitcnt lgkmcnt(0)
	v_add_f32_e32 v2, v2, v12
	ds_bpermute_b32 v12, v9, v2
	s_waitcnt lgkmcnt(0)
	v_add_f32_e32 v2, v2, v12
	ds_bpermute_b32 v12, v10, v2
	s_waitcnt lgkmcnt(0)
	v_add_f32_e32 v2, v2, v12
.LBB229_14:
	s_or_b32 exec_lo, exec_lo, s0
	ds_bpermute_b32 v12, v1, v8
	s_waitcnt lgkmcnt(0)
	s_barrier
	buffer_gl0_inv
	v_add_f32_e32 v8, v8, v12
	ds_bpermute_b32 v12, v3, v8
	s_waitcnt lgkmcnt(0)
	v_add_f32_e32 v8, v8, v12
	ds_bpermute_b32 v12, v4, v8
	s_waitcnt lgkmcnt(0)
	v_add_f32_e32 v8, v8, v12
	ds_bpermute_b32 v12, v9, v8
	s_waitcnt lgkmcnt(0)
	v_add_f32_e32 v8, v8, v12
	ds_bpermute_b32 v12, v10, v8
	s_waitcnt lgkmcnt(0)
	v_add_f32_e32 v8, v8, v12
	ds_write_b32 v11, v8
	s_waitcnt lgkmcnt(0)
	s_barrier
	buffer_gl0_inv
	s_and_saveexec_b32 s0, vcc_lo
	s_cbranch_execz .LBB229_16
; %bb.15:
	ds_read_b32 v8, v5
	s_waitcnt lgkmcnt(0)
	ds_bpermute_b32 v12, v1, v8
	s_waitcnt lgkmcnt(0)
	v_add_f32_e32 v8, v8, v12
	ds_bpermute_b32 v12, v3, v8
	s_waitcnt lgkmcnt(0)
	v_add_f32_e32 v8, v8, v12
	ds_bpermute_b32 v12, v4, v8
	s_waitcnt lgkmcnt(0)
	v_add_f32_e32 v8, v8, v12
	ds_bpermute_b32 v12, v9, v8
	s_waitcnt lgkmcnt(0)
	v_add_f32_e32 v8, v8, v12
	ds_bpermute_b32 v12, v10, v8
	s_waitcnt lgkmcnt(0)
	v_add_f32_e32 v8, v8, v12
.LBB229_16:
	s_or_b32 exec_lo, exec_lo, s0
	ds_bpermute_b32 v12, v1, v7
	s_waitcnt lgkmcnt(0)
	s_barrier
	buffer_gl0_inv
	v_add_f32_e32 v7, v7, v12
	ds_bpermute_b32 v12, v3, v7
	s_waitcnt lgkmcnt(0)
	v_add_f32_e32 v7, v7, v12
	ds_bpermute_b32 v12, v4, v7
	s_waitcnt lgkmcnt(0)
	v_add_f32_e32 v7, v7, v12
	ds_bpermute_b32 v12, v9, v7
	s_waitcnt lgkmcnt(0)
	v_add_f32_e32 v7, v7, v12
	ds_bpermute_b32 v12, v10, v7
	s_waitcnt lgkmcnt(0)
	v_add_f32_e32 v7, v7, v12
	ds_write_b32 v11, v7
	s_waitcnt lgkmcnt(0)
	s_barrier
	buffer_gl0_inv
	s_and_saveexec_b32 s0, vcc_lo
	s_cbranch_execz .LBB229_18
; %bb.17:
	ds_read_b32 v7, v5
	s_waitcnt lgkmcnt(0)
	ds_bpermute_b32 v12, v1, v7
	s_waitcnt lgkmcnt(0)
	v_add_f32_e32 v7, v7, v12
	ds_bpermute_b32 v12, v3, v7
	s_waitcnt lgkmcnt(0)
	v_add_f32_e32 v7, v7, v12
	ds_bpermute_b32 v12, v4, v7
	s_waitcnt lgkmcnt(0)
	v_add_f32_e32 v7, v7, v12
	ds_bpermute_b32 v12, v9, v7
	s_waitcnt lgkmcnt(0)
	v_add_f32_e32 v7, v7, v12
	ds_bpermute_b32 v12, v10, v7
	s_waitcnt lgkmcnt(0)
	v_add_f32_e32 v7, v7, v12
.LBB229_18:
	s_or_b32 exec_lo, exec_lo, s0
	ds_bpermute_b32 v12, v1, v6
	s_waitcnt lgkmcnt(0)
	s_barrier
	buffer_gl0_inv
	v_add_f32_e32 v6, v6, v12
	ds_bpermute_b32 v12, v3, v6
	s_waitcnt lgkmcnt(0)
	v_add_f32_e32 v6, v6, v12
	ds_bpermute_b32 v12, v4, v6
	s_waitcnt lgkmcnt(0)
	v_add_f32_e32 v6, v6, v12
	ds_bpermute_b32 v12, v9, v6
	s_waitcnt lgkmcnt(0)
	v_add_f32_e32 v6, v6, v12
	ds_bpermute_b32 v12, v10, v6
	s_waitcnt lgkmcnt(0)
	v_add_f32_e32 v6, v6, v12
	ds_write_b32 v11, v6
	s_waitcnt lgkmcnt(0)
	s_barrier
	buffer_gl0_inv
	s_and_saveexec_b32 s0, vcc_lo
	s_cbranch_execz .LBB229_20
; %bb.19:
	ds_read_b32 v5, v5
	s_waitcnt lgkmcnt(0)
	ds_bpermute_b32 v1, v1, v5
	s_waitcnt lgkmcnt(0)
	v_add_f32_e32 v1, v5, v1
	ds_bpermute_b32 v3, v3, v1
	s_waitcnt lgkmcnt(0)
	v_add_f32_e32 v1, v1, v3
	;; [unrolled: 3-line block ×5, first 2 shown]
.LBB229_20:
	s_or_b32 exec_lo, exec_lo, s0
	s_barrier
	buffer_gl0_inv
	s_mov_b32 s0, exec_lo
	v_cmpx_gt_u32_e32 4, v0
	s_cbranch_execz .LBB229_22
; %bb.21:
	s_load_dwordx2 s[0:1], s[4:5], 0x38
	v_mad_u64_u32 v[3:4], null, s18, v0, s[6:7]
	v_cmp_eq_u32_e32 vcc_lo, 1, v0
	s_mul_hi_i32 s3, s22, s10
	s_mul_i32 s2, s22, s10
	s_mul_i32 s4, s26, s7
	s_lshl_b64 s[2:3], s[2:3], 2
	v_cndmask_b32_e32 v1, v2, v8, vcc_lo
	v_ashrrev_i32_e32 v4, 31, v3
	v_cmp_eq_u32_e32 vcc_lo, 2, v0
	s_ashr_i32 s5, s4, 31
	v_cndmask_b32_e32 v5, v1, v7, vcc_lo
	v_lshlrev_b64 v[1:2], 2, v[3:4]
	v_cmp_eq_u32_e32 vcc_lo, 3, v0
	s_waitcnt lgkmcnt(0)
	s_add_u32 s2, s0, s2
	s_addc_u32 s3, s1, s3
	s_lshl_b64 s[0:1], s[4:5], 2
	v_cndmask_b32_e32 v3, v5, v6, vcc_lo
	s_add_u32 s0, s2, s0
	s_addc_u32 s1, s3, s1
	v_add_co_u32 v0, vcc_lo, s0, v1
	v_add_co_ci_u32_e64 v1, null, s1, v2, vcc_lo
	global_store_dword v[0:1], v3, off
.LBB229_22:
	s_endpgm
	.section	.rodata,"a",@progbits
	.p2align	6, 0x0
	.amdhsa_kernel _ZL13mul_mat_vec_fI6__halffLi4ELi192ELb0ELb0EEvPKT_PKfPKi31ggml_cuda_mm_fusion_args_devicePfi15HIP_vector_typeIjLj3EEiiiSB_iiiSB_iiii
		.amdhsa_group_segment_fixed_size 0
		.amdhsa_private_segment_fixed_size 0
		.amdhsa_kernarg_size 144
		.amdhsa_user_sgpr_count 6
		.amdhsa_user_sgpr_private_segment_buffer 1
		.amdhsa_user_sgpr_dispatch_ptr 0
		.amdhsa_user_sgpr_queue_ptr 0
		.amdhsa_user_sgpr_kernarg_segment_ptr 1
		.amdhsa_user_sgpr_dispatch_id 0
		.amdhsa_user_sgpr_flat_scratch_init 0
		.amdhsa_user_sgpr_private_segment_size 0
		.amdhsa_wavefront_size32 1
		.amdhsa_uses_dynamic_stack 0
		.amdhsa_system_sgpr_private_segment_wavefront_offset 0
		.amdhsa_system_sgpr_workgroup_id_x 1
		.amdhsa_system_sgpr_workgroup_id_y 1
		.amdhsa_system_sgpr_workgroup_id_z 1
		.amdhsa_system_sgpr_workgroup_info 0
		.amdhsa_system_vgpr_workitem_id 0
		.amdhsa_next_free_vgpr 20
		.amdhsa_next_free_sgpr 36
		.amdhsa_reserve_vcc 1
		.amdhsa_reserve_flat_scratch 0
		.amdhsa_float_round_mode_32 0
		.amdhsa_float_round_mode_16_64 0
		.amdhsa_float_denorm_mode_32 3
		.amdhsa_float_denorm_mode_16_64 3
		.amdhsa_dx10_clamp 1
		.amdhsa_ieee_mode 1
		.amdhsa_fp16_overflow 0
		.amdhsa_workgroup_processor_mode 1
		.amdhsa_memory_ordered 1
		.amdhsa_forward_progress 1
		.amdhsa_shared_vgpr_count 0
		.amdhsa_exception_fp_ieee_invalid_op 0
		.amdhsa_exception_fp_denorm_src 0
		.amdhsa_exception_fp_ieee_div_zero 0
		.amdhsa_exception_fp_ieee_overflow 0
		.amdhsa_exception_fp_ieee_underflow 0
		.amdhsa_exception_fp_ieee_inexact 0
		.amdhsa_exception_int_div_zero 0
	.end_amdhsa_kernel
	.section	.text._ZL13mul_mat_vec_fI6__halffLi4ELi192ELb0ELb0EEvPKT_PKfPKi31ggml_cuda_mm_fusion_args_devicePfi15HIP_vector_typeIjLj3EEiiiSB_iiiSB_iiii,"axG",@progbits,_ZL13mul_mat_vec_fI6__halffLi4ELi192ELb0ELb0EEvPKT_PKfPKi31ggml_cuda_mm_fusion_args_devicePfi15HIP_vector_typeIjLj3EEiiiSB_iiiSB_iiii,comdat
.Lfunc_end229:
	.size	_ZL13mul_mat_vec_fI6__halffLi4ELi192ELb0ELb0EEvPKT_PKfPKi31ggml_cuda_mm_fusion_args_devicePfi15HIP_vector_typeIjLj3EEiiiSB_iiiSB_iiii, .Lfunc_end229-_ZL13mul_mat_vec_fI6__halffLi4ELi192ELb0ELb0EEvPKT_PKfPKi31ggml_cuda_mm_fusion_args_devicePfi15HIP_vector_typeIjLj3EEiiiSB_iiiSB_iiii
                                        ; -- End function
	.set _ZL13mul_mat_vec_fI6__halffLi4ELi192ELb0ELb0EEvPKT_PKfPKi31ggml_cuda_mm_fusion_args_devicePfi15HIP_vector_typeIjLj3EEiiiSB_iiiSB_iiii.num_vgpr, 20
	.set _ZL13mul_mat_vec_fI6__halffLi4ELi192ELb0ELb0EEvPKT_PKfPKi31ggml_cuda_mm_fusion_args_devicePfi15HIP_vector_typeIjLj3EEiiiSB_iiiSB_iiii.num_agpr, 0
	.set _ZL13mul_mat_vec_fI6__halffLi4ELi192ELb0ELb0EEvPKT_PKfPKi31ggml_cuda_mm_fusion_args_devicePfi15HIP_vector_typeIjLj3EEiiiSB_iiiSB_iiii.numbered_sgpr, 36
	.set _ZL13mul_mat_vec_fI6__halffLi4ELi192ELb0ELb0EEvPKT_PKfPKi31ggml_cuda_mm_fusion_args_devicePfi15HIP_vector_typeIjLj3EEiiiSB_iiiSB_iiii.num_named_barrier, 0
	.set _ZL13mul_mat_vec_fI6__halffLi4ELi192ELb0ELb0EEvPKT_PKfPKi31ggml_cuda_mm_fusion_args_devicePfi15HIP_vector_typeIjLj3EEiiiSB_iiiSB_iiii.private_seg_size, 0
	.set _ZL13mul_mat_vec_fI6__halffLi4ELi192ELb0ELb0EEvPKT_PKfPKi31ggml_cuda_mm_fusion_args_devicePfi15HIP_vector_typeIjLj3EEiiiSB_iiiSB_iiii.uses_vcc, 1
	.set _ZL13mul_mat_vec_fI6__halffLi4ELi192ELb0ELb0EEvPKT_PKfPKi31ggml_cuda_mm_fusion_args_devicePfi15HIP_vector_typeIjLj3EEiiiSB_iiiSB_iiii.uses_flat_scratch, 0
	.set _ZL13mul_mat_vec_fI6__halffLi4ELi192ELb0ELb0EEvPKT_PKfPKi31ggml_cuda_mm_fusion_args_devicePfi15HIP_vector_typeIjLj3EEiiiSB_iiiSB_iiii.has_dyn_sized_stack, 0
	.set _ZL13mul_mat_vec_fI6__halffLi4ELi192ELb0ELb0EEvPKT_PKfPKi31ggml_cuda_mm_fusion_args_devicePfi15HIP_vector_typeIjLj3EEiiiSB_iiiSB_iiii.has_recursion, 0
	.set _ZL13mul_mat_vec_fI6__halffLi4ELi192ELb0ELb0EEvPKT_PKfPKi31ggml_cuda_mm_fusion_args_devicePfi15HIP_vector_typeIjLj3EEiiiSB_iiiSB_iiii.has_indirect_call, 0
	.section	.AMDGPU.csdata,"",@progbits
; Kernel info:
; codeLenInByte = 1940
; TotalNumSgprs: 38
; NumVgprs: 20
; ScratchSize: 0
; MemoryBound: 0
; FloatMode: 240
; IeeeMode: 1
; LDSByteSize: 0 bytes/workgroup (compile time only)
; SGPRBlocks: 0
; VGPRBlocks: 2
; NumSGPRsForWavesPerEU: 38
; NumVGPRsForWavesPerEU: 20
; Occupancy: 16
; WaveLimiterHint : 0
; COMPUTE_PGM_RSRC2:SCRATCH_EN: 0
; COMPUTE_PGM_RSRC2:USER_SGPR: 6
; COMPUTE_PGM_RSRC2:TRAP_HANDLER: 0
; COMPUTE_PGM_RSRC2:TGID_X_EN: 1
; COMPUTE_PGM_RSRC2:TGID_Y_EN: 1
; COMPUTE_PGM_RSRC2:TGID_Z_EN: 1
; COMPUTE_PGM_RSRC2:TIDIG_COMP_CNT: 0
	.section	.text._ZL13mul_mat_vec_fI6__halffLi4ELi224ELb0ELb0EEvPKT_PKfPKi31ggml_cuda_mm_fusion_args_devicePfi15HIP_vector_typeIjLj3EEiiiSB_iiiSB_iiii,"axG",@progbits,_ZL13mul_mat_vec_fI6__halffLi4ELi224ELb0ELb0EEvPKT_PKfPKi31ggml_cuda_mm_fusion_args_devicePfi15HIP_vector_typeIjLj3EEiiiSB_iiiSB_iiii,comdat
	.globl	_ZL13mul_mat_vec_fI6__halffLi4ELi224ELb0ELb0EEvPKT_PKfPKi31ggml_cuda_mm_fusion_args_devicePfi15HIP_vector_typeIjLj3EEiiiSB_iiiSB_iiii ; -- Begin function _ZL13mul_mat_vec_fI6__halffLi4ELi224ELb0ELb0EEvPKT_PKfPKi31ggml_cuda_mm_fusion_args_devicePfi15HIP_vector_typeIjLj3EEiiiSB_iiiSB_iiii
	.p2align	8
	.type	_ZL13mul_mat_vec_fI6__halffLi4ELi224ELb0ELb0EEvPKT_PKfPKi31ggml_cuda_mm_fusion_args_devicePfi15HIP_vector_typeIjLj3EEiiiSB_iiiSB_iiii,@function
_ZL13mul_mat_vec_fI6__halffLi4ELi224ELb0ELb0EEvPKT_PKfPKi31ggml_cuda_mm_fusion_args_devicePfi15HIP_vector_typeIjLj3EEiiiSB_iiiSB_iiii: ; @_ZL13mul_mat_vec_fI6__halffLi4ELi224ELb0ELb0EEvPKT_PKfPKi31ggml_cuda_mm_fusion_args_devicePfi15HIP_vector_typeIjLj3EEiiiSB_iiiSB_iiii
; %bb.0:
	s_clause 0x2
	s_load_dwordx2 s[0:1], s[4:5], 0x10
	s_load_dwordx8 s[12:19], s[4:5], 0x40
	s_load_dwordx4 s[20:23], s[4:5], 0x80
	s_waitcnt lgkmcnt(0)
	s_cmp_eq_u64 s[0:1], 0
	s_cselect_b32 s10, -1, 0
	s_cmp_lg_u64 s[0:1], 0
	s_cselect_b32 s9, -1, 0
	s_and_b32 vcc_lo, exec_lo, s10
	s_cbranch_vccnz .LBB230_2
; %bb.1:
	s_mul_i32 s2, s23, s8
	s_mov_b32 s3, 0
	s_add_i32 s2, s2, s7
	s_lshl_b64 s[24:25], s[2:3], 2
	s_add_u32 s0, s0, s24
	s_addc_u32 s1, s1, s25
	s_load_dword s19, s[0:1], 0x0
	s_cbranch_execz .LBB230_3
	s_branch .LBB230_4
.LBB230_2:
                                        ; implicit-def: $sgpr19
.LBB230_3:
	s_load_dwordx2 s[0:1], s[4:5], 0x5c
	s_waitcnt lgkmcnt(0)
	s_mul_hi_u32 s0, s0, s7
	s_add_i32 s0, s7, s0
	s_lshr_b32 s19, s0, s1
.LBB230_4:
	s_load_dwordx4 s[24:27], s[4:5], 0x68
	s_andn2_b32 vcc_lo, exec_lo, s9
	s_mov_b32 s23, s7
	s_cbranch_vccnz .LBB230_6
; %bb.5:
	s_mul_hi_u32 s0, s13, s7
	s_add_i32 s0, s7, s0
	s_lshr_b32 s0, s0, s14
	s_mul_i32 s0, s0, s15
	s_sub_i32 s23, s7, s0
.LBB230_6:
	s_load_dword s9, s[4:5], 0x78
	v_cmp_gt_u32_e32 vcc_lo, 32, v0
	v_lshl_add_u32 v5, v0, 2, 0
	s_and_saveexec_b32 s0, vcc_lo
; %bb.7:
	v_mov_b32_e32 v1, 0
	ds_write_b32 v5, v1
; %bb.8:
	s_or_b32 exec_lo, exec_lo, s0
	v_mov_b32_e32 v6, 0
	v_mov_b32_e32 v7, 0
	v_mov_b32_e32 v8, 0
	v_mov_b32_e32 v9, 0
	s_and_b32 s0, exec_lo, s10
	s_mov_b32 s11, 0
	s_cselect_b32 s10, s8, 0
	s_mov_b32 s13, exec_lo
	s_waitcnt lgkmcnt(0)
	s_barrier
	buffer_gl0_inv
	v_cmpx_gt_i32_e64 s12, v0
	s_cbranch_execz .LBB230_12
; %bb.9:
	s_load_dwordx4 s[0:3], s[4:5], 0x0
	s_mul_hi_u32 s27, s27, s10
	s_mul_hi_i32 s15, s21, s10
	s_mul_i32 s14, s21, s10
	s_mul_i32 s24, s19, s24
	;; [unrolled: 1-line block ×4, first 2 shown]
	s_add_i32 s16, s10, s27
	s_lshl_b64 s[34:35], s[14:15], 2
	s_ashr_i32 s25, s24, 31
	s_ashr_i32 s29, s28, 31
	;; [unrolled: 1-line block ×3, first 2 shown]
	s_lshr_b32 s9, s16, s9
	s_mov_b32 s8, s17
	s_mul_hi_i32 s21, s9, s20
	s_mul_i32 s20, s9, s20
	v_lshlrev_b32_e32 v2, 3, v0
	v_lshlrev_b32_e32 v1, 2, v0
	v_mov_b32_e32 v9, 0
	v_mov_b32_e32 v10, v0
	s_waitcnt lgkmcnt(0)
	s_add_u32 s14, s2, s34
	s_addc_u32 s15, s3, s35
	s_lshl_b64 s[30:31], s[30:31], 2
	v_mov_b32_e32 v8, 0
	s_add_u32 s14, s14, s30
	s_addc_u32 s15, s15, s31
	s_lshl_b64 s[24:25], s[24:25], 1
	s_ashr_i32 s9, s17, 31
	s_add_i32 s16, s17, s17
	s_lshl_b64 s[20:21], s[20:21], 1
	s_lshl_b64 s[28:29], s[28:29], 1
	s_add_u32 s0, s0, s24
	s_addc_u32 s1, s1, s25
	s_add_u32 s0, s0, s28
	s_addc_u32 s1, s1, s29
	;; [unrolled: 2-line block ×3, first 2 shown]
	s_lshl_b64 s[8:9], s[8:9], 3
	s_add_u32 s2, s2, s30
	s_addc_u32 s3, s3, s31
	s_add_u32 s2, s2, s34
	s_addc_u32 s3, s3, s35
	v_add_co_u32 v3, s2, s2, v2
	v_add_co_ci_u32_e64 v4, null, s3, 0, s2
	v_add_co_u32 v1, s0, s0, v1
	v_add_co_ci_u32_e64 v2, null, s1, 0, s0
	;; [unrolled: 2-line block ×3, first 2 shown]
	v_mov_b32_e32 v7, 0
	v_mov_b32_e32 v6, 0
	s_mul_i32 s1, s17, 3
.LBB230_10:                             ; =>This Inner Loop Header: Depth=1
	v_add_nc_u32_e32 v11, s16, v10
	v_add_nc_u32_e32 v15, s1, v10
	v_add_co_u32 v13, s0, v3, s8
	v_add_co_ci_u32_e64 v14, null, s9, v4, s0
	v_ashrrev_i32_e32 v12, 31, v11
	v_ashrrev_i32_e32 v16, 31, v15
	v_add_nc_u32_e32 v10, 0xe0, v10
	v_lshlrev_b64 v[11:12], 3, v[11:12]
	v_lshlrev_b64 v[15:16], 3, v[15:16]
	v_add_co_u32 v11, s0, s14, v11
	v_add_co_ci_u32_e64 v12, null, s15, v12, s0
	v_add_co_u32 v15, s0, s14, v15
	v_add_co_ci_u32_e64 v16, null, s15, v16, s0
	global_load_dword v19, v[1:2], off
	s_clause 0x1
	global_load_dwordx2 v[17:18], v[3:4], off offset:-4
	global_load_dwordx2 v[13:14], v[13:14], off offset:-4
	s_clause 0x1
	global_load_dwordx2 v[11:12], v[11:12], off
	global_load_dwordx2 v[15:16], v[15:16], off
	v_add_co_u32 v1, s0, 0x380, v1
	v_add_co_ci_u32_e64 v2, null, 0, v2, s0
	v_add_co_u32 v3, s0, 0x700, v3
	v_add_co_ci_u32_e64 v4, null, 0, v4, s0
	v_cmp_le_i32_e64 s0, s12, v10
	s_or_b32 s11, s0, s11
	s_waitcnt vmcnt(3)
	v_fma_mix_f32 v9, v17, v19, v9 op_sel_hi:[0,1,0]
	s_waitcnt vmcnt(2)
	v_fma_mix_f32 v8, v13, v19, v8 op_sel_hi:[0,1,0]
	s_waitcnt vmcnt(1)
	v_fma_mix_f32 v7, v11, v19, v7 op_sel_hi:[0,1,0]
	s_waitcnt vmcnt(0)
	v_fma_mix_f32 v6, v15, v19, v6 op_sel_hi:[0,1,0]
	v_fma_mix_f32 v9, v18, v19, v9 op_sel:[0,1,0] op_sel_hi:[0,1,0]
	v_fma_mix_f32 v8, v14, v19, v8 op_sel:[0,1,0] op_sel_hi:[0,1,0]
	;; [unrolled: 1-line block ×4, first 2 shown]
	s_andn2_b32 exec_lo, exec_lo, s11
	s_cbranch_execnz .LBB230_10
; %bb.11:
	s_or_b32 exec_lo, exec_lo, s11
.LBB230_12:
	s_or_b32 exec_lo, exec_lo, s13
	v_mbcnt_lo_u32_b32 v2, -1, 0
	v_xor_b32_e32 v1, 16, v2
	v_xor_b32_e32 v3, 8, v2
	v_cmp_gt_i32_e64 s0, 32, v1
	v_cndmask_b32_e64 v1, v2, v1, s0
	v_cmp_gt_i32_e64 s0, 32, v3
	v_lshlrev_b32_e32 v1, 2, v1
	v_cndmask_b32_e64 v3, v2, v3, s0
	ds_bpermute_b32 v4, v1, v9
	v_lshlrev_b32_e32 v3, 2, v3
	s_waitcnt lgkmcnt(0)
	v_add_f32_e32 v9, v9, v4
	v_xor_b32_e32 v4, 4, v2
	ds_bpermute_b32 v10, v3, v9
	v_cmp_gt_i32_e64 s0, 32, v4
	v_cndmask_b32_e64 v4, v2, v4, s0
	v_lshlrev_b32_e32 v4, 2, v4
	s_waitcnt lgkmcnt(0)
	v_add_f32_e32 v10, v9, v10
	v_xor_b32_e32 v9, 2, v2
	ds_bpermute_b32 v11, v4, v10
	v_cmp_gt_i32_e64 s0, 32, v9
	v_cndmask_b32_e64 v9, v2, v9, s0
	;; [unrolled: 7-line block ×3, first 2 shown]
	v_lshlrev_b32_e32 v10, 2, v2
	s_waitcnt lgkmcnt(0)
	v_add_f32_e32 v2, v11, v12
	v_lshrrev_b32_e32 v11, 3, v0
	ds_bpermute_b32 v12, v10, v2
	v_and_b32_e32 v11, 0x7c, v11
	v_add_nc_u32_e32 v11, 0, v11
	s_waitcnt lgkmcnt(0)
	v_add_f32_e32 v2, v2, v12
	ds_write_b32 v11, v2
	s_waitcnt lgkmcnt(0)
	s_barrier
	buffer_gl0_inv
	s_and_saveexec_b32 s0, vcc_lo
	s_cbranch_execz .LBB230_14
; %bb.13:
	ds_read_b32 v2, v5
	s_waitcnt lgkmcnt(0)
	ds_bpermute_b32 v12, v1, v2
	s_waitcnt lgkmcnt(0)
	v_add_f32_e32 v2, v2, v12
	ds_bpermute_b32 v12, v3, v2
	s_waitcnt lgkmcnt(0)
	v_add_f32_e32 v2, v2, v12
	ds_bpermute_b32 v12, v4, v2
	s_waitcnt lgkmcnt(0)
	v_add_f32_e32 v2, v2, v12
	ds_bpermute_b32 v12, v9, v2
	s_waitcnt lgkmcnt(0)
	v_add_f32_e32 v2, v2, v12
	ds_bpermute_b32 v12, v10, v2
	s_waitcnt lgkmcnt(0)
	v_add_f32_e32 v2, v2, v12
.LBB230_14:
	s_or_b32 exec_lo, exec_lo, s0
	ds_bpermute_b32 v12, v1, v8
	s_waitcnt lgkmcnt(0)
	s_barrier
	buffer_gl0_inv
	v_add_f32_e32 v8, v8, v12
	ds_bpermute_b32 v12, v3, v8
	s_waitcnt lgkmcnt(0)
	v_add_f32_e32 v8, v8, v12
	ds_bpermute_b32 v12, v4, v8
	s_waitcnt lgkmcnt(0)
	v_add_f32_e32 v8, v8, v12
	ds_bpermute_b32 v12, v9, v8
	s_waitcnt lgkmcnt(0)
	v_add_f32_e32 v8, v8, v12
	ds_bpermute_b32 v12, v10, v8
	s_waitcnt lgkmcnt(0)
	v_add_f32_e32 v8, v8, v12
	ds_write_b32 v11, v8
	s_waitcnt lgkmcnt(0)
	s_barrier
	buffer_gl0_inv
	s_and_saveexec_b32 s0, vcc_lo
	s_cbranch_execz .LBB230_16
; %bb.15:
	ds_read_b32 v8, v5
	s_waitcnt lgkmcnt(0)
	ds_bpermute_b32 v12, v1, v8
	s_waitcnt lgkmcnt(0)
	v_add_f32_e32 v8, v8, v12
	ds_bpermute_b32 v12, v3, v8
	s_waitcnt lgkmcnt(0)
	v_add_f32_e32 v8, v8, v12
	ds_bpermute_b32 v12, v4, v8
	s_waitcnt lgkmcnt(0)
	v_add_f32_e32 v8, v8, v12
	ds_bpermute_b32 v12, v9, v8
	s_waitcnt lgkmcnt(0)
	v_add_f32_e32 v8, v8, v12
	ds_bpermute_b32 v12, v10, v8
	s_waitcnt lgkmcnt(0)
	v_add_f32_e32 v8, v8, v12
.LBB230_16:
	s_or_b32 exec_lo, exec_lo, s0
	ds_bpermute_b32 v12, v1, v7
	s_waitcnt lgkmcnt(0)
	s_barrier
	buffer_gl0_inv
	v_add_f32_e32 v7, v7, v12
	ds_bpermute_b32 v12, v3, v7
	s_waitcnt lgkmcnt(0)
	v_add_f32_e32 v7, v7, v12
	ds_bpermute_b32 v12, v4, v7
	s_waitcnt lgkmcnt(0)
	v_add_f32_e32 v7, v7, v12
	ds_bpermute_b32 v12, v9, v7
	s_waitcnt lgkmcnt(0)
	v_add_f32_e32 v7, v7, v12
	ds_bpermute_b32 v12, v10, v7
	;; [unrolled: 43-line block ×3, first 2 shown]
	s_waitcnt lgkmcnt(0)
	v_add_f32_e32 v6, v6, v12
	ds_write_b32 v11, v6
	s_waitcnt lgkmcnt(0)
	s_barrier
	buffer_gl0_inv
	s_and_saveexec_b32 s0, vcc_lo
	s_cbranch_execz .LBB230_20
; %bb.19:
	ds_read_b32 v5, v5
	s_waitcnt lgkmcnt(0)
	ds_bpermute_b32 v1, v1, v5
	s_waitcnt lgkmcnt(0)
	v_add_f32_e32 v1, v5, v1
	ds_bpermute_b32 v3, v3, v1
	s_waitcnt lgkmcnt(0)
	v_add_f32_e32 v1, v1, v3
	ds_bpermute_b32 v3, v4, v1
	s_waitcnt lgkmcnt(0)
	v_add_f32_e32 v1, v1, v3
	ds_bpermute_b32 v3, v9, v1
	s_waitcnt lgkmcnt(0)
	v_add_f32_e32 v1, v1, v3
	ds_bpermute_b32 v3, v10, v1
	s_waitcnt lgkmcnt(0)
	v_add_f32_e32 v6, v1, v3
.LBB230_20:
	s_or_b32 exec_lo, exec_lo, s0
	s_barrier
	buffer_gl0_inv
	s_mov_b32 s0, exec_lo
	v_cmpx_gt_u32_e32 4, v0
	s_cbranch_execz .LBB230_22
; %bb.21:
	s_load_dwordx2 s[0:1], s[4:5], 0x38
	v_mad_u64_u32 v[3:4], null, s18, v0, s[6:7]
	v_cmp_eq_u32_e32 vcc_lo, 1, v0
	s_mul_hi_i32 s3, s22, s10
	s_mul_i32 s2, s22, s10
	s_mul_i32 s4, s26, s7
	s_lshl_b64 s[2:3], s[2:3], 2
	v_cndmask_b32_e32 v1, v2, v8, vcc_lo
	v_ashrrev_i32_e32 v4, 31, v3
	v_cmp_eq_u32_e32 vcc_lo, 2, v0
	s_ashr_i32 s5, s4, 31
	v_cndmask_b32_e32 v5, v1, v7, vcc_lo
	v_lshlrev_b64 v[1:2], 2, v[3:4]
	v_cmp_eq_u32_e32 vcc_lo, 3, v0
	s_waitcnt lgkmcnt(0)
	s_add_u32 s2, s0, s2
	s_addc_u32 s3, s1, s3
	s_lshl_b64 s[0:1], s[4:5], 2
	v_cndmask_b32_e32 v3, v5, v6, vcc_lo
	s_add_u32 s0, s2, s0
	s_addc_u32 s1, s3, s1
	v_add_co_u32 v0, vcc_lo, s0, v1
	v_add_co_ci_u32_e64 v1, null, s1, v2, vcc_lo
	global_store_dword v[0:1], v3, off
.LBB230_22:
	s_endpgm
	.section	.rodata,"a",@progbits
	.p2align	6, 0x0
	.amdhsa_kernel _ZL13mul_mat_vec_fI6__halffLi4ELi224ELb0ELb0EEvPKT_PKfPKi31ggml_cuda_mm_fusion_args_devicePfi15HIP_vector_typeIjLj3EEiiiSB_iiiSB_iiii
		.amdhsa_group_segment_fixed_size 0
		.amdhsa_private_segment_fixed_size 0
		.amdhsa_kernarg_size 144
		.amdhsa_user_sgpr_count 6
		.amdhsa_user_sgpr_private_segment_buffer 1
		.amdhsa_user_sgpr_dispatch_ptr 0
		.amdhsa_user_sgpr_queue_ptr 0
		.amdhsa_user_sgpr_kernarg_segment_ptr 1
		.amdhsa_user_sgpr_dispatch_id 0
		.amdhsa_user_sgpr_flat_scratch_init 0
		.amdhsa_user_sgpr_private_segment_size 0
		.amdhsa_wavefront_size32 1
		.amdhsa_uses_dynamic_stack 0
		.amdhsa_system_sgpr_private_segment_wavefront_offset 0
		.amdhsa_system_sgpr_workgroup_id_x 1
		.amdhsa_system_sgpr_workgroup_id_y 1
		.amdhsa_system_sgpr_workgroup_id_z 1
		.amdhsa_system_sgpr_workgroup_info 0
		.amdhsa_system_vgpr_workitem_id 0
		.amdhsa_next_free_vgpr 20
		.amdhsa_next_free_sgpr 36
		.amdhsa_reserve_vcc 1
		.amdhsa_reserve_flat_scratch 0
		.amdhsa_float_round_mode_32 0
		.amdhsa_float_round_mode_16_64 0
		.amdhsa_float_denorm_mode_32 3
		.amdhsa_float_denorm_mode_16_64 3
		.amdhsa_dx10_clamp 1
		.amdhsa_ieee_mode 1
		.amdhsa_fp16_overflow 0
		.amdhsa_workgroup_processor_mode 1
		.amdhsa_memory_ordered 1
		.amdhsa_forward_progress 1
		.amdhsa_shared_vgpr_count 0
		.amdhsa_exception_fp_ieee_invalid_op 0
		.amdhsa_exception_fp_denorm_src 0
		.amdhsa_exception_fp_ieee_div_zero 0
		.amdhsa_exception_fp_ieee_overflow 0
		.amdhsa_exception_fp_ieee_underflow 0
		.amdhsa_exception_fp_ieee_inexact 0
		.amdhsa_exception_int_div_zero 0
	.end_amdhsa_kernel
	.section	.text._ZL13mul_mat_vec_fI6__halffLi4ELi224ELb0ELb0EEvPKT_PKfPKi31ggml_cuda_mm_fusion_args_devicePfi15HIP_vector_typeIjLj3EEiiiSB_iiiSB_iiii,"axG",@progbits,_ZL13mul_mat_vec_fI6__halffLi4ELi224ELb0ELb0EEvPKT_PKfPKi31ggml_cuda_mm_fusion_args_devicePfi15HIP_vector_typeIjLj3EEiiiSB_iiiSB_iiii,comdat
.Lfunc_end230:
	.size	_ZL13mul_mat_vec_fI6__halffLi4ELi224ELb0ELb0EEvPKT_PKfPKi31ggml_cuda_mm_fusion_args_devicePfi15HIP_vector_typeIjLj3EEiiiSB_iiiSB_iiii, .Lfunc_end230-_ZL13mul_mat_vec_fI6__halffLi4ELi224ELb0ELb0EEvPKT_PKfPKi31ggml_cuda_mm_fusion_args_devicePfi15HIP_vector_typeIjLj3EEiiiSB_iiiSB_iiii
                                        ; -- End function
	.set _ZL13mul_mat_vec_fI6__halffLi4ELi224ELb0ELb0EEvPKT_PKfPKi31ggml_cuda_mm_fusion_args_devicePfi15HIP_vector_typeIjLj3EEiiiSB_iiiSB_iiii.num_vgpr, 20
	.set _ZL13mul_mat_vec_fI6__halffLi4ELi224ELb0ELb0EEvPKT_PKfPKi31ggml_cuda_mm_fusion_args_devicePfi15HIP_vector_typeIjLj3EEiiiSB_iiiSB_iiii.num_agpr, 0
	.set _ZL13mul_mat_vec_fI6__halffLi4ELi224ELb0ELb0EEvPKT_PKfPKi31ggml_cuda_mm_fusion_args_devicePfi15HIP_vector_typeIjLj3EEiiiSB_iiiSB_iiii.numbered_sgpr, 36
	.set _ZL13mul_mat_vec_fI6__halffLi4ELi224ELb0ELb0EEvPKT_PKfPKi31ggml_cuda_mm_fusion_args_devicePfi15HIP_vector_typeIjLj3EEiiiSB_iiiSB_iiii.num_named_barrier, 0
	.set _ZL13mul_mat_vec_fI6__halffLi4ELi224ELb0ELb0EEvPKT_PKfPKi31ggml_cuda_mm_fusion_args_devicePfi15HIP_vector_typeIjLj3EEiiiSB_iiiSB_iiii.private_seg_size, 0
	.set _ZL13mul_mat_vec_fI6__halffLi4ELi224ELb0ELb0EEvPKT_PKfPKi31ggml_cuda_mm_fusion_args_devicePfi15HIP_vector_typeIjLj3EEiiiSB_iiiSB_iiii.uses_vcc, 1
	.set _ZL13mul_mat_vec_fI6__halffLi4ELi224ELb0ELb0EEvPKT_PKfPKi31ggml_cuda_mm_fusion_args_devicePfi15HIP_vector_typeIjLj3EEiiiSB_iiiSB_iiii.uses_flat_scratch, 0
	.set _ZL13mul_mat_vec_fI6__halffLi4ELi224ELb0ELb0EEvPKT_PKfPKi31ggml_cuda_mm_fusion_args_devicePfi15HIP_vector_typeIjLj3EEiiiSB_iiiSB_iiii.has_dyn_sized_stack, 0
	.set _ZL13mul_mat_vec_fI6__halffLi4ELi224ELb0ELb0EEvPKT_PKfPKi31ggml_cuda_mm_fusion_args_devicePfi15HIP_vector_typeIjLj3EEiiiSB_iiiSB_iiii.has_recursion, 0
	.set _ZL13mul_mat_vec_fI6__halffLi4ELi224ELb0ELb0EEvPKT_PKfPKi31ggml_cuda_mm_fusion_args_devicePfi15HIP_vector_typeIjLj3EEiiiSB_iiiSB_iiii.has_indirect_call, 0
	.section	.AMDGPU.csdata,"",@progbits
; Kernel info:
; codeLenInByte = 1940
; TotalNumSgprs: 38
; NumVgprs: 20
; ScratchSize: 0
; MemoryBound: 0
; FloatMode: 240
; IeeeMode: 1
; LDSByteSize: 0 bytes/workgroup (compile time only)
; SGPRBlocks: 0
; VGPRBlocks: 2
; NumSGPRsForWavesPerEU: 38
; NumVGPRsForWavesPerEU: 20
; Occupancy: 16
; WaveLimiterHint : 0
; COMPUTE_PGM_RSRC2:SCRATCH_EN: 0
; COMPUTE_PGM_RSRC2:USER_SGPR: 6
; COMPUTE_PGM_RSRC2:TRAP_HANDLER: 0
; COMPUTE_PGM_RSRC2:TGID_X_EN: 1
; COMPUTE_PGM_RSRC2:TGID_Y_EN: 1
; COMPUTE_PGM_RSRC2:TGID_Z_EN: 1
; COMPUTE_PGM_RSRC2:TIDIG_COMP_CNT: 0
	.section	.text._ZL13mul_mat_vec_fI6__halffLi4ELi256ELb0ELb0EEvPKT_PKfPKi31ggml_cuda_mm_fusion_args_devicePfi15HIP_vector_typeIjLj3EEiiiSB_iiiSB_iiii,"axG",@progbits,_ZL13mul_mat_vec_fI6__halffLi4ELi256ELb0ELb0EEvPKT_PKfPKi31ggml_cuda_mm_fusion_args_devicePfi15HIP_vector_typeIjLj3EEiiiSB_iiiSB_iiii,comdat
	.globl	_ZL13mul_mat_vec_fI6__halffLi4ELi256ELb0ELb0EEvPKT_PKfPKi31ggml_cuda_mm_fusion_args_devicePfi15HIP_vector_typeIjLj3EEiiiSB_iiiSB_iiii ; -- Begin function _ZL13mul_mat_vec_fI6__halffLi4ELi256ELb0ELb0EEvPKT_PKfPKi31ggml_cuda_mm_fusion_args_devicePfi15HIP_vector_typeIjLj3EEiiiSB_iiiSB_iiii
	.p2align	8
	.type	_ZL13mul_mat_vec_fI6__halffLi4ELi256ELb0ELb0EEvPKT_PKfPKi31ggml_cuda_mm_fusion_args_devicePfi15HIP_vector_typeIjLj3EEiiiSB_iiiSB_iiii,@function
_ZL13mul_mat_vec_fI6__halffLi4ELi256ELb0ELb0EEvPKT_PKfPKi31ggml_cuda_mm_fusion_args_devicePfi15HIP_vector_typeIjLj3EEiiiSB_iiiSB_iiii: ; @_ZL13mul_mat_vec_fI6__halffLi4ELi256ELb0ELb0EEvPKT_PKfPKi31ggml_cuda_mm_fusion_args_devicePfi15HIP_vector_typeIjLj3EEiiiSB_iiiSB_iiii
; %bb.0:
	s_clause 0x2
	s_load_dwordx2 s[0:1], s[4:5], 0x10
	s_load_dwordx8 s[12:19], s[4:5], 0x40
	s_load_dwordx4 s[20:23], s[4:5], 0x80
	s_waitcnt lgkmcnt(0)
	s_cmp_eq_u64 s[0:1], 0
	s_cselect_b32 s10, -1, 0
	s_cmp_lg_u64 s[0:1], 0
	s_cselect_b32 s9, -1, 0
	s_and_b32 vcc_lo, exec_lo, s10
	s_cbranch_vccnz .LBB231_2
; %bb.1:
	s_mul_i32 s2, s23, s8
	s_mov_b32 s3, 0
	s_add_i32 s2, s2, s7
	s_lshl_b64 s[24:25], s[2:3], 2
	s_add_u32 s0, s0, s24
	s_addc_u32 s1, s1, s25
	s_load_dword s19, s[0:1], 0x0
	s_cbranch_execz .LBB231_3
	s_branch .LBB231_4
.LBB231_2:
                                        ; implicit-def: $sgpr19
.LBB231_3:
	s_load_dwordx2 s[0:1], s[4:5], 0x5c
	s_waitcnt lgkmcnt(0)
	s_mul_hi_u32 s0, s0, s7
	s_add_i32 s0, s7, s0
	s_lshr_b32 s19, s0, s1
.LBB231_4:
	s_load_dwordx4 s[24:27], s[4:5], 0x68
	s_andn2_b32 vcc_lo, exec_lo, s9
	s_mov_b32 s23, s7
	s_cbranch_vccnz .LBB231_6
; %bb.5:
	s_mul_hi_u32 s0, s13, s7
	s_add_i32 s0, s7, s0
	s_lshr_b32 s0, s0, s14
	s_mul_i32 s0, s0, s15
	s_sub_i32 s23, s7, s0
.LBB231_6:
	s_load_dword s9, s[4:5], 0x78
	v_cmp_gt_u32_e32 vcc_lo, 32, v0
	v_lshl_add_u32 v5, v0, 2, 0
	s_and_saveexec_b32 s0, vcc_lo
; %bb.7:
	v_mov_b32_e32 v1, 0
	ds_write_b32 v5, v1
; %bb.8:
	s_or_b32 exec_lo, exec_lo, s0
	v_mov_b32_e32 v6, 0
	v_mov_b32_e32 v7, 0
	;; [unrolled: 1-line block ×4, first 2 shown]
	s_and_b32 s0, exec_lo, s10
	s_mov_b32 s11, 0
	s_cselect_b32 s10, s8, 0
	s_mov_b32 s13, exec_lo
	s_waitcnt lgkmcnt(0)
	s_barrier
	buffer_gl0_inv
	v_cmpx_gt_i32_e64 s12, v0
	s_cbranch_execz .LBB231_12
; %bb.9:
	s_load_dwordx4 s[0:3], s[4:5], 0x0
	s_mul_hi_u32 s27, s27, s10
	s_mul_hi_i32 s15, s21, s10
	s_mul_i32 s14, s21, s10
	s_mul_i32 s24, s19, s24
	;; [unrolled: 1-line block ×4, first 2 shown]
	s_add_i32 s16, s10, s27
	s_lshl_b64 s[34:35], s[14:15], 2
	s_ashr_i32 s25, s24, 31
	s_ashr_i32 s29, s28, 31
	;; [unrolled: 1-line block ×3, first 2 shown]
	s_lshr_b32 s9, s16, s9
	s_mov_b32 s8, s17
	s_mul_hi_i32 s21, s9, s20
	s_mul_i32 s20, s9, s20
	v_lshlrev_b32_e32 v2, 3, v0
	v_lshlrev_b32_e32 v1, 2, v0
	v_mov_b32_e32 v9, 0
	v_mov_b32_e32 v10, v0
	s_waitcnt lgkmcnt(0)
	s_add_u32 s14, s2, s34
	s_addc_u32 s15, s3, s35
	s_lshl_b64 s[30:31], s[30:31], 2
	v_mov_b32_e32 v8, 0
	s_add_u32 s14, s14, s30
	s_addc_u32 s15, s15, s31
	s_lshl_b64 s[24:25], s[24:25], 1
	s_ashr_i32 s9, s17, 31
	s_add_i32 s16, s17, s17
	s_lshl_b64 s[20:21], s[20:21], 1
	s_lshl_b64 s[28:29], s[28:29], 1
	s_add_u32 s0, s0, s24
	s_addc_u32 s1, s1, s25
	s_add_u32 s0, s0, s28
	s_addc_u32 s1, s1, s29
	;; [unrolled: 2-line block ×3, first 2 shown]
	s_lshl_b64 s[8:9], s[8:9], 3
	s_add_u32 s2, s2, s30
	s_addc_u32 s3, s3, s31
	s_add_u32 s2, s2, s34
	s_addc_u32 s3, s3, s35
	v_add_co_u32 v3, s2, s2, v2
	v_add_co_ci_u32_e64 v4, null, s3, 0, s2
	v_add_co_u32 v1, s0, s0, v1
	v_add_co_ci_u32_e64 v2, null, s1, 0, s0
	;; [unrolled: 2-line block ×3, first 2 shown]
	v_mov_b32_e32 v7, 0
	v_mov_b32_e32 v6, 0
	s_mul_i32 s1, s17, 3
.LBB231_10:                             ; =>This Inner Loop Header: Depth=1
	v_add_nc_u32_e32 v11, s16, v10
	v_add_nc_u32_e32 v15, s1, v10
	v_add_co_u32 v13, s0, v3, s8
	v_add_co_ci_u32_e64 v14, null, s9, v4, s0
	v_ashrrev_i32_e32 v12, 31, v11
	v_ashrrev_i32_e32 v16, 31, v15
	v_add_nc_u32_e32 v10, 0x100, v10
	v_lshlrev_b64 v[11:12], 3, v[11:12]
	v_lshlrev_b64 v[15:16], 3, v[15:16]
	v_add_co_u32 v11, s0, s14, v11
	v_add_co_ci_u32_e64 v12, null, s15, v12, s0
	v_add_co_u32 v15, s0, s14, v15
	v_add_co_ci_u32_e64 v16, null, s15, v16, s0
	global_load_dword v19, v[1:2], off
	s_clause 0x1
	global_load_dwordx2 v[17:18], v[3:4], off offset:-4
	global_load_dwordx2 v[13:14], v[13:14], off offset:-4
	s_clause 0x1
	global_load_dwordx2 v[11:12], v[11:12], off
	global_load_dwordx2 v[15:16], v[15:16], off
	v_add_co_u32 v1, s0, 0x400, v1
	v_add_co_ci_u32_e64 v2, null, 0, v2, s0
	v_add_co_u32 v3, s0, 0x800, v3
	v_add_co_ci_u32_e64 v4, null, 0, v4, s0
	v_cmp_le_i32_e64 s0, s12, v10
	s_or_b32 s11, s0, s11
	s_waitcnt vmcnt(3)
	v_fma_mix_f32 v9, v17, v19, v9 op_sel_hi:[0,1,0]
	s_waitcnt vmcnt(2)
	v_fma_mix_f32 v8, v13, v19, v8 op_sel_hi:[0,1,0]
	;; [unrolled: 2-line block ×4, first 2 shown]
	v_fma_mix_f32 v9, v18, v19, v9 op_sel:[0,1,0] op_sel_hi:[0,1,0]
	v_fma_mix_f32 v8, v14, v19, v8 op_sel:[0,1,0] op_sel_hi:[0,1,0]
	;; [unrolled: 1-line block ×4, first 2 shown]
	s_andn2_b32 exec_lo, exec_lo, s11
	s_cbranch_execnz .LBB231_10
; %bb.11:
	s_or_b32 exec_lo, exec_lo, s11
.LBB231_12:
	s_or_b32 exec_lo, exec_lo, s13
	v_mbcnt_lo_u32_b32 v2, -1, 0
	v_xor_b32_e32 v1, 16, v2
	v_xor_b32_e32 v3, 8, v2
	v_cmp_gt_i32_e64 s0, 32, v1
	v_cndmask_b32_e64 v1, v2, v1, s0
	v_cmp_gt_i32_e64 s0, 32, v3
	v_lshlrev_b32_e32 v1, 2, v1
	v_cndmask_b32_e64 v3, v2, v3, s0
	ds_bpermute_b32 v4, v1, v9
	v_lshlrev_b32_e32 v3, 2, v3
	s_waitcnt lgkmcnt(0)
	v_add_f32_e32 v9, v9, v4
	v_xor_b32_e32 v4, 4, v2
	ds_bpermute_b32 v10, v3, v9
	v_cmp_gt_i32_e64 s0, 32, v4
	v_cndmask_b32_e64 v4, v2, v4, s0
	v_lshlrev_b32_e32 v4, 2, v4
	s_waitcnt lgkmcnt(0)
	v_add_f32_e32 v10, v9, v10
	v_xor_b32_e32 v9, 2, v2
	ds_bpermute_b32 v11, v4, v10
	v_cmp_gt_i32_e64 s0, 32, v9
	v_cndmask_b32_e64 v9, v2, v9, s0
	;; [unrolled: 7-line block ×3, first 2 shown]
	v_lshlrev_b32_e32 v10, 2, v2
	s_waitcnt lgkmcnt(0)
	v_add_f32_e32 v2, v11, v12
	v_lshrrev_b32_e32 v11, 3, v0
	ds_bpermute_b32 v12, v10, v2
	v_and_b32_e32 v11, 0x7c, v11
	v_add_nc_u32_e32 v11, 0, v11
	s_waitcnt lgkmcnt(0)
	v_add_f32_e32 v2, v2, v12
	ds_write_b32 v11, v2
	s_waitcnt lgkmcnt(0)
	s_barrier
	buffer_gl0_inv
	s_and_saveexec_b32 s0, vcc_lo
	s_cbranch_execz .LBB231_14
; %bb.13:
	ds_read_b32 v2, v5
	s_waitcnt lgkmcnt(0)
	ds_bpermute_b32 v12, v1, v2
	s_waitcnt lgkmcnt(0)
	v_add_f32_e32 v2, v2, v12
	ds_bpermute_b32 v12, v3, v2
	s_waitcnt lgkmcnt(0)
	v_add_f32_e32 v2, v2, v12
	ds_bpermute_b32 v12, v4, v2
	s_waitcnt lgkmcnt(0)
	v_add_f32_e32 v2, v2, v12
	ds_bpermute_b32 v12, v9, v2
	s_waitcnt lgkmcnt(0)
	v_add_f32_e32 v2, v2, v12
	ds_bpermute_b32 v12, v10, v2
	s_waitcnt lgkmcnt(0)
	v_add_f32_e32 v2, v2, v12
.LBB231_14:
	s_or_b32 exec_lo, exec_lo, s0
	ds_bpermute_b32 v12, v1, v8
	s_waitcnt lgkmcnt(0)
	s_barrier
	buffer_gl0_inv
	v_add_f32_e32 v8, v8, v12
	ds_bpermute_b32 v12, v3, v8
	s_waitcnt lgkmcnt(0)
	v_add_f32_e32 v8, v8, v12
	ds_bpermute_b32 v12, v4, v8
	s_waitcnt lgkmcnt(0)
	v_add_f32_e32 v8, v8, v12
	ds_bpermute_b32 v12, v9, v8
	s_waitcnt lgkmcnt(0)
	v_add_f32_e32 v8, v8, v12
	ds_bpermute_b32 v12, v10, v8
	s_waitcnt lgkmcnt(0)
	v_add_f32_e32 v8, v8, v12
	ds_write_b32 v11, v8
	s_waitcnt lgkmcnt(0)
	s_barrier
	buffer_gl0_inv
	s_and_saveexec_b32 s0, vcc_lo
	s_cbranch_execz .LBB231_16
; %bb.15:
	ds_read_b32 v8, v5
	s_waitcnt lgkmcnt(0)
	ds_bpermute_b32 v12, v1, v8
	s_waitcnt lgkmcnt(0)
	v_add_f32_e32 v8, v8, v12
	ds_bpermute_b32 v12, v3, v8
	s_waitcnt lgkmcnt(0)
	v_add_f32_e32 v8, v8, v12
	ds_bpermute_b32 v12, v4, v8
	s_waitcnt lgkmcnt(0)
	v_add_f32_e32 v8, v8, v12
	ds_bpermute_b32 v12, v9, v8
	s_waitcnt lgkmcnt(0)
	v_add_f32_e32 v8, v8, v12
	ds_bpermute_b32 v12, v10, v8
	s_waitcnt lgkmcnt(0)
	v_add_f32_e32 v8, v8, v12
.LBB231_16:
	s_or_b32 exec_lo, exec_lo, s0
	ds_bpermute_b32 v12, v1, v7
	s_waitcnt lgkmcnt(0)
	s_barrier
	buffer_gl0_inv
	v_add_f32_e32 v7, v7, v12
	ds_bpermute_b32 v12, v3, v7
	s_waitcnt lgkmcnt(0)
	v_add_f32_e32 v7, v7, v12
	ds_bpermute_b32 v12, v4, v7
	s_waitcnt lgkmcnt(0)
	v_add_f32_e32 v7, v7, v12
	ds_bpermute_b32 v12, v9, v7
	s_waitcnt lgkmcnt(0)
	v_add_f32_e32 v7, v7, v12
	ds_bpermute_b32 v12, v10, v7
	;; [unrolled: 43-line block ×3, first 2 shown]
	s_waitcnt lgkmcnt(0)
	v_add_f32_e32 v6, v6, v12
	ds_write_b32 v11, v6
	s_waitcnt lgkmcnt(0)
	s_barrier
	buffer_gl0_inv
	s_and_saveexec_b32 s0, vcc_lo
	s_cbranch_execz .LBB231_20
; %bb.19:
	ds_read_b32 v5, v5
	s_waitcnt lgkmcnt(0)
	ds_bpermute_b32 v1, v1, v5
	s_waitcnt lgkmcnt(0)
	v_add_f32_e32 v1, v5, v1
	ds_bpermute_b32 v3, v3, v1
	s_waitcnt lgkmcnt(0)
	v_add_f32_e32 v1, v1, v3
	;; [unrolled: 3-line block ×5, first 2 shown]
.LBB231_20:
	s_or_b32 exec_lo, exec_lo, s0
	s_barrier
	buffer_gl0_inv
	s_mov_b32 s0, exec_lo
	v_cmpx_gt_u32_e32 4, v0
	s_cbranch_execz .LBB231_22
; %bb.21:
	s_load_dwordx2 s[0:1], s[4:5], 0x38
	v_mad_u64_u32 v[3:4], null, s18, v0, s[6:7]
	v_cmp_eq_u32_e32 vcc_lo, 1, v0
	s_mul_hi_i32 s3, s22, s10
	s_mul_i32 s2, s22, s10
	s_mul_i32 s4, s26, s7
	s_lshl_b64 s[2:3], s[2:3], 2
	v_cndmask_b32_e32 v1, v2, v8, vcc_lo
	v_ashrrev_i32_e32 v4, 31, v3
	v_cmp_eq_u32_e32 vcc_lo, 2, v0
	s_ashr_i32 s5, s4, 31
	v_cndmask_b32_e32 v5, v1, v7, vcc_lo
	v_lshlrev_b64 v[1:2], 2, v[3:4]
	v_cmp_eq_u32_e32 vcc_lo, 3, v0
	s_waitcnt lgkmcnt(0)
	s_add_u32 s2, s0, s2
	s_addc_u32 s3, s1, s3
	s_lshl_b64 s[0:1], s[4:5], 2
	v_cndmask_b32_e32 v3, v5, v6, vcc_lo
	s_add_u32 s0, s2, s0
	s_addc_u32 s1, s3, s1
	v_add_co_u32 v0, vcc_lo, s0, v1
	v_add_co_ci_u32_e64 v1, null, s1, v2, vcc_lo
	global_store_dword v[0:1], v3, off
.LBB231_22:
	s_endpgm
	.section	.rodata,"a",@progbits
	.p2align	6, 0x0
	.amdhsa_kernel _ZL13mul_mat_vec_fI6__halffLi4ELi256ELb0ELb0EEvPKT_PKfPKi31ggml_cuda_mm_fusion_args_devicePfi15HIP_vector_typeIjLj3EEiiiSB_iiiSB_iiii
		.amdhsa_group_segment_fixed_size 0
		.amdhsa_private_segment_fixed_size 0
		.amdhsa_kernarg_size 144
		.amdhsa_user_sgpr_count 6
		.amdhsa_user_sgpr_private_segment_buffer 1
		.amdhsa_user_sgpr_dispatch_ptr 0
		.amdhsa_user_sgpr_queue_ptr 0
		.amdhsa_user_sgpr_kernarg_segment_ptr 1
		.amdhsa_user_sgpr_dispatch_id 0
		.amdhsa_user_sgpr_flat_scratch_init 0
		.amdhsa_user_sgpr_private_segment_size 0
		.amdhsa_wavefront_size32 1
		.amdhsa_uses_dynamic_stack 0
		.amdhsa_system_sgpr_private_segment_wavefront_offset 0
		.amdhsa_system_sgpr_workgroup_id_x 1
		.amdhsa_system_sgpr_workgroup_id_y 1
		.amdhsa_system_sgpr_workgroup_id_z 1
		.amdhsa_system_sgpr_workgroup_info 0
		.amdhsa_system_vgpr_workitem_id 0
		.amdhsa_next_free_vgpr 20
		.amdhsa_next_free_sgpr 36
		.amdhsa_reserve_vcc 1
		.amdhsa_reserve_flat_scratch 0
		.amdhsa_float_round_mode_32 0
		.amdhsa_float_round_mode_16_64 0
		.amdhsa_float_denorm_mode_32 3
		.amdhsa_float_denorm_mode_16_64 3
		.amdhsa_dx10_clamp 1
		.amdhsa_ieee_mode 1
		.amdhsa_fp16_overflow 0
		.amdhsa_workgroup_processor_mode 1
		.amdhsa_memory_ordered 1
		.amdhsa_forward_progress 1
		.amdhsa_shared_vgpr_count 0
		.amdhsa_exception_fp_ieee_invalid_op 0
		.amdhsa_exception_fp_denorm_src 0
		.amdhsa_exception_fp_ieee_div_zero 0
		.amdhsa_exception_fp_ieee_overflow 0
		.amdhsa_exception_fp_ieee_underflow 0
		.amdhsa_exception_fp_ieee_inexact 0
		.amdhsa_exception_int_div_zero 0
	.end_amdhsa_kernel
	.section	.text._ZL13mul_mat_vec_fI6__halffLi4ELi256ELb0ELb0EEvPKT_PKfPKi31ggml_cuda_mm_fusion_args_devicePfi15HIP_vector_typeIjLj3EEiiiSB_iiiSB_iiii,"axG",@progbits,_ZL13mul_mat_vec_fI6__halffLi4ELi256ELb0ELb0EEvPKT_PKfPKi31ggml_cuda_mm_fusion_args_devicePfi15HIP_vector_typeIjLj3EEiiiSB_iiiSB_iiii,comdat
.Lfunc_end231:
	.size	_ZL13mul_mat_vec_fI6__halffLi4ELi256ELb0ELb0EEvPKT_PKfPKi31ggml_cuda_mm_fusion_args_devicePfi15HIP_vector_typeIjLj3EEiiiSB_iiiSB_iiii, .Lfunc_end231-_ZL13mul_mat_vec_fI6__halffLi4ELi256ELb0ELb0EEvPKT_PKfPKi31ggml_cuda_mm_fusion_args_devicePfi15HIP_vector_typeIjLj3EEiiiSB_iiiSB_iiii
                                        ; -- End function
	.set _ZL13mul_mat_vec_fI6__halffLi4ELi256ELb0ELb0EEvPKT_PKfPKi31ggml_cuda_mm_fusion_args_devicePfi15HIP_vector_typeIjLj3EEiiiSB_iiiSB_iiii.num_vgpr, 20
	.set _ZL13mul_mat_vec_fI6__halffLi4ELi256ELb0ELb0EEvPKT_PKfPKi31ggml_cuda_mm_fusion_args_devicePfi15HIP_vector_typeIjLj3EEiiiSB_iiiSB_iiii.num_agpr, 0
	.set _ZL13mul_mat_vec_fI6__halffLi4ELi256ELb0ELb0EEvPKT_PKfPKi31ggml_cuda_mm_fusion_args_devicePfi15HIP_vector_typeIjLj3EEiiiSB_iiiSB_iiii.numbered_sgpr, 36
	.set _ZL13mul_mat_vec_fI6__halffLi4ELi256ELb0ELb0EEvPKT_PKfPKi31ggml_cuda_mm_fusion_args_devicePfi15HIP_vector_typeIjLj3EEiiiSB_iiiSB_iiii.num_named_barrier, 0
	.set _ZL13mul_mat_vec_fI6__halffLi4ELi256ELb0ELb0EEvPKT_PKfPKi31ggml_cuda_mm_fusion_args_devicePfi15HIP_vector_typeIjLj3EEiiiSB_iiiSB_iiii.private_seg_size, 0
	.set _ZL13mul_mat_vec_fI6__halffLi4ELi256ELb0ELb0EEvPKT_PKfPKi31ggml_cuda_mm_fusion_args_devicePfi15HIP_vector_typeIjLj3EEiiiSB_iiiSB_iiii.uses_vcc, 1
	.set _ZL13mul_mat_vec_fI6__halffLi4ELi256ELb0ELb0EEvPKT_PKfPKi31ggml_cuda_mm_fusion_args_devicePfi15HIP_vector_typeIjLj3EEiiiSB_iiiSB_iiii.uses_flat_scratch, 0
	.set _ZL13mul_mat_vec_fI6__halffLi4ELi256ELb0ELb0EEvPKT_PKfPKi31ggml_cuda_mm_fusion_args_devicePfi15HIP_vector_typeIjLj3EEiiiSB_iiiSB_iiii.has_dyn_sized_stack, 0
	.set _ZL13mul_mat_vec_fI6__halffLi4ELi256ELb0ELb0EEvPKT_PKfPKi31ggml_cuda_mm_fusion_args_devicePfi15HIP_vector_typeIjLj3EEiiiSB_iiiSB_iiii.has_recursion, 0
	.set _ZL13mul_mat_vec_fI6__halffLi4ELi256ELb0ELb0EEvPKT_PKfPKi31ggml_cuda_mm_fusion_args_devicePfi15HIP_vector_typeIjLj3EEiiiSB_iiiSB_iiii.has_indirect_call, 0
	.section	.AMDGPU.csdata,"",@progbits
; Kernel info:
; codeLenInByte = 1940
; TotalNumSgprs: 38
; NumVgprs: 20
; ScratchSize: 0
; MemoryBound: 0
; FloatMode: 240
; IeeeMode: 1
; LDSByteSize: 0 bytes/workgroup (compile time only)
; SGPRBlocks: 0
; VGPRBlocks: 2
; NumSGPRsForWavesPerEU: 38
; NumVGPRsForWavesPerEU: 20
; Occupancy: 16
; WaveLimiterHint : 0
; COMPUTE_PGM_RSRC2:SCRATCH_EN: 0
; COMPUTE_PGM_RSRC2:USER_SGPR: 6
; COMPUTE_PGM_RSRC2:TRAP_HANDLER: 0
; COMPUTE_PGM_RSRC2:TGID_X_EN: 1
; COMPUTE_PGM_RSRC2:TGID_Y_EN: 1
; COMPUTE_PGM_RSRC2:TGID_Z_EN: 1
; COMPUTE_PGM_RSRC2:TIDIG_COMP_CNT: 0
	.section	.text._ZL13mul_mat_vec_fI6__halffLi5ELi32ELb0ELb0EEvPKT_PKfPKi31ggml_cuda_mm_fusion_args_devicePfi15HIP_vector_typeIjLj3EEiiiSB_iiiSB_iiii,"axG",@progbits,_ZL13mul_mat_vec_fI6__halffLi5ELi32ELb0ELb0EEvPKT_PKfPKi31ggml_cuda_mm_fusion_args_devicePfi15HIP_vector_typeIjLj3EEiiiSB_iiiSB_iiii,comdat
	.globl	_ZL13mul_mat_vec_fI6__halffLi5ELi32ELb0ELb0EEvPKT_PKfPKi31ggml_cuda_mm_fusion_args_devicePfi15HIP_vector_typeIjLj3EEiiiSB_iiiSB_iiii ; -- Begin function _ZL13mul_mat_vec_fI6__halffLi5ELi32ELb0ELb0EEvPKT_PKfPKi31ggml_cuda_mm_fusion_args_devicePfi15HIP_vector_typeIjLj3EEiiiSB_iiiSB_iiii
	.p2align	8
	.type	_ZL13mul_mat_vec_fI6__halffLi5ELi32ELb0ELb0EEvPKT_PKfPKi31ggml_cuda_mm_fusion_args_devicePfi15HIP_vector_typeIjLj3EEiiiSB_iiiSB_iiii,@function
_ZL13mul_mat_vec_fI6__halffLi5ELi32ELb0ELb0EEvPKT_PKfPKi31ggml_cuda_mm_fusion_args_devicePfi15HIP_vector_typeIjLj3EEiiiSB_iiiSB_iiii: ; @_ZL13mul_mat_vec_fI6__halffLi5ELi32ELb0ELb0EEvPKT_PKfPKi31ggml_cuda_mm_fusion_args_devicePfi15HIP_vector_typeIjLj3EEiiiSB_iiiSB_iiii
; %bb.0:
	s_clause 0x2
	s_load_dwordx2 s[20:21], s[4:5], 0x10
	s_load_dwordx8 s[12:19], s[4:5], 0x40
	s_load_dwordx4 s[0:3], s[4:5], 0x80
	s_waitcnt lgkmcnt(0)
	s_cmp_eq_u64 s[20:21], 0
	s_cselect_b32 s9, -1, 0
	s_cmp_lg_u64 s[20:21], 0
	s_cselect_b32 s25, -1, 0
	s_and_b32 vcc_lo, exec_lo, s9
	s_cbranch_vccnz .LBB232_2
; %bb.1:
	s_mul_i32 s3, s3, s8
	s_mov_b32 s11, 0
	s_add_i32 s10, s3, s7
	s_lshl_b64 s[22:23], s[10:11], 2
	s_add_u32 s20, s20, s22
	s_addc_u32 s21, s21, s23
	s_load_dword s24, s[20:21], 0x0
	s_load_dwordx4 s[20:23], s[4:5], 0x68
	s_cbranch_execz .LBB232_3
	s_branch .LBB232_4
.LBB232_2:
                                        ; implicit-def: $sgpr24
	s_load_dwordx4 s[20:23], s[4:5], 0x68
.LBB232_3:
	s_load_dwordx2 s[10:11], s[4:5], 0x5c
	s_waitcnt lgkmcnt(0)
	s_mul_hi_u32 s3, s10, s7
	s_add_i32 s3, s7, s3
	s_lshr_b32 s24, s3, s11
.LBB232_4:
	s_load_dword s19, s[4:5], 0x78
	s_andn2_b32 vcc_lo, exec_lo, s25
	s_mov_b32 s25, s7
	s_cbranch_vccnz .LBB232_6
; %bb.5:
	s_mul_hi_u32 s3, s13, s7
	s_add_i32 s3, s7, s3
	s_lshr_b32 s3, s3, s14
	s_mul_i32 s3, s3, s15
	s_sub_i32 s25, s7, s3
.LBB232_6:
	v_mov_b32_e32 v6, 0
	v_mov_b32_e32 v7, 0
	;; [unrolled: 1-line block ×5, first 2 shown]
	s_and_b32 s3, exec_lo, s9
	s_mov_b32 s14, 0
	s_cselect_b32 s3, s8, 0
	s_mov_b32 s13, exec_lo
	v_cmpx_gt_i32_e64 s12, v0
	s_cbranch_execz .LBB232_10
; %bb.7:
	s_load_dwordx4 s[8:11], s[4:5], 0x0
	s_waitcnt lgkmcnt(0)
	s_mul_hi_u32 s15, s23, s3
	s_mul_hi_i32 s29, s1, s3
	s_mul_i32 s28, s1, s3
	s_mul_i32 s24, s24, s20
	;; [unrolled: 1-line block ×4, first 2 shown]
	s_add_i32 s1, s3, s15
	s_lshl_b64 s[28:29], s[28:29], 2
	s_ashr_i32 s25, s24, 31
	s_ashr_i32 s27, s26, 31
	;; [unrolled: 1-line block ×3, first 2 shown]
	s_lshr_b32 s15, s1, s19
	s_mov_b32 s30, s17
	s_mul_hi_i32 s1, s15, s0
	s_mul_i32 s0, s15, s0
	v_lshlrev_b32_e32 v2, 3, v0
	v_lshlrev_b32_e32 v1, 2, v0
	v_mov_b32_e32 v5, 0
	v_mov_b32_e32 v10, v0
	s_add_u32 s16, s10, s28
	s_addc_u32 s19, s11, s29
	s_lshl_b64 s[34:35], s[20:21], 2
	v_mov_b32_e32 v9, 0
	s_add_u32 s15, s16, s34
	s_addc_u32 s16, s19, s35
	s_lshl_b64 s[24:25], s[24:25], 1
	s_ashr_i32 s31, s17, 31
	s_add_i32 s19, s17, s17
	s_lshl_b32 s20, s17, 2
	s_lshl_b64 s[0:1], s[0:1], 1
	s_lshl_b64 s[26:27], s[26:27], 1
	s_add_u32 s8, s8, s24
	s_addc_u32 s9, s9, s25
	s_add_u32 s8, s8, s26
	s_addc_u32 s9, s9, s27
	;; [unrolled: 2-line block ×3, first 2 shown]
	s_lshl_b64 s[0:1], s[30:31], 3
	s_add_u32 s10, s10, s34
	s_addc_u32 s11, s11, s35
	s_add_u32 s10, s10, s28
	s_addc_u32 s11, s11, s29
	v_add_co_u32 v3, s10, s10, v2
	v_add_co_ci_u32_e64 v4, null, s11, 0, s10
	v_add_co_u32 v1, s8, s8, v1
	v_add_co_u32 v3, vcc_lo, v3, 4
	v_add_co_ci_u32_e64 v2, null, s9, 0, s8
	v_add_co_ci_u32_e64 v4, null, 0, v4, vcc_lo
	v_mov_b32_e32 v8, 0
	v_mov_b32_e32 v7, 0
	;; [unrolled: 1-line block ×3, first 2 shown]
	s_mul_i32 s8, s17, 3
.LBB232_8:                              ; =>This Inner Loop Header: Depth=1
	v_add_nc_u32_e32 v11, s19, v10
	v_add_nc_u32_e32 v15, s8, v10
	;; [unrolled: 1-line block ×3, first 2 shown]
	v_add_co_u32 v13, vcc_lo, v3, s0
	v_ashrrev_i32_e32 v12, 31, v11
	v_ashrrev_i32_e32 v16, 31, v15
	;; [unrolled: 1-line block ×3, first 2 shown]
	v_add_co_ci_u32_e64 v14, null, s1, v4, vcc_lo
	v_lshlrev_b64 v[11:12], 3, v[11:12]
	v_lshlrev_b64 v[15:16], 3, v[15:16]
	;; [unrolled: 1-line block ×3, first 2 shown]
	global_load_dword v21, v[1:2], off
	v_add_nc_u32_e32 v10, 32, v10
	v_add_co_u32 v11, vcc_lo, s15, v11
	v_add_co_ci_u32_e64 v12, null, s16, v12, vcc_lo
	v_add_co_u32 v15, vcc_lo, s15, v15
	v_add_co_ci_u32_e64 v16, null, s16, v16, vcc_lo
	;; [unrolled: 2-line block ×3, first 2 shown]
	s_clause 0x1
	global_load_dwordx2 v[19:20], v[3:4], off offset:-4
	global_load_dwordx2 v[13:14], v[13:14], off offset:-4
	s_clause 0x2
	global_load_dwordx2 v[11:12], v[11:12], off
	global_load_dwordx2 v[15:16], v[15:16], off
	;; [unrolled: 1-line block ×3, first 2 shown]
	v_add_co_u32 v1, vcc_lo, 0x80, v1
	v_add_co_ci_u32_e64 v2, null, 0, v2, vcc_lo
	v_add_co_u32 v3, vcc_lo, 0x100, v3
	v_add_co_ci_u32_e64 v4, null, 0, v4, vcc_lo
	v_cmp_le_i32_e32 vcc_lo, s12, v10
	s_or_b32 s14, vcc_lo, s14
	s_waitcnt vmcnt(4)
	v_fma_mix_f32 v5, v19, v21, v5 op_sel_hi:[0,1,0]
	s_waitcnt vmcnt(3)
	v_fma_mix_f32 v9, v13, v21, v9 op_sel_hi:[0,1,0]
	;; [unrolled: 2-line block ×5, first 2 shown]
	v_fma_mix_f32 v5, v20, v21, v5 op_sel:[0,1,0] op_sel_hi:[0,1,0]
	v_fma_mix_f32 v9, v14, v21, v9 op_sel:[0,1,0] op_sel_hi:[0,1,0]
	;; [unrolled: 1-line block ×5, first 2 shown]
	s_andn2_b32 exec_lo, exec_lo, s14
	s_cbranch_execnz .LBB232_8
; %bb.9:
	s_or_b32 exec_lo, exec_lo, s14
.LBB232_10:
	s_or_b32 exec_lo, exec_lo, s13
	v_mbcnt_lo_u32_b32 v1, -1, 0
	s_mov_b32 s0, exec_lo
	v_xor_b32_e32 v2, 16, v1
	v_xor_b32_e32 v12, 8, v1
	v_cmp_gt_i32_e32 vcc_lo, 32, v2
	v_cndmask_b32_e32 v2, v1, v2, vcc_lo
	v_cmp_gt_i32_e32 vcc_lo, 32, v12
	v_lshlrev_b32_e32 v2, 2, v2
	v_cndmask_b32_e32 v12, v1, v12, vcc_lo
	ds_bpermute_b32 v3, v2, v5
	ds_bpermute_b32 v4, v2, v9
	;; [unrolled: 1-line block ×5, first 2 shown]
	v_lshlrev_b32_e32 v12, 2, v12
	s_waitcnt lgkmcnt(0)
	v_add_f32_e32 v3, v5, v3
	v_add_f32_e32 v4, v9, v4
	;; [unrolled: 1-line block ×5, first 2 shown]
	ds_bpermute_b32 v6, v12, v3
	ds_bpermute_b32 v8, v12, v4
	ds_bpermute_b32 v9, v12, v5
	ds_bpermute_b32 v10, v12, v7
	ds_bpermute_b32 v11, v12, v2
	v_xor_b32_e32 v12, 4, v1
	v_cmp_gt_i32_e32 vcc_lo, 32, v12
	v_cndmask_b32_e32 v12, v1, v12, vcc_lo
	v_lshlrev_b32_e32 v12, 2, v12
	s_waitcnt lgkmcnt(4)
	v_add_f32_e32 v3, v3, v6
	s_waitcnt lgkmcnt(3)
	v_add_f32_e32 v4, v4, v8
	s_waitcnt lgkmcnt(2)
	v_add_f32_e32 v5, v5, v9
	s_waitcnt lgkmcnt(1)
	v_add_f32_e32 v6, v7, v10
	s_waitcnt lgkmcnt(0)
	v_add_f32_e32 v2, v2, v11
	ds_bpermute_b32 v7, v12, v3
	ds_bpermute_b32 v8, v12, v4
	ds_bpermute_b32 v9, v12, v5
	ds_bpermute_b32 v10, v12, v6
	ds_bpermute_b32 v11, v12, v2
	v_xor_b32_e32 v12, 2, v1
	v_cmp_gt_i32_e32 vcc_lo, 32, v12
	v_cndmask_b32_e32 v12, v1, v12, vcc_lo
	v_lshlrev_b32_e32 v12, 2, v12
	s_waitcnt lgkmcnt(4)
	v_add_f32_e32 v3, v3, v7
	s_waitcnt lgkmcnt(3)
	v_add_f32_e32 v4, v4, v8
	s_waitcnt lgkmcnt(2)
	v_add_f32_e32 v5, v5, v9
	s_waitcnt lgkmcnt(1)
	v_add_f32_e32 v6, v6, v10
	s_waitcnt lgkmcnt(0)
	v_add_f32_e32 v9, v2, v11
	;; [unrolled: 19-line block ×3, first 2 shown]
	ds_bpermute_b32 v9, v13, v7
	ds_bpermute_b32 v10, v13, v8
	;; [unrolled: 1-line block ×5, first 2 shown]
	v_cmpx_gt_u32_e32 5, v0
	s_cbranch_execz .LBB232_12
; %bb.11:
	s_load_dwordx2 s[0:1], s[4:5], 0x38
	s_waitcnt lgkmcnt(0)
	v_add_f32_e32 v9, v7, v9
	v_add_f32_e32 v10, v8, v10
	v_cmp_eq_u32_e32 vcc_lo, 1, v0
	v_mad_u64_u32 v[7:8], null, s18, v0, s[6:7]
	v_add_f32_e32 v1, v1, v4
	v_add_f32_e32 v2, v2, v5
	v_cndmask_b32_e32 v4, v9, v10, vcc_lo
	v_cmp_eq_u32_e32 vcc_lo, 2, v0
	s_mul_hi_i32 s5, s2, s3
	s_mul_i32 s4, s2, s3
	v_ashrrev_i32_e32 v8, 31, v7
	s_mul_i32 s2, s22, s7
	v_cndmask_b32_e32 v1, v4, v1, vcc_lo
	v_cmp_eq_u32_e32 vcc_lo, 3, v0
	s_lshl_b64 s[4:5], s[4:5], 2
	s_ashr_i32 s3, s2, 31
	v_add_f32_e32 v3, v3, v6
	v_cndmask_b32_e32 v4, v1, v2, vcc_lo
	v_lshlrev_b64 v[1:2], 2, v[7:8]
	s_add_u32 s4, s0, s4
	v_cmp_eq_u32_e32 vcc_lo, 4, v0
	s_addc_u32 s5, s1, s5
	s_lshl_b64 s[0:1], s[2:3], 2
	s_add_u32 s0, s4, s0
	s_addc_u32 s1, s5, s1
	v_cndmask_b32_e32 v3, v4, v3, vcc_lo
	v_add_co_u32 v0, vcc_lo, s0, v1
	v_add_co_ci_u32_e64 v1, null, s1, v2, vcc_lo
	global_store_dword v[0:1], v3, off
.LBB232_12:
	s_endpgm
	.section	.rodata,"a",@progbits
	.p2align	6, 0x0
	.amdhsa_kernel _ZL13mul_mat_vec_fI6__halffLi5ELi32ELb0ELb0EEvPKT_PKfPKi31ggml_cuda_mm_fusion_args_devicePfi15HIP_vector_typeIjLj3EEiiiSB_iiiSB_iiii
		.amdhsa_group_segment_fixed_size 0
		.amdhsa_private_segment_fixed_size 0
		.amdhsa_kernarg_size 144
		.amdhsa_user_sgpr_count 6
		.amdhsa_user_sgpr_private_segment_buffer 1
		.amdhsa_user_sgpr_dispatch_ptr 0
		.amdhsa_user_sgpr_queue_ptr 0
		.amdhsa_user_sgpr_kernarg_segment_ptr 1
		.amdhsa_user_sgpr_dispatch_id 0
		.amdhsa_user_sgpr_flat_scratch_init 0
		.amdhsa_user_sgpr_private_segment_size 0
		.amdhsa_wavefront_size32 1
		.amdhsa_uses_dynamic_stack 0
		.amdhsa_system_sgpr_private_segment_wavefront_offset 0
		.amdhsa_system_sgpr_workgroup_id_x 1
		.amdhsa_system_sgpr_workgroup_id_y 1
		.amdhsa_system_sgpr_workgroup_id_z 1
		.amdhsa_system_sgpr_workgroup_info 0
		.amdhsa_system_vgpr_workitem_id 0
		.amdhsa_next_free_vgpr 22
		.amdhsa_next_free_sgpr 36
		.amdhsa_reserve_vcc 1
		.amdhsa_reserve_flat_scratch 0
		.amdhsa_float_round_mode_32 0
		.amdhsa_float_round_mode_16_64 0
		.amdhsa_float_denorm_mode_32 3
		.amdhsa_float_denorm_mode_16_64 3
		.amdhsa_dx10_clamp 1
		.amdhsa_ieee_mode 1
		.amdhsa_fp16_overflow 0
		.amdhsa_workgroup_processor_mode 1
		.amdhsa_memory_ordered 1
		.amdhsa_forward_progress 1
		.amdhsa_shared_vgpr_count 0
		.amdhsa_exception_fp_ieee_invalid_op 0
		.amdhsa_exception_fp_denorm_src 0
		.amdhsa_exception_fp_ieee_div_zero 0
		.amdhsa_exception_fp_ieee_overflow 0
		.amdhsa_exception_fp_ieee_underflow 0
		.amdhsa_exception_fp_ieee_inexact 0
		.amdhsa_exception_int_div_zero 0
	.end_amdhsa_kernel
	.section	.text._ZL13mul_mat_vec_fI6__halffLi5ELi32ELb0ELb0EEvPKT_PKfPKi31ggml_cuda_mm_fusion_args_devicePfi15HIP_vector_typeIjLj3EEiiiSB_iiiSB_iiii,"axG",@progbits,_ZL13mul_mat_vec_fI6__halffLi5ELi32ELb0ELb0EEvPKT_PKfPKi31ggml_cuda_mm_fusion_args_devicePfi15HIP_vector_typeIjLj3EEiiiSB_iiiSB_iiii,comdat
.Lfunc_end232:
	.size	_ZL13mul_mat_vec_fI6__halffLi5ELi32ELb0ELb0EEvPKT_PKfPKi31ggml_cuda_mm_fusion_args_devicePfi15HIP_vector_typeIjLj3EEiiiSB_iiiSB_iiii, .Lfunc_end232-_ZL13mul_mat_vec_fI6__halffLi5ELi32ELb0ELb0EEvPKT_PKfPKi31ggml_cuda_mm_fusion_args_devicePfi15HIP_vector_typeIjLj3EEiiiSB_iiiSB_iiii
                                        ; -- End function
	.set _ZL13mul_mat_vec_fI6__halffLi5ELi32ELb0ELb0EEvPKT_PKfPKi31ggml_cuda_mm_fusion_args_devicePfi15HIP_vector_typeIjLj3EEiiiSB_iiiSB_iiii.num_vgpr, 22
	.set _ZL13mul_mat_vec_fI6__halffLi5ELi32ELb0ELb0EEvPKT_PKfPKi31ggml_cuda_mm_fusion_args_devicePfi15HIP_vector_typeIjLj3EEiiiSB_iiiSB_iiii.num_agpr, 0
	.set _ZL13mul_mat_vec_fI6__halffLi5ELi32ELb0ELb0EEvPKT_PKfPKi31ggml_cuda_mm_fusion_args_devicePfi15HIP_vector_typeIjLj3EEiiiSB_iiiSB_iiii.numbered_sgpr, 36
	.set _ZL13mul_mat_vec_fI6__halffLi5ELi32ELb0ELb0EEvPKT_PKfPKi31ggml_cuda_mm_fusion_args_devicePfi15HIP_vector_typeIjLj3EEiiiSB_iiiSB_iiii.num_named_barrier, 0
	.set _ZL13mul_mat_vec_fI6__halffLi5ELi32ELb0ELb0EEvPKT_PKfPKi31ggml_cuda_mm_fusion_args_devicePfi15HIP_vector_typeIjLj3EEiiiSB_iiiSB_iiii.private_seg_size, 0
	.set _ZL13mul_mat_vec_fI6__halffLi5ELi32ELb0ELb0EEvPKT_PKfPKi31ggml_cuda_mm_fusion_args_devicePfi15HIP_vector_typeIjLj3EEiiiSB_iiiSB_iiii.uses_vcc, 1
	.set _ZL13mul_mat_vec_fI6__halffLi5ELi32ELb0ELb0EEvPKT_PKfPKi31ggml_cuda_mm_fusion_args_devicePfi15HIP_vector_typeIjLj3EEiiiSB_iiiSB_iiii.uses_flat_scratch, 0
	.set _ZL13mul_mat_vec_fI6__halffLi5ELi32ELb0ELb0EEvPKT_PKfPKi31ggml_cuda_mm_fusion_args_devicePfi15HIP_vector_typeIjLj3EEiiiSB_iiiSB_iiii.has_dyn_sized_stack, 0
	.set _ZL13mul_mat_vec_fI6__halffLi5ELi32ELb0ELb0EEvPKT_PKfPKi31ggml_cuda_mm_fusion_args_devicePfi15HIP_vector_typeIjLj3EEiiiSB_iiiSB_iiii.has_recursion, 0
	.set _ZL13mul_mat_vec_fI6__halffLi5ELi32ELb0ELb0EEvPKT_PKfPKi31ggml_cuda_mm_fusion_args_devicePfi15HIP_vector_typeIjLj3EEiiiSB_iiiSB_iiii.has_indirect_call, 0
	.section	.AMDGPU.csdata,"",@progbits
; Kernel info:
; codeLenInByte = 1400
; TotalNumSgprs: 38
; NumVgprs: 22
; ScratchSize: 0
; MemoryBound: 0
; FloatMode: 240
; IeeeMode: 1
; LDSByteSize: 0 bytes/workgroup (compile time only)
; SGPRBlocks: 0
; VGPRBlocks: 2
; NumSGPRsForWavesPerEU: 38
; NumVGPRsForWavesPerEU: 22
; Occupancy: 16
; WaveLimiterHint : 0
; COMPUTE_PGM_RSRC2:SCRATCH_EN: 0
; COMPUTE_PGM_RSRC2:USER_SGPR: 6
; COMPUTE_PGM_RSRC2:TRAP_HANDLER: 0
; COMPUTE_PGM_RSRC2:TGID_X_EN: 1
; COMPUTE_PGM_RSRC2:TGID_Y_EN: 1
; COMPUTE_PGM_RSRC2:TGID_Z_EN: 1
; COMPUTE_PGM_RSRC2:TIDIG_COMP_CNT: 0
	.section	.text._ZL13mul_mat_vec_fI6__halffLi5ELi64ELb0ELb0EEvPKT_PKfPKi31ggml_cuda_mm_fusion_args_devicePfi15HIP_vector_typeIjLj3EEiiiSB_iiiSB_iiii,"axG",@progbits,_ZL13mul_mat_vec_fI6__halffLi5ELi64ELb0ELb0EEvPKT_PKfPKi31ggml_cuda_mm_fusion_args_devicePfi15HIP_vector_typeIjLj3EEiiiSB_iiiSB_iiii,comdat
	.globl	_ZL13mul_mat_vec_fI6__halffLi5ELi64ELb0ELb0EEvPKT_PKfPKi31ggml_cuda_mm_fusion_args_devicePfi15HIP_vector_typeIjLj3EEiiiSB_iiiSB_iiii ; -- Begin function _ZL13mul_mat_vec_fI6__halffLi5ELi64ELb0ELb0EEvPKT_PKfPKi31ggml_cuda_mm_fusion_args_devicePfi15HIP_vector_typeIjLj3EEiiiSB_iiiSB_iiii
	.p2align	8
	.type	_ZL13mul_mat_vec_fI6__halffLi5ELi64ELb0ELb0EEvPKT_PKfPKi31ggml_cuda_mm_fusion_args_devicePfi15HIP_vector_typeIjLj3EEiiiSB_iiiSB_iiii,@function
_ZL13mul_mat_vec_fI6__halffLi5ELi64ELb0ELb0EEvPKT_PKfPKi31ggml_cuda_mm_fusion_args_devicePfi15HIP_vector_typeIjLj3EEiiiSB_iiiSB_iiii: ; @_ZL13mul_mat_vec_fI6__halffLi5ELi64ELb0ELb0EEvPKT_PKfPKi31ggml_cuda_mm_fusion_args_devicePfi15HIP_vector_typeIjLj3EEiiiSB_iiiSB_iiii
; %bb.0:
	s_clause 0x2
	s_load_dwordx2 s[0:1], s[4:5], 0x10
	s_load_dwordx8 s[12:19], s[4:5], 0x40
	s_load_dwordx4 s[20:23], s[4:5], 0x80
	s_waitcnt lgkmcnt(0)
	s_cmp_eq_u64 s[0:1], 0
	s_cselect_b32 s10, -1, 0
	s_cmp_lg_u64 s[0:1], 0
	s_cselect_b32 s11, -1, 0
	s_and_b32 vcc_lo, exec_lo, s10
	s_cbranch_vccnz .LBB233_2
; %bb.1:
	s_mul_i32 s2, s23, s8
	s_mov_b32 s3, 0
	s_add_i32 s2, s2, s7
	s_lshl_b64 s[24:25], s[2:3], 2
	s_add_u32 s0, s0, s24
	s_addc_u32 s1, s1, s25
	s_load_dword s9, s[0:1], 0x0
	s_cbranch_execz .LBB233_3
	s_branch .LBB233_4
.LBB233_2:
                                        ; implicit-def: $sgpr9
.LBB233_3:
	s_load_dwordx2 s[0:1], s[4:5], 0x5c
	s_waitcnt lgkmcnt(0)
	s_mul_hi_u32 s0, s0, s7
	s_add_i32 s0, s7, s0
	s_lshr_b32 s9, s0, s1
.LBB233_4:
	s_load_dwordx4 s[24:27], s[4:5], 0x68
	s_andn2_b32 vcc_lo, exec_lo, s11
	s_mov_b32 s19, s7
	s_cbranch_vccnz .LBB233_6
; %bb.5:
	s_mul_hi_u32 s0, s13, s7
	s_add_i32 s0, s7, s0
	s_lshr_b32 s0, s0, s14
	s_mul_i32 s0, s0, s15
	s_sub_i32 s19, s7, s0
.LBB233_6:
	s_load_dword s14, s[4:5], 0x78
	v_cmp_gt_u32_e32 vcc_lo, 32, v0
	v_lshl_add_u32 v5, v0, 2, 0
	s_and_saveexec_b32 s0, vcc_lo
; %bb.7:
	v_mov_b32_e32 v1, 0
	ds_write_b32 v5, v1
; %bb.8:
	s_or_b32 exec_lo, exec_lo, s0
	v_mov_b32_e32 v6, 0
	v_mov_b32_e32 v7, 0
	;; [unrolled: 1-line block ×5, first 2 shown]
	s_and_b32 s0, exec_lo, s10
	s_mov_b32 s11, 0
	s_cselect_b32 s10, s8, 0
	s_mov_b32 s13, exec_lo
	s_waitcnt lgkmcnt(0)
	s_barrier
	buffer_gl0_inv
	v_cmpx_gt_i32_e64 s12, v0
	s_cbranch_execz .LBB233_12
; %bb.9:
	s_load_dwordx4 s[0:3], s[4:5], 0x0
	s_mul_hi_u32 s15, s27, s10
	s_mul_hi_i32 s29, s21, s10
	s_mul_i32 s28, s21, s10
	s_mul_i32 s8, s9, s24
	;; [unrolled: 1-line block ×4, first 2 shown]
	s_add_i32 s15, s10, s15
	s_lshl_b64 s[28:29], s[28:29], 2
	s_ashr_i32 s9, s8, 31
	s_ashr_i32 s25, s24, 31
	;; [unrolled: 1-line block ×3, first 2 shown]
	s_lshr_b32 s14, s15, s14
	s_mov_b32 s34, s17
	s_mul_hi_i32 s21, s14, s20
	s_mul_i32 s20, s14, s20
	v_lshlrev_b32_e32 v2, 3, v0
	v_lshlrev_b32_e32 v1, 2, v0
	v_mov_b32_e32 v10, 0
	v_mov_b32_e32 v11, v0
	s_waitcnt lgkmcnt(0)
	s_add_u32 s15, s2, s28
	s_addc_u32 s16, s3, s29
	s_lshl_b64 s[30:31], s[30:31], 2
	v_mov_b32_e32 v9, 0
	s_add_u32 s14, s15, s30
	s_addc_u32 s15, s16, s31
	s_lshl_b64 s[8:9], s[8:9], 1
	s_ashr_i32 s35, s17, 31
	s_add_i32 s16, s17, s17
	s_lshl_b32 s19, s17, 2
	s_lshl_b64 s[20:21], s[20:21], 1
	s_lshl_b64 s[24:25], s[24:25], 1
	s_add_u32 s0, s0, s8
	s_addc_u32 s1, s1, s9
	s_add_u32 s0, s0, s24
	s_addc_u32 s1, s1, s25
	;; [unrolled: 2-line block ×3, first 2 shown]
	s_lshl_b64 s[8:9], s[34:35], 3
	s_add_u32 s2, s2, s30
	s_addc_u32 s3, s3, s31
	s_add_u32 s2, s2, s28
	s_addc_u32 s3, s3, s29
	v_add_co_u32 v3, s2, s2, v2
	v_add_co_ci_u32_e64 v4, null, s3, 0, s2
	v_add_co_u32 v1, s0, s0, v1
	v_add_co_ci_u32_e64 v2, null, s1, 0, s0
	;; [unrolled: 2-line block ×3, first 2 shown]
	v_mov_b32_e32 v8, 0
	v_mov_b32_e32 v7, 0
	;; [unrolled: 1-line block ×3, first 2 shown]
	s_mul_i32 s1, s17, 3
.LBB233_10:                             ; =>This Inner Loop Header: Depth=1
	v_add_nc_u32_e32 v12, s16, v11
	v_add_nc_u32_e32 v16, s1, v11
	;; [unrolled: 1-line block ×3, first 2 shown]
	v_add_co_u32 v14, s0, v3, s8
	v_ashrrev_i32_e32 v13, 31, v12
	v_ashrrev_i32_e32 v17, 31, v16
	;; [unrolled: 1-line block ×3, first 2 shown]
	v_add_co_ci_u32_e64 v15, null, s9, v4, s0
	v_lshlrev_b64 v[12:13], 3, v[12:13]
	v_lshlrev_b64 v[16:17], 3, v[16:17]
	v_lshlrev_b64 v[18:19], 3, v[18:19]
	global_load_dword v22, v[1:2], off
	v_add_nc_u32_e32 v11, 64, v11
	v_add_co_u32 v12, s0, s14, v12
	v_add_co_ci_u32_e64 v13, null, s15, v13, s0
	v_add_co_u32 v16, s0, s14, v16
	v_add_co_ci_u32_e64 v17, null, s15, v17, s0
	;; [unrolled: 2-line block ×3, first 2 shown]
	s_clause 0x1
	global_load_dwordx2 v[20:21], v[3:4], off offset:-4
	global_load_dwordx2 v[14:15], v[14:15], off offset:-4
	s_clause 0x2
	global_load_dwordx2 v[12:13], v[12:13], off
	global_load_dwordx2 v[16:17], v[16:17], off
	;; [unrolled: 1-line block ×3, first 2 shown]
	v_add_co_u32 v1, s0, 0x100, v1
	v_add_co_ci_u32_e64 v2, null, 0, v2, s0
	v_add_co_u32 v3, s0, 0x200, v3
	v_add_co_ci_u32_e64 v4, null, 0, v4, s0
	v_cmp_le_i32_e64 s0, s12, v11
	s_or_b32 s11, s0, s11
	s_waitcnt vmcnt(4)
	v_fma_mix_f32 v10, v20, v22, v10 op_sel_hi:[0,1,0]
	s_waitcnt vmcnt(3)
	v_fma_mix_f32 v9, v14, v22, v9 op_sel_hi:[0,1,0]
	;; [unrolled: 2-line block ×5, first 2 shown]
	v_fma_mix_f32 v10, v21, v22, v10 op_sel:[0,1,0] op_sel_hi:[0,1,0]
	v_fma_mix_f32 v9, v15, v22, v9 op_sel:[0,1,0] op_sel_hi:[0,1,0]
	;; [unrolled: 1-line block ×5, first 2 shown]
	s_andn2_b32 exec_lo, exec_lo, s11
	s_cbranch_execnz .LBB233_10
; %bb.11:
	s_or_b32 exec_lo, exec_lo, s11
.LBB233_12:
	s_or_b32 exec_lo, exec_lo, s13
	v_mbcnt_lo_u32_b32 v2, -1, 0
	v_xor_b32_e32 v1, 16, v2
	v_xor_b32_e32 v3, 8, v2
	v_cmp_gt_i32_e64 s0, 32, v1
	v_cndmask_b32_e64 v1, v2, v1, s0
	v_cmp_gt_i32_e64 s0, 32, v3
	v_lshlrev_b32_e32 v1, 2, v1
	v_cndmask_b32_e64 v3, v2, v3, s0
	ds_bpermute_b32 v4, v1, v10
	v_lshlrev_b32_e32 v3, 2, v3
	s_waitcnt lgkmcnt(0)
	v_add_f32_e32 v10, v10, v4
	v_xor_b32_e32 v4, 4, v2
	ds_bpermute_b32 v11, v3, v10
	v_cmp_gt_i32_e64 s0, 32, v4
	v_cndmask_b32_e64 v4, v2, v4, s0
	v_lshlrev_b32_e32 v4, 2, v4
	s_waitcnt lgkmcnt(0)
	v_add_f32_e32 v11, v10, v11
	v_xor_b32_e32 v10, 2, v2
	ds_bpermute_b32 v12, v4, v11
	v_cmp_gt_i32_e64 s0, 32, v10
	v_cndmask_b32_e64 v10, v2, v10, s0
	;; [unrolled: 7-line block ×3, first 2 shown]
	v_lshlrev_b32_e32 v11, 2, v2
	s_waitcnt lgkmcnt(0)
	v_add_f32_e32 v2, v12, v13
	v_lshrrev_b32_e32 v12, 3, v0
	ds_bpermute_b32 v13, v11, v2
	v_and_b32_e32 v12, 0x7c, v12
	v_add_nc_u32_e32 v12, 0, v12
	s_waitcnt lgkmcnt(0)
	v_add_f32_e32 v2, v2, v13
	ds_write_b32 v12, v2
	s_waitcnt lgkmcnt(0)
	s_barrier
	buffer_gl0_inv
	s_and_saveexec_b32 s0, vcc_lo
	s_cbranch_execz .LBB233_14
; %bb.13:
	ds_read_b32 v2, v5
	s_waitcnt lgkmcnt(0)
	ds_bpermute_b32 v13, v1, v2
	s_waitcnt lgkmcnt(0)
	v_add_f32_e32 v2, v2, v13
	ds_bpermute_b32 v13, v3, v2
	s_waitcnt lgkmcnt(0)
	v_add_f32_e32 v2, v2, v13
	ds_bpermute_b32 v13, v4, v2
	s_waitcnt lgkmcnt(0)
	v_add_f32_e32 v2, v2, v13
	ds_bpermute_b32 v13, v10, v2
	s_waitcnt lgkmcnt(0)
	v_add_f32_e32 v2, v2, v13
	ds_bpermute_b32 v13, v11, v2
	s_waitcnt lgkmcnt(0)
	v_add_f32_e32 v2, v2, v13
.LBB233_14:
	s_or_b32 exec_lo, exec_lo, s0
	ds_bpermute_b32 v13, v1, v9
	s_waitcnt lgkmcnt(0)
	s_barrier
	buffer_gl0_inv
	v_add_f32_e32 v9, v9, v13
	ds_bpermute_b32 v13, v3, v9
	s_waitcnt lgkmcnt(0)
	v_add_f32_e32 v9, v9, v13
	ds_bpermute_b32 v13, v4, v9
	s_waitcnt lgkmcnt(0)
	v_add_f32_e32 v9, v9, v13
	ds_bpermute_b32 v13, v10, v9
	s_waitcnt lgkmcnt(0)
	v_add_f32_e32 v9, v9, v13
	ds_bpermute_b32 v13, v11, v9
	s_waitcnt lgkmcnt(0)
	v_add_f32_e32 v9, v9, v13
	ds_write_b32 v12, v9
	s_waitcnt lgkmcnt(0)
	s_barrier
	buffer_gl0_inv
	s_and_saveexec_b32 s0, vcc_lo
	s_cbranch_execz .LBB233_16
; %bb.15:
	ds_read_b32 v9, v5
	s_waitcnt lgkmcnt(0)
	ds_bpermute_b32 v13, v1, v9
	s_waitcnt lgkmcnt(0)
	v_add_f32_e32 v9, v9, v13
	ds_bpermute_b32 v13, v3, v9
	s_waitcnt lgkmcnt(0)
	v_add_f32_e32 v9, v9, v13
	ds_bpermute_b32 v13, v4, v9
	s_waitcnt lgkmcnt(0)
	v_add_f32_e32 v9, v9, v13
	ds_bpermute_b32 v13, v10, v9
	s_waitcnt lgkmcnt(0)
	v_add_f32_e32 v9, v9, v13
	ds_bpermute_b32 v13, v11, v9
	s_waitcnt lgkmcnt(0)
	v_add_f32_e32 v9, v9, v13
.LBB233_16:
	s_or_b32 exec_lo, exec_lo, s0
	ds_bpermute_b32 v13, v1, v8
	s_waitcnt lgkmcnt(0)
	s_barrier
	buffer_gl0_inv
	v_add_f32_e32 v8, v8, v13
	ds_bpermute_b32 v13, v3, v8
	s_waitcnt lgkmcnt(0)
	v_add_f32_e32 v8, v8, v13
	ds_bpermute_b32 v13, v4, v8
	s_waitcnt lgkmcnt(0)
	v_add_f32_e32 v8, v8, v13
	ds_bpermute_b32 v13, v10, v8
	s_waitcnt lgkmcnt(0)
	v_add_f32_e32 v8, v8, v13
	ds_bpermute_b32 v13, v11, v8
	;; [unrolled: 43-line block ×4, first 2 shown]
	s_waitcnt lgkmcnt(0)
	v_add_f32_e32 v6, v6, v13
	ds_write_b32 v12, v6
	s_waitcnt lgkmcnt(0)
	s_barrier
	buffer_gl0_inv
	s_and_saveexec_b32 s0, vcc_lo
	s_cbranch_execz .LBB233_22
; %bb.21:
	ds_read_b32 v5, v5
	s_waitcnt lgkmcnt(0)
	ds_bpermute_b32 v1, v1, v5
	s_waitcnt lgkmcnt(0)
	v_add_f32_e32 v1, v5, v1
	ds_bpermute_b32 v3, v3, v1
	s_waitcnt lgkmcnt(0)
	v_add_f32_e32 v1, v1, v3
	;; [unrolled: 3-line block ×5, first 2 shown]
.LBB233_22:
	s_or_b32 exec_lo, exec_lo, s0
	s_barrier
	buffer_gl0_inv
	s_mov_b32 s0, exec_lo
	v_cmpx_gt_u32_e32 5, v0
	s_cbranch_execz .LBB233_24
; %bb.23:
	s_load_dwordx2 s[0:1], s[4:5], 0x38
	v_cmp_eq_u32_e32 vcc_lo, 1, v0
	v_mad_u64_u32 v[3:4], null, s18, v0, s[6:7]
	s_mul_hi_i32 s3, s22, s10
	s_mul_i32 s2, s22, s10
	v_cndmask_b32_e32 v1, v2, v9, vcc_lo
	v_cmp_eq_u32_e32 vcc_lo, 2, v0
	s_mul_i32 s4, s26, s7
	s_lshl_b64 s[2:3], s[2:3], 2
	v_ashrrev_i32_e32 v4, 31, v3
	s_ashr_i32 s5, s4, 31
	v_cndmask_b32_e32 v1, v1, v8, vcc_lo
	v_cmp_eq_u32_e32 vcc_lo, 3, v0
	v_cndmask_b32_e32 v5, v1, v7, vcc_lo
	v_lshlrev_b64 v[1:2], 2, v[3:4]
	s_waitcnt lgkmcnt(0)
	s_add_u32 s2, s0, s2
	v_cmp_eq_u32_e32 vcc_lo, 4, v0
	s_addc_u32 s3, s1, s3
	s_lshl_b64 s[0:1], s[4:5], 2
	s_add_u32 s0, s2, s0
	v_cndmask_b32_e32 v3, v5, v6, vcc_lo
	s_addc_u32 s1, s3, s1
	v_add_co_u32 v0, vcc_lo, s0, v1
	v_add_co_ci_u32_e64 v1, null, s1, v2, vcc_lo
	global_store_dword v[0:1], v3, off
.LBB233_24:
	s_endpgm
	.section	.rodata,"a",@progbits
	.p2align	6, 0x0
	.amdhsa_kernel _ZL13mul_mat_vec_fI6__halffLi5ELi64ELb0ELb0EEvPKT_PKfPKi31ggml_cuda_mm_fusion_args_devicePfi15HIP_vector_typeIjLj3EEiiiSB_iiiSB_iiii
		.amdhsa_group_segment_fixed_size 0
		.amdhsa_private_segment_fixed_size 0
		.amdhsa_kernarg_size 144
		.amdhsa_user_sgpr_count 6
		.amdhsa_user_sgpr_private_segment_buffer 1
		.amdhsa_user_sgpr_dispatch_ptr 0
		.amdhsa_user_sgpr_queue_ptr 0
		.amdhsa_user_sgpr_kernarg_segment_ptr 1
		.amdhsa_user_sgpr_dispatch_id 0
		.amdhsa_user_sgpr_flat_scratch_init 0
		.amdhsa_user_sgpr_private_segment_size 0
		.amdhsa_wavefront_size32 1
		.amdhsa_uses_dynamic_stack 0
		.amdhsa_system_sgpr_private_segment_wavefront_offset 0
		.amdhsa_system_sgpr_workgroup_id_x 1
		.amdhsa_system_sgpr_workgroup_id_y 1
		.amdhsa_system_sgpr_workgroup_id_z 1
		.amdhsa_system_sgpr_workgroup_info 0
		.amdhsa_system_vgpr_workitem_id 0
		.amdhsa_next_free_vgpr 23
		.amdhsa_next_free_sgpr 36
		.amdhsa_reserve_vcc 1
		.amdhsa_reserve_flat_scratch 0
		.amdhsa_float_round_mode_32 0
		.amdhsa_float_round_mode_16_64 0
		.amdhsa_float_denorm_mode_32 3
		.amdhsa_float_denorm_mode_16_64 3
		.amdhsa_dx10_clamp 1
		.amdhsa_ieee_mode 1
		.amdhsa_fp16_overflow 0
		.amdhsa_workgroup_processor_mode 1
		.amdhsa_memory_ordered 1
		.amdhsa_forward_progress 1
		.amdhsa_shared_vgpr_count 0
		.amdhsa_exception_fp_ieee_invalid_op 0
		.amdhsa_exception_fp_denorm_src 0
		.amdhsa_exception_fp_ieee_div_zero 0
		.amdhsa_exception_fp_ieee_overflow 0
		.amdhsa_exception_fp_ieee_underflow 0
		.amdhsa_exception_fp_ieee_inexact 0
		.amdhsa_exception_int_div_zero 0
	.end_amdhsa_kernel
	.section	.text._ZL13mul_mat_vec_fI6__halffLi5ELi64ELb0ELb0EEvPKT_PKfPKi31ggml_cuda_mm_fusion_args_devicePfi15HIP_vector_typeIjLj3EEiiiSB_iiiSB_iiii,"axG",@progbits,_ZL13mul_mat_vec_fI6__halffLi5ELi64ELb0ELb0EEvPKT_PKfPKi31ggml_cuda_mm_fusion_args_devicePfi15HIP_vector_typeIjLj3EEiiiSB_iiiSB_iiii,comdat
.Lfunc_end233:
	.size	_ZL13mul_mat_vec_fI6__halffLi5ELi64ELb0ELb0EEvPKT_PKfPKi31ggml_cuda_mm_fusion_args_devicePfi15HIP_vector_typeIjLj3EEiiiSB_iiiSB_iiii, .Lfunc_end233-_ZL13mul_mat_vec_fI6__halffLi5ELi64ELb0ELb0EEvPKT_PKfPKi31ggml_cuda_mm_fusion_args_devicePfi15HIP_vector_typeIjLj3EEiiiSB_iiiSB_iiii
                                        ; -- End function
	.set _ZL13mul_mat_vec_fI6__halffLi5ELi64ELb0ELb0EEvPKT_PKfPKi31ggml_cuda_mm_fusion_args_devicePfi15HIP_vector_typeIjLj3EEiiiSB_iiiSB_iiii.num_vgpr, 23
	.set _ZL13mul_mat_vec_fI6__halffLi5ELi64ELb0ELb0EEvPKT_PKfPKi31ggml_cuda_mm_fusion_args_devicePfi15HIP_vector_typeIjLj3EEiiiSB_iiiSB_iiii.num_agpr, 0
	.set _ZL13mul_mat_vec_fI6__halffLi5ELi64ELb0ELb0EEvPKT_PKfPKi31ggml_cuda_mm_fusion_args_devicePfi15HIP_vector_typeIjLj3EEiiiSB_iiiSB_iiii.numbered_sgpr, 36
	.set _ZL13mul_mat_vec_fI6__halffLi5ELi64ELb0ELb0EEvPKT_PKfPKi31ggml_cuda_mm_fusion_args_devicePfi15HIP_vector_typeIjLj3EEiiiSB_iiiSB_iiii.num_named_barrier, 0
	.set _ZL13mul_mat_vec_fI6__halffLi5ELi64ELb0ELb0EEvPKT_PKfPKi31ggml_cuda_mm_fusion_args_devicePfi15HIP_vector_typeIjLj3EEiiiSB_iiiSB_iiii.private_seg_size, 0
	.set _ZL13mul_mat_vec_fI6__halffLi5ELi64ELb0ELb0EEvPKT_PKfPKi31ggml_cuda_mm_fusion_args_devicePfi15HIP_vector_typeIjLj3EEiiiSB_iiiSB_iiii.uses_vcc, 1
	.set _ZL13mul_mat_vec_fI6__halffLi5ELi64ELb0ELb0EEvPKT_PKfPKi31ggml_cuda_mm_fusion_args_devicePfi15HIP_vector_typeIjLj3EEiiiSB_iiiSB_iiii.uses_flat_scratch, 0
	.set _ZL13mul_mat_vec_fI6__halffLi5ELi64ELb0ELb0EEvPKT_PKfPKi31ggml_cuda_mm_fusion_args_devicePfi15HIP_vector_typeIjLj3EEiiiSB_iiiSB_iiii.has_dyn_sized_stack, 0
	.set _ZL13mul_mat_vec_fI6__halffLi5ELi64ELb0ELb0EEvPKT_PKfPKi31ggml_cuda_mm_fusion_args_devicePfi15HIP_vector_typeIjLj3EEiiiSB_iiiSB_iiii.has_recursion, 0
	.set _ZL13mul_mat_vec_fI6__halffLi5ELi64ELb0ELb0EEvPKT_PKfPKi31ggml_cuda_mm_fusion_args_devicePfi15HIP_vector_typeIjLj3EEiiiSB_iiiSB_iiii.has_indirect_call, 0
	.section	.AMDGPU.csdata,"",@progbits
; Kernel info:
; codeLenInByte = 2236
; TotalNumSgprs: 38
; NumVgprs: 23
; ScratchSize: 0
; MemoryBound: 0
; FloatMode: 240
; IeeeMode: 1
; LDSByteSize: 0 bytes/workgroup (compile time only)
; SGPRBlocks: 0
; VGPRBlocks: 2
; NumSGPRsForWavesPerEU: 38
; NumVGPRsForWavesPerEU: 23
; Occupancy: 16
; WaveLimiterHint : 0
; COMPUTE_PGM_RSRC2:SCRATCH_EN: 0
; COMPUTE_PGM_RSRC2:USER_SGPR: 6
; COMPUTE_PGM_RSRC2:TRAP_HANDLER: 0
; COMPUTE_PGM_RSRC2:TGID_X_EN: 1
; COMPUTE_PGM_RSRC2:TGID_Y_EN: 1
; COMPUTE_PGM_RSRC2:TGID_Z_EN: 1
; COMPUTE_PGM_RSRC2:TIDIG_COMP_CNT: 0
	.section	.text._ZL13mul_mat_vec_fI6__halffLi5ELi96ELb0ELb0EEvPKT_PKfPKi31ggml_cuda_mm_fusion_args_devicePfi15HIP_vector_typeIjLj3EEiiiSB_iiiSB_iiii,"axG",@progbits,_ZL13mul_mat_vec_fI6__halffLi5ELi96ELb0ELb0EEvPKT_PKfPKi31ggml_cuda_mm_fusion_args_devicePfi15HIP_vector_typeIjLj3EEiiiSB_iiiSB_iiii,comdat
	.globl	_ZL13mul_mat_vec_fI6__halffLi5ELi96ELb0ELb0EEvPKT_PKfPKi31ggml_cuda_mm_fusion_args_devicePfi15HIP_vector_typeIjLj3EEiiiSB_iiiSB_iiii ; -- Begin function _ZL13mul_mat_vec_fI6__halffLi5ELi96ELb0ELb0EEvPKT_PKfPKi31ggml_cuda_mm_fusion_args_devicePfi15HIP_vector_typeIjLj3EEiiiSB_iiiSB_iiii
	.p2align	8
	.type	_ZL13mul_mat_vec_fI6__halffLi5ELi96ELb0ELb0EEvPKT_PKfPKi31ggml_cuda_mm_fusion_args_devicePfi15HIP_vector_typeIjLj3EEiiiSB_iiiSB_iiii,@function
_ZL13mul_mat_vec_fI6__halffLi5ELi96ELb0ELb0EEvPKT_PKfPKi31ggml_cuda_mm_fusion_args_devicePfi15HIP_vector_typeIjLj3EEiiiSB_iiiSB_iiii: ; @_ZL13mul_mat_vec_fI6__halffLi5ELi96ELb0ELb0EEvPKT_PKfPKi31ggml_cuda_mm_fusion_args_devicePfi15HIP_vector_typeIjLj3EEiiiSB_iiiSB_iiii
; %bb.0:
	s_clause 0x2
	s_load_dwordx2 s[0:1], s[4:5], 0x10
	s_load_dwordx8 s[12:19], s[4:5], 0x40
	s_load_dwordx4 s[20:23], s[4:5], 0x80
	s_waitcnt lgkmcnt(0)
	s_cmp_eq_u64 s[0:1], 0
	s_cselect_b32 s10, -1, 0
	s_cmp_lg_u64 s[0:1], 0
	s_cselect_b32 s11, -1, 0
	s_and_b32 vcc_lo, exec_lo, s10
	s_cbranch_vccnz .LBB234_2
; %bb.1:
	s_mul_i32 s2, s23, s8
	s_mov_b32 s3, 0
	s_add_i32 s2, s2, s7
	s_lshl_b64 s[24:25], s[2:3], 2
	s_add_u32 s0, s0, s24
	s_addc_u32 s1, s1, s25
	s_load_dword s9, s[0:1], 0x0
	s_cbranch_execz .LBB234_3
	s_branch .LBB234_4
.LBB234_2:
                                        ; implicit-def: $sgpr9
.LBB234_3:
	s_load_dwordx2 s[0:1], s[4:5], 0x5c
	s_waitcnt lgkmcnt(0)
	s_mul_hi_u32 s0, s0, s7
	s_add_i32 s0, s7, s0
	s_lshr_b32 s9, s0, s1
.LBB234_4:
	s_load_dwordx4 s[24:27], s[4:5], 0x68
	s_andn2_b32 vcc_lo, exec_lo, s11
	s_mov_b32 s19, s7
	s_cbranch_vccnz .LBB234_6
; %bb.5:
	s_mul_hi_u32 s0, s13, s7
	s_add_i32 s0, s7, s0
	s_lshr_b32 s0, s0, s14
	s_mul_i32 s0, s0, s15
	s_sub_i32 s19, s7, s0
.LBB234_6:
	s_load_dword s14, s[4:5], 0x78
	v_cmp_gt_u32_e32 vcc_lo, 32, v0
	v_lshl_add_u32 v5, v0, 2, 0
	s_and_saveexec_b32 s0, vcc_lo
; %bb.7:
	v_mov_b32_e32 v1, 0
	ds_write_b32 v5, v1
; %bb.8:
	s_or_b32 exec_lo, exec_lo, s0
	v_mov_b32_e32 v6, 0
	v_mov_b32_e32 v7, 0
	;; [unrolled: 1-line block ×5, first 2 shown]
	s_and_b32 s0, exec_lo, s10
	s_mov_b32 s11, 0
	s_cselect_b32 s10, s8, 0
	s_mov_b32 s13, exec_lo
	s_waitcnt lgkmcnt(0)
	s_barrier
	buffer_gl0_inv
	v_cmpx_gt_i32_e64 s12, v0
	s_cbranch_execz .LBB234_12
; %bb.9:
	s_load_dwordx4 s[0:3], s[4:5], 0x0
	s_mul_hi_u32 s15, s27, s10
	s_mul_hi_i32 s29, s21, s10
	s_mul_i32 s28, s21, s10
	s_mul_i32 s8, s9, s24
	;; [unrolled: 1-line block ×4, first 2 shown]
	s_add_i32 s15, s10, s15
	s_lshl_b64 s[28:29], s[28:29], 2
	s_ashr_i32 s9, s8, 31
	s_ashr_i32 s25, s24, 31
	;; [unrolled: 1-line block ×3, first 2 shown]
	s_lshr_b32 s14, s15, s14
	s_mov_b32 s34, s17
	s_mul_hi_i32 s21, s14, s20
	s_mul_i32 s20, s14, s20
	v_lshlrev_b32_e32 v2, 3, v0
	v_lshlrev_b32_e32 v1, 2, v0
	v_mov_b32_e32 v10, 0
	v_mov_b32_e32 v11, v0
	s_waitcnt lgkmcnt(0)
	s_add_u32 s15, s2, s28
	s_addc_u32 s16, s3, s29
	s_lshl_b64 s[30:31], s[30:31], 2
	v_mov_b32_e32 v9, 0
	s_add_u32 s14, s15, s30
	s_addc_u32 s15, s16, s31
	s_lshl_b64 s[8:9], s[8:9], 1
	s_ashr_i32 s35, s17, 31
	s_add_i32 s16, s17, s17
	s_lshl_b32 s19, s17, 2
	s_lshl_b64 s[20:21], s[20:21], 1
	s_lshl_b64 s[24:25], s[24:25], 1
	s_add_u32 s0, s0, s8
	s_addc_u32 s1, s1, s9
	s_add_u32 s0, s0, s24
	s_addc_u32 s1, s1, s25
	s_add_u32 s0, s0, s20
	s_addc_u32 s1, s1, s21
	s_lshl_b64 s[8:9], s[34:35], 3
	s_add_u32 s2, s2, s30
	s_addc_u32 s3, s3, s31
	s_add_u32 s2, s2, s28
	s_addc_u32 s3, s3, s29
	v_add_co_u32 v3, s2, s2, v2
	v_add_co_ci_u32_e64 v4, null, s3, 0, s2
	v_add_co_u32 v1, s0, s0, v1
	v_add_co_ci_u32_e64 v2, null, s1, 0, s0
	;; [unrolled: 2-line block ×3, first 2 shown]
	v_mov_b32_e32 v8, 0
	v_mov_b32_e32 v7, 0
	;; [unrolled: 1-line block ×3, first 2 shown]
	s_mul_i32 s1, s17, 3
.LBB234_10:                             ; =>This Inner Loop Header: Depth=1
	v_add_nc_u32_e32 v12, s16, v11
	v_add_nc_u32_e32 v16, s1, v11
	;; [unrolled: 1-line block ×3, first 2 shown]
	v_add_co_u32 v14, s0, v3, s8
	v_ashrrev_i32_e32 v13, 31, v12
	v_ashrrev_i32_e32 v17, 31, v16
	;; [unrolled: 1-line block ×3, first 2 shown]
	v_add_co_ci_u32_e64 v15, null, s9, v4, s0
	v_lshlrev_b64 v[12:13], 3, v[12:13]
	v_lshlrev_b64 v[16:17], 3, v[16:17]
	;; [unrolled: 1-line block ×3, first 2 shown]
	global_load_dword v22, v[1:2], off
	v_add_nc_u32_e32 v11, 0x60, v11
	v_add_co_u32 v12, s0, s14, v12
	v_add_co_ci_u32_e64 v13, null, s15, v13, s0
	v_add_co_u32 v16, s0, s14, v16
	v_add_co_ci_u32_e64 v17, null, s15, v17, s0
	;; [unrolled: 2-line block ×3, first 2 shown]
	s_clause 0x1
	global_load_dwordx2 v[20:21], v[3:4], off offset:-4
	global_load_dwordx2 v[14:15], v[14:15], off offset:-4
	s_clause 0x2
	global_load_dwordx2 v[12:13], v[12:13], off
	global_load_dwordx2 v[16:17], v[16:17], off
	;; [unrolled: 1-line block ×3, first 2 shown]
	v_add_co_u32 v1, s0, 0x180, v1
	v_add_co_ci_u32_e64 v2, null, 0, v2, s0
	v_add_co_u32 v3, s0, 0x300, v3
	v_add_co_ci_u32_e64 v4, null, 0, v4, s0
	v_cmp_le_i32_e64 s0, s12, v11
	s_or_b32 s11, s0, s11
	s_waitcnt vmcnt(4)
	v_fma_mix_f32 v10, v20, v22, v10 op_sel_hi:[0,1,0]
	s_waitcnt vmcnt(3)
	v_fma_mix_f32 v9, v14, v22, v9 op_sel_hi:[0,1,0]
	;; [unrolled: 2-line block ×5, first 2 shown]
	v_fma_mix_f32 v10, v21, v22, v10 op_sel:[0,1,0] op_sel_hi:[0,1,0]
	v_fma_mix_f32 v9, v15, v22, v9 op_sel:[0,1,0] op_sel_hi:[0,1,0]
	;; [unrolled: 1-line block ×5, first 2 shown]
	s_andn2_b32 exec_lo, exec_lo, s11
	s_cbranch_execnz .LBB234_10
; %bb.11:
	s_or_b32 exec_lo, exec_lo, s11
.LBB234_12:
	s_or_b32 exec_lo, exec_lo, s13
	v_mbcnt_lo_u32_b32 v2, -1, 0
	v_xor_b32_e32 v1, 16, v2
	v_xor_b32_e32 v3, 8, v2
	v_cmp_gt_i32_e64 s0, 32, v1
	v_cndmask_b32_e64 v1, v2, v1, s0
	v_cmp_gt_i32_e64 s0, 32, v3
	v_lshlrev_b32_e32 v1, 2, v1
	v_cndmask_b32_e64 v3, v2, v3, s0
	ds_bpermute_b32 v4, v1, v10
	v_lshlrev_b32_e32 v3, 2, v3
	s_waitcnt lgkmcnt(0)
	v_add_f32_e32 v10, v10, v4
	v_xor_b32_e32 v4, 4, v2
	ds_bpermute_b32 v11, v3, v10
	v_cmp_gt_i32_e64 s0, 32, v4
	v_cndmask_b32_e64 v4, v2, v4, s0
	v_lshlrev_b32_e32 v4, 2, v4
	s_waitcnt lgkmcnt(0)
	v_add_f32_e32 v11, v10, v11
	v_xor_b32_e32 v10, 2, v2
	ds_bpermute_b32 v12, v4, v11
	v_cmp_gt_i32_e64 s0, 32, v10
	v_cndmask_b32_e64 v10, v2, v10, s0
	;; [unrolled: 7-line block ×3, first 2 shown]
	v_lshlrev_b32_e32 v11, 2, v2
	s_waitcnt lgkmcnt(0)
	v_add_f32_e32 v2, v12, v13
	v_lshrrev_b32_e32 v12, 3, v0
	ds_bpermute_b32 v13, v11, v2
	v_and_b32_e32 v12, 0x7c, v12
	v_add_nc_u32_e32 v12, 0, v12
	s_waitcnt lgkmcnt(0)
	v_add_f32_e32 v2, v2, v13
	ds_write_b32 v12, v2
	s_waitcnt lgkmcnt(0)
	s_barrier
	buffer_gl0_inv
	s_and_saveexec_b32 s0, vcc_lo
	s_cbranch_execz .LBB234_14
; %bb.13:
	ds_read_b32 v2, v5
	s_waitcnt lgkmcnt(0)
	ds_bpermute_b32 v13, v1, v2
	s_waitcnt lgkmcnt(0)
	v_add_f32_e32 v2, v2, v13
	ds_bpermute_b32 v13, v3, v2
	s_waitcnt lgkmcnt(0)
	v_add_f32_e32 v2, v2, v13
	ds_bpermute_b32 v13, v4, v2
	s_waitcnt lgkmcnt(0)
	v_add_f32_e32 v2, v2, v13
	ds_bpermute_b32 v13, v10, v2
	s_waitcnt lgkmcnt(0)
	v_add_f32_e32 v2, v2, v13
	ds_bpermute_b32 v13, v11, v2
	s_waitcnt lgkmcnt(0)
	v_add_f32_e32 v2, v2, v13
.LBB234_14:
	s_or_b32 exec_lo, exec_lo, s0
	ds_bpermute_b32 v13, v1, v9
	s_waitcnt lgkmcnt(0)
	s_barrier
	buffer_gl0_inv
	v_add_f32_e32 v9, v9, v13
	ds_bpermute_b32 v13, v3, v9
	s_waitcnt lgkmcnt(0)
	v_add_f32_e32 v9, v9, v13
	ds_bpermute_b32 v13, v4, v9
	s_waitcnt lgkmcnt(0)
	v_add_f32_e32 v9, v9, v13
	ds_bpermute_b32 v13, v10, v9
	s_waitcnt lgkmcnt(0)
	v_add_f32_e32 v9, v9, v13
	ds_bpermute_b32 v13, v11, v9
	s_waitcnt lgkmcnt(0)
	v_add_f32_e32 v9, v9, v13
	ds_write_b32 v12, v9
	s_waitcnt lgkmcnt(0)
	s_barrier
	buffer_gl0_inv
	s_and_saveexec_b32 s0, vcc_lo
	s_cbranch_execz .LBB234_16
; %bb.15:
	ds_read_b32 v9, v5
	s_waitcnt lgkmcnt(0)
	ds_bpermute_b32 v13, v1, v9
	s_waitcnt lgkmcnt(0)
	v_add_f32_e32 v9, v9, v13
	ds_bpermute_b32 v13, v3, v9
	s_waitcnt lgkmcnt(0)
	v_add_f32_e32 v9, v9, v13
	ds_bpermute_b32 v13, v4, v9
	s_waitcnt lgkmcnt(0)
	v_add_f32_e32 v9, v9, v13
	ds_bpermute_b32 v13, v10, v9
	s_waitcnt lgkmcnt(0)
	v_add_f32_e32 v9, v9, v13
	ds_bpermute_b32 v13, v11, v9
	s_waitcnt lgkmcnt(0)
	v_add_f32_e32 v9, v9, v13
.LBB234_16:
	s_or_b32 exec_lo, exec_lo, s0
	ds_bpermute_b32 v13, v1, v8
	s_waitcnt lgkmcnt(0)
	s_barrier
	buffer_gl0_inv
	v_add_f32_e32 v8, v8, v13
	ds_bpermute_b32 v13, v3, v8
	s_waitcnt lgkmcnt(0)
	v_add_f32_e32 v8, v8, v13
	ds_bpermute_b32 v13, v4, v8
	s_waitcnt lgkmcnt(0)
	v_add_f32_e32 v8, v8, v13
	ds_bpermute_b32 v13, v10, v8
	s_waitcnt lgkmcnt(0)
	v_add_f32_e32 v8, v8, v13
	ds_bpermute_b32 v13, v11, v8
	;; [unrolled: 43-line block ×4, first 2 shown]
	s_waitcnt lgkmcnt(0)
	v_add_f32_e32 v6, v6, v13
	ds_write_b32 v12, v6
	s_waitcnt lgkmcnt(0)
	s_barrier
	buffer_gl0_inv
	s_and_saveexec_b32 s0, vcc_lo
	s_cbranch_execz .LBB234_22
; %bb.21:
	ds_read_b32 v5, v5
	s_waitcnt lgkmcnt(0)
	ds_bpermute_b32 v1, v1, v5
	s_waitcnt lgkmcnt(0)
	v_add_f32_e32 v1, v5, v1
	ds_bpermute_b32 v3, v3, v1
	s_waitcnt lgkmcnt(0)
	v_add_f32_e32 v1, v1, v3
	;; [unrolled: 3-line block ×5, first 2 shown]
.LBB234_22:
	s_or_b32 exec_lo, exec_lo, s0
	s_barrier
	buffer_gl0_inv
	s_mov_b32 s0, exec_lo
	v_cmpx_gt_u32_e32 5, v0
	s_cbranch_execz .LBB234_24
; %bb.23:
	s_load_dwordx2 s[0:1], s[4:5], 0x38
	v_cmp_eq_u32_e32 vcc_lo, 1, v0
	v_mad_u64_u32 v[3:4], null, s18, v0, s[6:7]
	s_mul_hi_i32 s3, s22, s10
	s_mul_i32 s2, s22, s10
	v_cndmask_b32_e32 v1, v2, v9, vcc_lo
	v_cmp_eq_u32_e32 vcc_lo, 2, v0
	s_mul_i32 s4, s26, s7
	s_lshl_b64 s[2:3], s[2:3], 2
	v_ashrrev_i32_e32 v4, 31, v3
	s_ashr_i32 s5, s4, 31
	v_cndmask_b32_e32 v1, v1, v8, vcc_lo
	v_cmp_eq_u32_e32 vcc_lo, 3, v0
	v_cndmask_b32_e32 v5, v1, v7, vcc_lo
	v_lshlrev_b64 v[1:2], 2, v[3:4]
	s_waitcnt lgkmcnt(0)
	s_add_u32 s2, s0, s2
	v_cmp_eq_u32_e32 vcc_lo, 4, v0
	s_addc_u32 s3, s1, s3
	s_lshl_b64 s[0:1], s[4:5], 2
	s_add_u32 s0, s2, s0
	v_cndmask_b32_e32 v3, v5, v6, vcc_lo
	s_addc_u32 s1, s3, s1
	v_add_co_u32 v0, vcc_lo, s0, v1
	v_add_co_ci_u32_e64 v1, null, s1, v2, vcc_lo
	global_store_dword v[0:1], v3, off
.LBB234_24:
	s_endpgm
	.section	.rodata,"a",@progbits
	.p2align	6, 0x0
	.amdhsa_kernel _ZL13mul_mat_vec_fI6__halffLi5ELi96ELb0ELb0EEvPKT_PKfPKi31ggml_cuda_mm_fusion_args_devicePfi15HIP_vector_typeIjLj3EEiiiSB_iiiSB_iiii
		.amdhsa_group_segment_fixed_size 0
		.amdhsa_private_segment_fixed_size 0
		.amdhsa_kernarg_size 144
		.amdhsa_user_sgpr_count 6
		.amdhsa_user_sgpr_private_segment_buffer 1
		.amdhsa_user_sgpr_dispatch_ptr 0
		.amdhsa_user_sgpr_queue_ptr 0
		.amdhsa_user_sgpr_kernarg_segment_ptr 1
		.amdhsa_user_sgpr_dispatch_id 0
		.amdhsa_user_sgpr_flat_scratch_init 0
		.amdhsa_user_sgpr_private_segment_size 0
		.amdhsa_wavefront_size32 1
		.amdhsa_uses_dynamic_stack 0
		.amdhsa_system_sgpr_private_segment_wavefront_offset 0
		.amdhsa_system_sgpr_workgroup_id_x 1
		.amdhsa_system_sgpr_workgroup_id_y 1
		.amdhsa_system_sgpr_workgroup_id_z 1
		.amdhsa_system_sgpr_workgroup_info 0
		.amdhsa_system_vgpr_workitem_id 0
		.amdhsa_next_free_vgpr 23
		.amdhsa_next_free_sgpr 36
		.amdhsa_reserve_vcc 1
		.amdhsa_reserve_flat_scratch 0
		.amdhsa_float_round_mode_32 0
		.amdhsa_float_round_mode_16_64 0
		.amdhsa_float_denorm_mode_32 3
		.amdhsa_float_denorm_mode_16_64 3
		.amdhsa_dx10_clamp 1
		.amdhsa_ieee_mode 1
		.amdhsa_fp16_overflow 0
		.amdhsa_workgroup_processor_mode 1
		.amdhsa_memory_ordered 1
		.amdhsa_forward_progress 1
		.amdhsa_shared_vgpr_count 0
		.amdhsa_exception_fp_ieee_invalid_op 0
		.amdhsa_exception_fp_denorm_src 0
		.amdhsa_exception_fp_ieee_div_zero 0
		.amdhsa_exception_fp_ieee_overflow 0
		.amdhsa_exception_fp_ieee_underflow 0
		.amdhsa_exception_fp_ieee_inexact 0
		.amdhsa_exception_int_div_zero 0
	.end_amdhsa_kernel
	.section	.text._ZL13mul_mat_vec_fI6__halffLi5ELi96ELb0ELb0EEvPKT_PKfPKi31ggml_cuda_mm_fusion_args_devicePfi15HIP_vector_typeIjLj3EEiiiSB_iiiSB_iiii,"axG",@progbits,_ZL13mul_mat_vec_fI6__halffLi5ELi96ELb0ELb0EEvPKT_PKfPKi31ggml_cuda_mm_fusion_args_devicePfi15HIP_vector_typeIjLj3EEiiiSB_iiiSB_iiii,comdat
.Lfunc_end234:
	.size	_ZL13mul_mat_vec_fI6__halffLi5ELi96ELb0ELb0EEvPKT_PKfPKi31ggml_cuda_mm_fusion_args_devicePfi15HIP_vector_typeIjLj3EEiiiSB_iiiSB_iiii, .Lfunc_end234-_ZL13mul_mat_vec_fI6__halffLi5ELi96ELb0ELb0EEvPKT_PKfPKi31ggml_cuda_mm_fusion_args_devicePfi15HIP_vector_typeIjLj3EEiiiSB_iiiSB_iiii
                                        ; -- End function
	.set _ZL13mul_mat_vec_fI6__halffLi5ELi96ELb0ELb0EEvPKT_PKfPKi31ggml_cuda_mm_fusion_args_devicePfi15HIP_vector_typeIjLj3EEiiiSB_iiiSB_iiii.num_vgpr, 23
	.set _ZL13mul_mat_vec_fI6__halffLi5ELi96ELb0ELb0EEvPKT_PKfPKi31ggml_cuda_mm_fusion_args_devicePfi15HIP_vector_typeIjLj3EEiiiSB_iiiSB_iiii.num_agpr, 0
	.set _ZL13mul_mat_vec_fI6__halffLi5ELi96ELb0ELb0EEvPKT_PKfPKi31ggml_cuda_mm_fusion_args_devicePfi15HIP_vector_typeIjLj3EEiiiSB_iiiSB_iiii.numbered_sgpr, 36
	.set _ZL13mul_mat_vec_fI6__halffLi5ELi96ELb0ELb0EEvPKT_PKfPKi31ggml_cuda_mm_fusion_args_devicePfi15HIP_vector_typeIjLj3EEiiiSB_iiiSB_iiii.num_named_barrier, 0
	.set _ZL13mul_mat_vec_fI6__halffLi5ELi96ELb0ELb0EEvPKT_PKfPKi31ggml_cuda_mm_fusion_args_devicePfi15HIP_vector_typeIjLj3EEiiiSB_iiiSB_iiii.private_seg_size, 0
	.set _ZL13mul_mat_vec_fI6__halffLi5ELi96ELb0ELb0EEvPKT_PKfPKi31ggml_cuda_mm_fusion_args_devicePfi15HIP_vector_typeIjLj3EEiiiSB_iiiSB_iiii.uses_vcc, 1
	.set _ZL13mul_mat_vec_fI6__halffLi5ELi96ELb0ELb0EEvPKT_PKfPKi31ggml_cuda_mm_fusion_args_devicePfi15HIP_vector_typeIjLj3EEiiiSB_iiiSB_iiii.uses_flat_scratch, 0
	.set _ZL13mul_mat_vec_fI6__halffLi5ELi96ELb0ELb0EEvPKT_PKfPKi31ggml_cuda_mm_fusion_args_devicePfi15HIP_vector_typeIjLj3EEiiiSB_iiiSB_iiii.has_dyn_sized_stack, 0
	.set _ZL13mul_mat_vec_fI6__halffLi5ELi96ELb0ELb0EEvPKT_PKfPKi31ggml_cuda_mm_fusion_args_devicePfi15HIP_vector_typeIjLj3EEiiiSB_iiiSB_iiii.has_recursion, 0
	.set _ZL13mul_mat_vec_fI6__halffLi5ELi96ELb0ELb0EEvPKT_PKfPKi31ggml_cuda_mm_fusion_args_devicePfi15HIP_vector_typeIjLj3EEiiiSB_iiiSB_iiii.has_indirect_call, 0
	.section	.AMDGPU.csdata,"",@progbits
; Kernel info:
; codeLenInByte = 2240
; TotalNumSgprs: 38
; NumVgprs: 23
; ScratchSize: 0
; MemoryBound: 0
; FloatMode: 240
; IeeeMode: 1
; LDSByteSize: 0 bytes/workgroup (compile time only)
; SGPRBlocks: 0
; VGPRBlocks: 2
; NumSGPRsForWavesPerEU: 38
; NumVGPRsForWavesPerEU: 23
; Occupancy: 16
; WaveLimiterHint : 0
; COMPUTE_PGM_RSRC2:SCRATCH_EN: 0
; COMPUTE_PGM_RSRC2:USER_SGPR: 6
; COMPUTE_PGM_RSRC2:TRAP_HANDLER: 0
; COMPUTE_PGM_RSRC2:TGID_X_EN: 1
; COMPUTE_PGM_RSRC2:TGID_Y_EN: 1
; COMPUTE_PGM_RSRC2:TGID_Z_EN: 1
; COMPUTE_PGM_RSRC2:TIDIG_COMP_CNT: 0
	.section	.text._ZL13mul_mat_vec_fI6__halffLi5ELi128ELb0ELb0EEvPKT_PKfPKi31ggml_cuda_mm_fusion_args_devicePfi15HIP_vector_typeIjLj3EEiiiSB_iiiSB_iiii,"axG",@progbits,_ZL13mul_mat_vec_fI6__halffLi5ELi128ELb0ELb0EEvPKT_PKfPKi31ggml_cuda_mm_fusion_args_devicePfi15HIP_vector_typeIjLj3EEiiiSB_iiiSB_iiii,comdat
	.globl	_ZL13mul_mat_vec_fI6__halffLi5ELi128ELb0ELb0EEvPKT_PKfPKi31ggml_cuda_mm_fusion_args_devicePfi15HIP_vector_typeIjLj3EEiiiSB_iiiSB_iiii ; -- Begin function _ZL13mul_mat_vec_fI6__halffLi5ELi128ELb0ELb0EEvPKT_PKfPKi31ggml_cuda_mm_fusion_args_devicePfi15HIP_vector_typeIjLj3EEiiiSB_iiiSB_iiii
	.p2align	8
	.type	_ZL13mul_mat_vec_fI6__halffLi5ELi128ELb0ELb0EEvPKT_PKfPKi31ggml_cuda_mm_fusion_args_devicePfi15HIP_vector_typeIjLj3EEiiiSB_iiiSB_iiii,@function
_ZL13mul_mat_vec_fI6__halffLi5ELi128ELb0ELb0EEvPKT_PKfPKi31ggml_cuda_mm_fusion_args_devicePfi15HIP_vector_typeIjLj3EEiiiSB_iiiSB_iiii: ; @_ZL13mul_mat_vec_fI6__halffLi5ELi128ELb0ELb0EEvPKT_PKfPKi31ggml_cuda_mm_fusion_args_devicePfi15HIP_vector_typeIjLj3EEiiiSB_iiiSB_iiii
; %bb.0:
	s_clause 0x2
	s_load_dwordx2 s[0:1], s[4:5], 0x10
	s_load_dwordx8 s[12:19], s[4:5], 0x40
	s_load_dwordx4 s[20:23], s[4:5], 0x80
	s_waitcnt lgkmcnt(0)
	s_cmp_eq_u64 s[0:1], 0
	s_cselect_b32 s10, -1, 0
	s_cmp_lg_u64 s[0:1], 0
	s_cselect_b32 s11, -1, 0
	s_and_b32 vcc_lo, exec_lo, s10
	s_cbranch_vccnz .LBB235_2
; %bb.1:
	s_mul_i32 s2, s23, s8
	s_mov_b32 s3, 0
	s_add_i32 s2, s2, s7
	s_lshl_b64 s[24:25], s[2:3], 2
	s_add_u32 s0, s0, s24
	s_addc_u32 s1, s1, s25
	s_load_dword s9, s[0:1], 0x0
	s_cbranch_execz .LBB235_3
	s_branch .LBB235_4
.LBB235_2:
                                        ; implicit-def: $sgpr9
.LBB235_3:
	s_load_dwordx2 s[0:1], s[4:5], 0x5c
	s_waitcnt lgkmcnt(0)
	s_mul_hi_u32 s0, s0, s7
	s_add_i32 s0, s7, s0
	s_lshr_b32 s9, s0, s1
.LBB235_4:
	s_load_dwordx4 s[24:27], s[4:5], 0x68
	s_andn2_b32 vcc_lo, exec_lo, s11
	s_mov_b32 s19, s7
	s_cbranch_vccnz .LBB235_6
; %bb.5:
	s_mul_hi_u32 s0, s13, s7
	s_add_i32 s0, s7, s0
	s_lshr_b32 s0, s0, s14
	s_mul_i32 s0, s0, s15
	s_sub_i32 s19, s7, s0
.LBB235_6:
	s_load_dword s14, s[4:5], 0x78
	v_cmp_gt_u32_e32 vcc_lo, 32, v0
	v_lshl_add_u32 v5, v0, 2, 0
	s_and_saveexec_b32 s0, vcc_lo
; %bb.7:
	v_mov_b32_e32 v1, 0
	ds_write_b32 v5, v1
; %bb.8:
	s_or_b32 exec_lo, exec_lo, s0
	v_mov_b32_e32 v6, 0
	v_mov_b32_e32 v7, 0
	;; [unrolled: 1-line block ×5, first 2 shown]
	s_and_b32 s0, exec_lo, s10
	s_mov_b32 s11, 0
	s_cselect_b32 s10, s8, 0
	s_mov_b32 s13, exec_lo
	s_waitcnt lgkmcnt(0)
	s_barrier
	buffer_gl0_inv
	v_cmpx_gt_i32_e64 s12, v0
	s_cbranch_execz .LBB235_12
; %bb.9:
	s_load_dwordx4 s[0:3], s[4:5], 0x0
	s_mul_hi_u32 s15, s27, s10
	s_mul_hi_i32 s29, s21, s10
	s_mul_i32 s28, s21, s10
	s_mul_i32 s8, s9, s24
	;; [unrolled: 1-line block ×4, first 2 shown]
	s_add_i32 s15, s10, s15
	s_lshl_b64 s[28:29], s[28:29], 2
	s_ashr_i32 s9, s8, 31
	s_ashr_i32 s25, s24, 31
	;; [unrolled: 1-line block ×3, first 2 shown]
	s_lshr_b32 s14, s15, s14
	s_mov_b32 s34, s17
	s_mul_hi_i32 s21, s14, s20
	s_mul_i32 s20, s14, s20
	v_lshlrev_b32_e32 v2, 3, v0
	v_lshlrev_b32_e32 v1, 2, v0
	v_mov_b32_e32 v10, 0
	v_mov_b32_e32 v11, v0
	s_waitcnt lgkmcnt(0)
	s_add_u32 s15, s2, s28
	s_addc_u32 s16, s3, s29
	s_lshl_b64 s[30:31], s[30:31], 2
	v_mov_b32_e32 v9, 0
	s_add_u32 s14, s15, s30
	s_addc_u32 s15, s16, s31
	s_lshl_b64 s[8:9], s[8:9], 1
	s_ashr_i32 s35, s17, 31
	s_add_i32 s16, s17, s17
	s_lshl_b32 s19, s17, 2
	s_lshl_b64 s[20:21], s[20:21], 1
	s_lshl_b64 s[24:25], s[24:25], 1
	s_add_u32 s0, s0, s8
	s_addc_u32 s1, s1, s9
	s_add_u32 s0, s0, s24
	s_addc_u32 s1, s1, s25
	;; [unrolled: 2-line block ×3, first 2 shown]
	s_lshl_b64 s[8:9], s[34:35], 3
	s_add_u32 s2, s2, s30
	s_addc_u32 s3, s3, s31
	s_add_u32 s2, s2, s28
	s_addc_u32 s3, s3, s29
	v_add_co_u32 v3, s2, s2, v2
	v_add_co_ci_u32_e64 v4, null, s3, 0, s2
	v_add_co_u32 v1, s0, s0, v1
	v_add_co_ci_u32_e64 v2, null, s1, 0, s0
	;; [unrolled: 2-line block ×3, first 2 shown]
	v_mov_b32_e32 v8, 0
	v_mov_b32_e32 v7, 0
	;; [unrolled: 1-line block ×3, first 2 shown]
	s_mul_i32 s1, s17, 3
.LBB235_10:                             ; =>This Inner Loop Header: Depth=1
	v_add_nc_u32_e32 v12, s16, v11
	v_add_nc_u32_e32 v16, s1, v11
	;; [unrolled: 1-line block ×3, first 2 shown]
	v_add_co_u32 v14, s0, v3, s8
	v_ashrrev_i32_e32 v13, 31, v12
	v_ashrrev_i32_e32 v17, 31, v16
	;; [unrolled: 1-line block ×3, first 2 shown]
	v_add_co_ci_u32_e64 v15, null, s9, v4, s0
	v_lshlrev_b64 v[12:13], 3, v[12:13]
	v_lshlrev_b64 v[16:17], 3, v[16:17]
	;; [unrolled: 1-line block ×3, first 2 shown]
	global_load_dword v22, v[1:2], off
	v_add_nc_u32_e32 v11, 0x80, v11
	v_add_co_u32 v12, s0, s14, v12
	v_add_co_ci_u32_e64 v13, null, s15, v13, s0
	v_add_co_u32 v16, s0, s14, v16
	v_add_co_ci_u32_e64 v17, null, s15, v17, s0
	;; [unrolled: 2-line block ×3, first 2 shown]
	s_clause 0x1
	global_load_dwordx2 v[20:21], v[3:4], off offset:-4
	global_load_dwordx2 v[14:15], v[14:15], off offset:-4
	s_clause 0x2
	global_load_dwordx2 v[12:13], v[12:13], off
	global_load_dwordx2 v[16:17], v[16:17], off
	;; [unrolled: 1-line block ×3, first 2 shown]
	v_add_co_u32 v1, s0, 0x200, v1
	v_add_co_ci_u32_e64 v2, null, 0, v2, s0
	v_add_co_u32 v3, s0, 0x400, v3
	v_add_co_ci_u32_e64 v4, null, 0, v4, s0
	v_cmp_le_i32_e64 s0, s12, v11
	s_or_b32 s11, s0, s11
	s_waitcnt vmcnt(4)
	v_fma_mix_f32 v10, v20, v22, v10 op_sel_hi:[0,1,0]
	s_waitcnt vmcnt(3)
	v_fma_mix_f32 v9, v14, v22, v9 op_sel_hi:[0,1,0]
	s_waitcnt vmcnt(2)
	v_fma_mix_f32 v8, v12, v22, v8 op_sel_hi:[0,1,0]
	s_waitcnt vmcnt(1)
	v_fma_mix_f32 v7, v16, v22, v7 op_sel_hi:[0,1,0]
	s_waitcnt vmcnt(0)
	v_fma_mix_f32 v6, v18, v22, v6 op_sel_hi:[0,1,0]
	v_fma_mix_f32 v10, v21, v22, v10 op_sel:[0,1,0] op_sel_hi:[0,1,0]
	v_fma_mix_f32 v9, v15, v22, v9 op_sel:[0,1,0] op_sel_hi:[0,1,0]
	;; [unrolled: 1-line block ×5, first 2 shown]
	s_andn2_b32 exec_lo, exec_lo, s11
	s_cbranch_execnz .LBB235_10
; %bb.11:
	s_or_b32 exec_lo, exec_lo, s11
.LBB235_12:
	s_or_b32 exec_lo, exec_lo, s13
	v_mbcnt_lo_u32_b32 v2, -1, 0
	v_xor_b32_e32 v1, 16, v2
	v_xor_b32_e32 v3, 8, v2
	v_cmp_gt_i32_e64 s0, 32, v1
	v_cndmask_b32_e64 v1, v2, v1, s0
	v_cmp_gt_i32_e64 s0, 32, v3
	v_lshlrev_b32_e32 v1, 2, v1
	v_cndmask_b32_e64 v3, v2, v3, s0
	ds_bpermute_b32 v4, v1, v10
	v_lshlrev_b32_e32 v3, 2, v3
	s_waitcnt lgkmcnt(0)
	v_add_f32_e32 v10, v10, v4
	v_xor_b32_e32 v4, 4, v2
	ds_bpermute_b32 v11, v3, v10
	v_cmp_gt_i32_e64 s0, 32, v4
	v_cndmask_b32_e64 v4, v2, v4, s0
	v_lshlrev_b32_e32 v4, 2, v4
	s_waitcnt lgkmcnt(0)
	v_add_f32_e32 v11, v10, v11
	v_xor_b32_e32 v10, 2, v2
	ds_bpermute_b32 v12, v4, v11
	v_cmp_gt_i32_e64 s0, 32, v10
	v_cndmask_b32_e64 v10, v2, v10, s0
	;; [unrolled: 7-line block ×3, first 2 shown]
	v_lshlrev_b32_e32 v11, 2, v2
	s_waitcnt lgkmcnt(0)
	v_add_f32_e32 v2, v12, v13
	v_lshrrev_b32_e32 v12, 3, v0
	ds_bpermute_b32 v13, v11, v2
	v_and_b32_e32 v12, 0x7c, v12
	v_add_nc_u32_e32 v12, 0, v12
	s_waitcnt lgkmcnt(0)
	v_add_f32_e32 v2, v2, v13
	ds_write_b32 v12, v2
	s_waitcnt lgkmcnt(0)
	s_barrier
	buffer_gl0_inv
	s_and_saveexec_b32 s0, vcc_lo
	s_cbranch_execz .LBB235_14
; %bb.13:
	ds_read_b32 v2, v5
	s_waitcnt lgkmcnt(0)
	ds_bpermute_b32 v13, v1, v2
	s_waitcnt lgkmcnt(0)
	v_add_f32_e32 v2, v2, v13
	ds_bpermute_b32 v13, v3, v2
	s_waitcnt lgkmcnt(0)
	v_add_f32_e32 v2, v2, v13
	ds_bpermute_b32 v13, v4, v2
	s_waitcnt lgkmcnt(0)
	v_add_f32_e32 v2, v2, v13
	ds_bpermute_b32 v13, v10, v2
	s_waitcnt lgkmcnt(0)
	v_add_f32_e32 v2, v2, v13
	ds_bpermute_b32 v13, v11, v2
	s_waitcnt lgkmcnt(0)
	v_add_f32_e32 v2, v2, v13
.LBB235_14:
	s_or_b32 exec_lo, exec_lo, s0
	ds_bpermute_b32 v13, v1, v9
	s_waitcnt lgkmcnt(0)
	s_barrier
	buffer_gl0_inv
	v_add_f32_e32 v9, v9, v13
	ds_bpermute_b32 v13, v3, v9
	s_waitcnt lgkmcnt(0)
	v_add_f32_e32 v9, v9, v13
	ds_bpermute_b32 v13, v4, v9
	s_waitcnt lgkmcnt(0)
	v_add_f32_e32 v9, v9, v13
	ds_bpermute_b32 v13, v10, v9
	s_waitcnt lgkmcnt(0)
	v_add_f32_e32 v9, v9, v13
	ds_bpermute_b32 v13, v11, v9
	s_waitcnt lgkmcnt(0)
	v_add_f32_e32 v9, v9, v13
	ds_write_b32 v12, v9
	s_waitcnt lgkmcnt(0)
	s_barrier
	buffer_gl0_inv
	s_and_saveexec_b32 s0, vcc_lo
	s_cbranch_execz .LBB235_16
; %bb.15:
	ds_read_b32 v9, v5
	s_waitcnt lgkmcnt(0)
	ds_bpermute_b32 v13, v1, v9
	s_waitcnt lgkmcnt(0)
	v_add_f32_e32 v9, v9, v13
	ds_bpermute_b32 v13, v3, v9
	s_waitcnt lgkmcnt(0)
	v_add_f32_e32 v9, v9, v13
	ds_bpermute_b32 v13, v4, v9
	s_waitcnt lgkmcnt(0)
	v_add_f32_e32 v9, v9, v13
	ds_bpermute_b32 v13, v10, v9
	s_waitcnt lgkmcnt(0)
	v_add_f32_e32 v9, v9, v13
	ds_bpermute_b32 v13, v11, v9
	s_waitcnt lgkmcnt(0)
	v_add_f32_e32 v9, v9, v13
.LBB235_16:
	s_or_b32 exec_lo, exec_lo, s0
	ds_bpermute_b32 v13, v1, v8
	s_waitcnt lgkmcnt(0)
	s_barrier
	buffer_gl0_inv
	v_add_f32_e32 v8, v8, v13
	ds_bpermute_b32 v13, v3, v8
	s_waitcnt lgkmcnt(0)
	v_add_f32_e32 v8, v8, v13
	ds_bpermute_b32 v13, v4, v8
	s_waitcnt lgkmcnt(0)
	v_add_f32_e32 v8, v8, v13
	ds_bpermute_b32 v13, v10, v8
	s_waitcnt lgkmcnt(0)
	v_add_f32_e32 v8, v8, v13
	ds_bpermute_b32 v13, v11, v8
	;; [unrolled: 43-line block ×4, first 2 shown]
	s_waitcnt lgkmcnt(0)
	v_add_f32_e32 v6, v6, v13
	ds_write_b32 v12, v6
	s_waitcnt lgkmcnt(0)
	s_barrier
	buffer_gl0_inv
	s_and_saveexec_b32 s0, vcc_lo
	s_cbranch_execz .LBB235_22
; %bb.21:
	ds_read_b32 v5, v5
	s_waitcnt lgkmcnt(0)
	ds_bpermute_b32 v1, v1, v5
	s_waitcnt lgkmcnt(0)
	v_add_f32_e32 v1, v5, v1
	ds_bpermute_b32 v3, v3, v1
	s_waitcnt lgkmcnt(0)
	v_add_f32_e32 v1, v1, v3
	;; [unrolled: 3-line block ×5, first 2 shown]
.LBB235_22:
	s_or_b32 exec_lo, exec_lo, s0
	s_barrier
	buffer_gl0_inv
	s_mov_b32 s0, exec_lo
	v_cmpx_gt_u32_e32 5, v0
	s_cbranch_execz .LBB235_24
; %bb.23:
	s_load_dwordx2 s[0:1], s[4:5], 0x38
	v_cmp_eq_u32_e32 vcc_lo, 1, v0
	v_mad_u64_u32 v[3:4], null, s18, v0, s[6:7]
	s_mul_hi_i32 s3, s22, s10
	s_mul_i32 s2, s22, s10
	v_cndmask_b32_e32 v1, v2, v9, vcc_lo
	v_cmp_eq_u32_e32 vcc_lo, 2, v0
	s_mul_i32 s4, s26, s7
	s_lshl_b64 s[2:3], s[2:3], 2
	v_ashrrev_i32_e32 v4, 31, v3
	s_ashr_i32 s5, s4, 31
	v_cndmask_b32_e32 v1, v1, v8, vcc_lo
	v_cmp_eq_u32_e32 vcc_lo, 3, v0
	v_cndmask_b32_e32 v5, v1, v7, vcc_lo
	v_lshlrev_b64 v[1:2], 2, v[3:4]
	s_waitcnt lgkmcnt(0)
	s_add_u32 s2, s0, s2
	v_cmp_eq_u32_e32 vcc_lo, 4, v0
	s_addc_u32 s3, s1, s3
	s_lshl_b64 s[0:1], s[4:5], 2
	s_add_u32 s0, s2, s0
	v_cndmask_b32_e32 v3, v5, v6, vcc_lo
	s_addc_u32 s1, s3, s1
	v_add_co_u32 v0, vcc_lo, s0, v1
	v_add_co_ci_u32_e64 v1, null, s1, v2, vcc_lo
	global_store_dword v[0:1], v3, off
.LBB235_24:
	s_endpgm
	.section	.rodata,"a",@progbits
	.p2align	6, 0x0
	.amdhsa_kernel _ZL13mul_mat_vec_fI6__halffLi5ELi128ELb0ELb0EEvPKT_PKfPKi31ggml_cuda_mm_fusion_args_devicePfi15HIP_vector_typeIjLj3EEiiiSB_iiiSB_iiii
		.amdhsa_group_segment_fixed_size 0
		.amdhsa_private_segment_fixed_size 0
		.amdhsa_kernarg_size 144
		.amdhsa_user_sgpr_count 6
		.amdhsa_user_sgpr_private_segment_buffer 1
		.amdhsa_user_sgpr_dispatch_ptr 0
		.amdhsa_user_sgpr_queue_ptr 0
		.amdhsa_user_sgpr_kernarg_segment_ptr 1
		.amdhsa_user_sgpr_dispatch_id 0
		.amdhsa_user_sgpr_flat_scratch_init 0
		.amdhsa_user_sgpr_private_segment_size 0
		.amdhsa_wavefront_size32 1
		.amdhsa_uses_dynamic_stack 0
		.amdhsa_system_sgpr_private_segment_wavefront_offset 0
		.amdhsa_system_sgpr_workgroup_id_x 1
		.amdhsa_system_sgpr_workgroup_id_y 1
		.amdhsa_system_sgpr_workgroup_id_z 1
		.amdhsa_system_sgpr_workgroup_info 0
		.amdhsa_system_vgpr_workitem_id 0
		.amdhsa_next_free_vgpr 23
		.amdhsa_next_free_sgpr 36
		.amdhsa_reserve_vcc 1
		.amdhsa_reserve_flat_scratch 0
		.amdhsa_float_round_mode_32 0
		.amdhsa_float_round_mode_16_64 0
		.amdhsa_float_denorm_mode_32 3
		.amdhsa_float_denorm_mode_16_64 3
		.amdhsa_dx10_clamp 1
		.amdhsa_ieee_mode 1
		.amdhsa_fp16_overflow 0
		.amdhsa_workgroup_processor_mode 1
		.amdhsa_memory_ordered 1
		.amdhsa_forward_progress 1
		.amdhsa_shared_vgpr_count 0
		.amdhsa_exception_fp_ieee_invalid_op 0
		.amdhsa_exception_fp_denorm_src 0
		.amdhsa_exception_fp_ieee_div_zero 0
		.amdhsa_exception_fp_ieee_overflow 0
		.amdhsa_exception_fp_ieee_underflow 0
		.amdhsa_exception_fp_ieee_inexact 0
		.amdhsa_exception_int_div_zero 0
	.end_amdhsa_kernel
	.section	.text._ZL13mul_mat_vec_fI6__halffLi5ELi128ELb0ELb0EEvPKT_PKfPKi31ggml_cuda_mm_fusion_args_devicePfi15HIP_vector_typeIjLj3EEiiiSB_iiiSB_iiii,"axG",@progbits,_ZL13mul_mat_vec_fI6__halffLi5ELi128ELb0ELb0EEvPKT_PKfPKi31ggml_cuda_mm_fusion_args_devicePfi15HIP_vector_typeIjLj3EEiiiSB_iiiSB_iiii,comdat
.Lfunc_end235:
	.size	_ZL13mul_mat_vec_fI6__halffLi5ELi128ELb0ELb0EEvPKT_PKfPKi31ggml_cuda_mm_fusion_args_devicePfi15HIP_vector_typeIjLj3EEiiiSB_iiiSB_iiii, .Lfunc_end235-_ZL13mul_mat_vec_fI6__halffLi5ELi128ELb0ELb0EEvPKT_PKfPKi31ggml_cuda_mm_fusion_args_devicePfi15HIP_vector_typeIjLj3EEiiiSB_iiiSB_iiii
                                        ; -- End function
	.set _ZL13mul_mat_vec_fI6__halffLi5ELi128ELb0ELb0EEvPKT_PKfPKi31ggml_cuda_mm_fusion_args_devicePfi15HIP_vector_typeIjLj3EEiiiSB_iiiSB_iiii.num_vgpr, 23
	.set _ZL13mul_mat_vec_fI6__halffLi5ELi128ELb0ELb0EEvPKT_PKfPKi31ggml_cuda_mm_fusion_args_devicePfi15HIP_vector_typeIjLj3EEiiiSB_iiiSB_iiii.num_agpr, 0
	.set _ZL13mul_mat_vec_fI6__halffLi5ELi128ELb0ELb0EEvPKT_PKfPKi31ggml_cuda_mm_fusion_args_devicePfi15HIP_vector_typeIjLj3EEiiiSB_iiiSB_iiii.numbered_sgpr, 36
	.set _ZL13mul_mat_vec_fI6__halffLi5ELi128ELb0ELb0EEvPKT_PKfPKi31ggml_cuda_mm_fusion_args_devicePfi15HIP_vector_typeIjLj3EEiiiSB_iiiSB_iiii.num_named_barrier, 0
	.set _ZL13mul_mat_vec_fI6__halffLi5ELi128ELb0ELb0EEvPKT_PKfPKi31ggml_cuda_mm_fusion_args_devicePfi15HIP_vector_typeIjLj3EEiiiSB_iiiSB_iiii.private_seg_size, 0
	.set _ZL13mul_mat_vec_fI6__halffLi5ELi128ELb0ELb0EEvPKT_PKfPKi31ggml_cuda_mm_fusion_args_devicePfi15HIP_vector_typeIjLj3EEiiiSB_iiiSB_iiii.uses_vcc, 1
	.set _ZL13mul_mat_vec_fI6__halffLi5ELi128ELb0ELb0EEvPKT_PKfPKi31ggml_cuda_mm_fusion_args_devicePfi15HIP_vector_typeIjLj3EEiiiSB_iiiSB_iiii.uses_flat_scratch, 0
	.set _ZL13mul_mat_vec_fI6__halffLi5ELi128ELb0ELb0EEvPKT_PKfPKi31ggml_cuda_mm_fusion_args_devicePfi15HIP_vector_typeIjLj3EEiiiSB_iiiSB_iiii.has_dyn_sized_stack, 0
	.set _ZL13mul_mat_vec_fI6__halffLi5ELi128ELb0ELb0EEvPKT_PKfPKi31ggml_cuda_mm_fusion_args_devicePfi15HIP_vector_typeIjLj3EEiiiSB_iiiSB_iiii.has_recursion, 0
	.set _ZL13mul_mat_vec_fI6__halffLi5ELi128ELb0ELb0EEvPKT_PKfPKi31ggml_cuda_mm_fusion_args_devicePfi15HIP_vector_typeIjLj3EEiiiSB_iiiSB_iiii.has_indirect_call, 0
	.section	.AMDGPU.csdata,"",@progbits
; Kernel info:
; codeLenInByte = 2240
; TotalNumSgprs: 38
; NumVgprs: 23
; ScratchSize: 0
; MemoryBound: 0
; FloatMode: 240
; IeeeMode: 1
; LDSByteSize: 0 bytes/workgroup (compile time only)
; SGPRBlocks: 0
; VGPRBlocks: 2
; NumSGPRsForWavesPerEU: 38
; NumVGPRsForWavesPerEU: 23
; Occupancy: 16
; WaveLimiterHint : 0
; COMPUTE_PGM_RSRC2:SCRATCH_EN: 0
; COMPUTE_PGM_RSRC2:USER_SGPR: 6
; COMPUTE_PGM_RSRC2:TRAP_HANDLER: 0
; COMPUTE_PGM_RSRC2:TGID_X_EN: 1
; COMPUTE_PGM_RSRC2:TGID_Y_EN: 1
; COMPUTE_PGM_RSRC2:TGID_Z_EN: 1
; COMPUTE_PGM_RSRC2:TIDIG_COMP_CNT: 0
	.section	.text._ZL13mul_mat_vec_fI6__halffLi5ELi160ELb0ELb0EEvPKT_PKfPKi31ggml_cuda_mm_fusion_args_devicePfi15HIP_vector_typeIjLj3EEiiiSB_iiiSB_iiii,"axG",@progbits,_ZL13mul_mat_vec_fI6__halffLi5ELi160ELb0ELb0EEvPKT_PKfPKi31ggml_cuda_mm_fusion_args_devicePfi15HIP_vector_typeIjLj3EEiiiSB_iiiSB_iiii,comdat
	.globl	_ZL13mul_mat_vec_fI6__halffLi5ELi160ELb0ELb0EEvPKT_PKfPKi31ggml_cuda_mm_fusion_args_devicePfi15HIP_vector_typeIjLj3EEiiiSB_iiiSB_iiii ; -- Begin function _ZL13mul_mat_vec_fI6__halffLi5ELi160ELb0ELb0EEvPKT_PKfPKi31ggml_cuda_mm_fusion_args_devicePfi15HIP_vector_typeIjLj3EEiiiSB_iiiSB_iiii
	.p2align	8
	.type	_ZL13mul_mat_vec_fI6__halffLi5ELi160ELb0ELb0EEvPKT_PKfPKi31ggml_cuda_mm_fusion_args_devicePfi15HIP_vector_typeIjLj3EEiiiSB_iiiSB_iiii,@function
_ZL13mul_mat_vec_fI6__halffLi5ELi160ELb0ELb0EEvPKT_PKfPKi31ggml_cuda_mm_fusion_args_devicePfi15HIP_vector_typeIjLj3EEiiiSB_iiiSB_iiii: ; @_ZL13mul_mat_vec_fI6__halffLi5ELi160ELb0ELb0EEvPKT_PKfPKi31ggml_cuda_mm_fusion_args_devicePfi15HIP_vector_typeIjLj3EEiiiSB_iiiSB_iiii
; %bb.0:
	s_clause 0x2
	s_load_dwordx2 s[0:1], s[4:5], 0x10
	s_load_dwordx8 s[12:19], s[4:5], 0x40
	s_load_dwordx4 s[20:23], s[4:5], 0x80
	s_waitcnt lgkmcnt(0)
	s_cmp_eq_u64 s[0:1], 0
	s_cselect_b32 s10, -1, 0
	s_cmp_lg_u64 s[0:1], 0
	s_cselect_b32 s11, -1, 0
	s_and_b32 vcc_lo, exec_lo, s10
	s_cbranch_vccnz .LBB236_2
; %bb.1:
	s_mul_i32 s2, s23, s8
	s_mov_b32 s3, 0
	s_add_i32 s2, s2, s7
	s_lshl_b64 s[24:25], s[2:3], 2
	s_add_u32 s0, s0, s24
	s_addc_u32 s1, s1, s25
	s_load_dword s9, s[0:1], 0x0
	s_cbranch_execz .LBB236_3
	s_branch .LBB236_4
.LBB236_2:
                                        ; implicit-def: $sgpr9
.LBB236_3:
	s_load_dwordx2 s[0:1], s[4:5], 0x5c
	s_waitcnt lgkmcnt(0)
	s_mul_hi_u32 s0, s0, s7
	s_add_i32 s0, s7, s0
	s_lshr_b32 s9, s0, s1
.LBB236_4:
	s_load_dwordx4 s[24:27], s[4:5], 0x68
	s_andn2_b32 vcc_lo, exec_lo, s11
	s_mov_b32 s19, s7
	s_cbranch_vccnz .LBB236_6
; %bb.5:
	s_mul_hi_u32 s0, s13, s7
	s_add_i32 s0, s7, s0
	s_lshr_b32 s0, s0, s14
	s_mul_i32 s0, s0, s15
	s_sub_i32 s19, s7, s0
.LBB236_6:
	s_load_dword s14, s[4:5], 0x78
	v_cmp_gt_u32_e32 vcc_lo, 32, v0
	v_lshl_add_u32 v5, v0, 2, 0
	s_and_saveexec_b32 s0, vcc_lo
; %bb.7:
	v_mov_b32_e32 v1, 0
	ds_write_b32 v5, v1
; %bb.8:
	s_or_b32 exec_lo, exec_lo, s0
	v_mov_b32_e32 v6, 0
	v_mov_b32_e32 v7, 0
	;; [unrolled: 1-line block ×5, first 2 shown]
	s_and_b32 s0, exec_lo, s10
	s_mov_b32 s11, 0
	s_cselect_b32 s10, s8, 0
	s_mov_b32 s13, exec_lo
	s_waitcnt lgkmcnt(0)
	s_barrier
	buffer_gl0_inv
	v_cmpx_gt_i32_e64 s12, v0
	s_cbranch_execz .LBB236_12
; %bb.9:
	s_load_dwordx4 s[0:3], s[4:5], 0x0
	s_mul_hi_u32 s15, s27, s10
	s_mul_hi_i32 s29, s21, s10
	s_mul_i32 s28, s21, s10
	s_mul_i32 s8, s9, s24
	;; [unrolled: 1-line block ×4, first 2 shown]
	s_add_i32 s15, s10, s15
	s_lshl_b64 s[28:29], s[28:29], 2
	s_ashr_i32 s9, s8, 31
	s_ashr_i32 s25, s24, 31
	;; [unrolled: 1-line block ×3, first 2 shown]
	s_lshr_b32 s14, s15, s14
	s_mov_b32 s34, s17
	s_mul_hi_i32 s21, s14, s20
	s_mul_i32 s20, s14, s20
	v_lshlrev_b32_e32 v2, 3, v0
	v_lshlrev_b32_e32 v1, 2, v0
	v_mov_b32_e32 v10, 0
	v_mov_b32_e32 v11, v0
	s_waitcnt lgkmcnt(0)
	s_add_u32 s15, s2, s28
	s_addc_u32 s16, s3, s29
	s_lshl_b64 s[30:31], s[30:31], 2
	v_mov_b32_e32 v9, 0
	s_add_u32 s14, s15, s30
	s_addc_u32 s15, s16, s31
	s_lshl_b64 s[8:9], s[8:9], 1
	s_ashr_i32 s35, s17, 31
	s_add_i32 s16, s17, s17
	s_lshl_b32 s19, s17, 2
	s_lshl_b64 s[20:21], s[20:21], 1
	s_lshl_b64 s[24:25], s[24:25], 1
	s_add_u32 s0, s0, s8
	s_addc_u32 s1, s1, s9
	s_add_u32 s0, s0, s24
	s_addc_u32 s1, s1, s25
	;; [unrolled: 2-line block ×3, first 2 shown]
	s_lshl_b64 s[8:9], s[34:35], 3
	s_add_u32 s2, s2, s30
	s_addc_u32 s3, s3, s31
	s_add_u32 s2, s2, s28
	s_addc_u32 s3, s3, s29
	v_add_co_u32 v3, s2, s2, v2
	v_add_co_ci_u32_e64 v4, null, s3, 0, s2
	v_add_co_u32 v1, s0, s0, v1
	v_add_co_ci_u32_e64 v2, null, s1, 0, s0
	;; [unrolled: 2-line block ×3, first 2 shown]
	v_mov_b32_e32 v8, 0
	v_mov_b32_e32 v7, 0
	;; [unrolled: 1-line block ×3, first 2 shown]
	s_mul_i32 s1, s17, 3
.LBB236_10:                             ; =>This Inner Loop Header: Depth=1
	v_add_nc_u32_e32 v12, s16, v11
	v_add_nc_u32_e32 v16, s1, v11
	;; [unrolled: 1-line block ×3, first 2 shown]
	v_add_co_u32 v14, s0, v3, s8
	v_ashrrev_i32_e32 v13, 31, v12
	v_ashrrev_i32_e32 v17, 31, v16
	;; [unrolled: 1-line block ×3, first 2 shown]
	v_add_co_ci_u32_e64 v15, null, s9, v4, s0
	v_lshlrev_b64 v[12:13], 3, v[12:13]
	v_lshlrev_b64 v[16:17], 3, v[16:17]
	;; [unrolled: 1-line block ×3, first 2 shown]
	global_load_dword v22, v[1:2], off
	v_add_nc_u32_e32 v11, 0xa0, v11
	v_add_co_u32 v12, s0, s14, v12
	v_add_co_ci_u32_e64 v13, null, s15, v13, s0
	v_add_co_u32 v16, s0, s14, v16
	v_add_co_ci_u32_e64 v17, null, s15, v17, s0
	;; [unrolled: 2-line block ×3, first 2 shown]
	s_clause 0x1
	global_load_dwordx2 v[20:21], v[3:4], off offset:-4
	global_load_dwordx2 v[14:15], v[14:15], off offset:-4
	s_clause 0x2
	global_load_dwordx2 v[12:13], v[12:13], off
	global_load_dwordx2 v[16:17], v[16:17], off
	;; [unrolled: 1-line block ×3, first 2 shown]
	v_add_co_u32 v1, s0, 0x280, v1
	v_add_co_ci_u32_e64 v2, null, 0, v2, s0
	v_add_co_u32 v3, s0, 0x500, v3
	v_add_co_ci_u32_e64 v4, null, 0, v4, s0
	v_cmp_le_i32_e64 s0, s12, v11
	s_or_b32 s11, s0, s11
	s_waitcnt vmcnt(4)
	v_fma_mix_f32 v10, v20, v22, v10 op_sel_hi:[0,1,0]
	s_waitcnt vmcnt(3)
	v_fma_mix_f32 v9, v14, v22, v9 op_sel_hi:[0,1,0]
	;; [unrolled: 2-line block ×5, first 2 shown]
	v_fma_mix_f32 v10, v21, v22, v10 op_sel:[0,1,0] op_sel_hi:[0,1,0]
	v_fma_mix_f32 v9, v15, v22, v9 op_sel:[0,1,0] op_sel_hi:[0,1,0]
	;; [unrolled: 1-line block ×5, first 2 shown]
	s_andn2_b32 exec_lo, exec_lo, s11
	s_cbranch_execnz .LBB236_10
; %bb.11:
	s_or_b32 exec_lo, exec_lo, s11
.LBB236_12:
	s_or_b32 exec_lo, exec_lo, s13
	v_mbcnt_lo_u32_b32 v2, -1, 0
	v_xor_b32_e32 v1, 16, v2
	v_xor_b32_e32 v3, 8, v2
	v_cmp_gt_i32_e64 s0, 32, v1
	v_cndmask_b32_e64 v1, v2, v1, s0
	v_cmp_gt_i32_e64 s0, 32, v3
	v_lshlrev_b32_e32 v1, 2, v1
	v_cndmask_b32_e64 v3, v2, v3, s0
	ds_bpermute_b32 v4, v1, v10
	v_lshlrev_b32_e32 v3, 2, v3
	s_waitcnt lgkmcnt(0)
	v_add_f32_e32 v10, v10, v4
	v_xor_b32_e32 v4, 4, v2
	ds_bpermute_b32 v11, v3, v10
	v_cmp_gt_i32_e64 s0, 32, v4
	v_cndmask_b32_e64 v4, v2, v4, s0
	v_lshlrev_b32_e32 v4, 2, v4
	s_waitcnt lgkmcnt(0)
	v_add_f32_e32 v11, v10, v11
	v_xor_b32_e32 v10, 2, v2
	ds_bpermute_b32 v12, v4, v11
	v_cmp_gt_i32_e64 s0, 32, v10
	v_cndmask_b32_e64 v10, v2, v10, s0
	;; [unrolled: 7-line block ×3, first 2 shown]
	v_lshlrev_b32_e32 v11, 2, v2
	s_waitcnt lgkmcnt(0)
	v_add_f32_e32 v2, v12, v13
	v_lshrrev_b32_e32 v12, 3, v0
	ds_bpermute_b32 v13, v11, v2
	v_and_b32_e32 v12, 0x7c, v12
	v_add_nc_u32_e32 v12, 0, v12
	s_waitcnt lgkmcnt(0)
	v_add_f32_e32 v2, v2, v13
	ds_write_b32 v12, v2
	s_waitcnt lgkmcnt(0)
	s_barrier
	buffer_gl0_inv
	s_and_saveexec_b32 s0, vcc_lo
	s_cbranch_execz .LBB236_14
; %bb.13:
	ds_read_b32 v2, v5
	s_waitcnt lgkmcnt(0)
	ds_bpermute_b32 v13, v1, v2
	s_waitcnt lgkmcnt(0)
	v_add_f32_e32 v2, v2, v13
	ds_bpermute_b32 v13, v3, v2
	s_waitcnt lgkmcnt(0)
	v_add_f32_e32 v2, v2, v13
	ds_bpermute_b32 v13, v4, v2
	s_waitcnt lgkmcnt(0)
	v_add_f32_e32 v2, v2, v13
	ds_bpermute_b32 v13, v10, v2
	s_waitcnt lgkmcnt(0)
	v_add_f32_e32 v2, v2, v13
	ds_bpermute_b32 v13, v11, v2
	s_waitcnt lgkmcnt(0)
	v_add_f32_e32 v2, v2, v13
.LBB236_14:
	s_or_b32 exec_lo, exec_lo, s0
	ds_bpermute_b32 v13, v1, v9
	s_waitcnt lgkmcnt(0)
	s_barrier
	buffer_gl0_inv
	v_add_f32_e32 v9, v9, v13
	ds_bpermute_b32 v13, v3, v9
	s_waitcnt lgkmcnt(0)
	v_add_f32_e32 v9, v9, v13
	ds_bpermute_b32 v13, v4, v9
	s_waitcnt lgkmcnt(0)
	v_add_f32_e32 v9, v9, v13
	ds_bpermute_b32 v13, v10, v9
	s_waitcnt lgkmcnt(0)
	v_add_f32_e32 v9, v9, v13
	ds_bpermute_b32 v13, v11, v9
	s_waitcnt lgkmcnt(0)
	v_add_f32_e32 v9, v9, v13
	ds_write_b32 v12, v9
	s_waitcnt lgkmcnt(0)
	s_barrier
	buffer_gl0_inv
	s_and_saveexec_b32 s0, vcc_lo
	s_cbranch_execz .LBB236_16
; %bb.15:
	ds_read_b32 v9, v5
	s_waitcnt lgkmcnt(0)
	ds_bpermute_b32 v13, v1, v9
	s_waitcnt lgkmcnt(0)
	v_add_f32_e32 v9, v9, v13
	ds_bpermute_b32 v13, v3, v9
	s_waitcnt lgkmcnt(0)
	v_add_f32_e32 v9, v9, v13
	ds_bpermute_b32 v13, v4, v9
	s_waitcnt lgkmcnt(0)
	v_add_f32_e32 v9, v9, v13
	ds_bpermute_b32 v13, v10, v9
	s_waitcnt lgkmcnt(0)
	v_add_f32_e32 v9, v9, v13
	ds_bpermute_b32 v13, v11, v9
	s_waitcnt lgkmcnt(0)
	v_add_f32_e32 v9, v9, v13
.LBB236_16:
	s_or_b32 exec_lo, exec_lo, s0
	ds_bpermute_b32 v13, v1, v8
	s_waitcnt lgkmcnt(0)
	s_barrier
	buffer_gl0_inv
	v_add_f32_e32 v8, v8, v13
	ds_bpermute_b32 v13, v3, v8
	s_waitcnt lgkmcnt(0)
	v_add_f32_e32 v8, v8, v13
	ds_bpermute_b32 v13, v4, v8
	s_waitcnt lgkmcnt(0)
	v_add_f32_e32 v8, v8, v13
	ds_bpermute_b32 v13, v10, v8
	s_waitcnt lgkmcnt(0)
	v_add_f32_e32 v8, v8, v13
	ds_bpermute_b32 v13, v11, v8
	;; [unrolled: 43-line block ×4, first 2 shown]
	s_waitcnt lgkmcnt(0)
	v_add_f32_e32 v6, v6, v13
	ds_write_b32 v12, v6
	s_waitcnt lgkmcnt(0)
	s_barrier
	buffer_gl0_inv
	s_and_saveexec_b32 s0, vcc_lo
	s_cbranch_execz .LBB236_22
; %bb.21:
	ds_read_b32 v5, v5
	s_waitcnt lgkmcnt(0)
	ds_bpermute_b32 v1, v1, v5
	s_waitcnt lgkmcnt(0)
	v_add_f32_e32 v1, v5, v1
	ds_bpermute_b32 v3, v3, v1
	s_waitcnt lgkmcnt(0)
	v_add_f32_e32 v1, v1, v3
	;; [unrolled: 3-line block ×5, first 2 shown]
.LBB236_22:
	s_or_b32 exec_lo, exec_lo, s0
	s_barrier
	buffer_gl0_inv
	s_mov_b32 s0, exec_lo
	v_cmpx_gt_u32_e32 5, v0
	s_cbranch_execz .LBB236_24
; %bb.23:
	s_load_dwordx2 s[0:1], s[4:5], 0x38
	v_cmp_eq_u32_e32 vcc_lo, 1, v0
	v_mad_u64_u32 v[3:4], null, s18, v0, s[6:7]
	s_mul_hi_i32 s3, s22, s10
	s_mul_i32 s2, s22, s10
	v_cndmask_b32_e32 v1, v2, v9, vcc_lo
	v_cmp_eq_u32_e32 vcc_lo, 2, v0
	s_mul_i32 s4, s26, s7
	s_lshl_b64 s[2:3], s[2:3], 2
	v_ashrrev_i32_e32 v4, 31, v3
	s_ashr_i32 s5, s4, 31
	v_cndmask_b32_e32 v1, v1, v8, vcc_lo
	v_cmp_eq_u32_e32 vcc_lo, 3, v0
	v_cndmask_b32_e32 v5, v1, v7, vcc_lo
	v_lshlrev_b64 v[1:2], 2, v[3:4]
	s_waitcnt lgkmcnt(0)
	s_add_u32 s2, s0, s2
	v_cmp_eq_u32_e32 vcc_lo, 4, v0
	s_addc_u32 s3, s1, s3
	s_lshl_b64 s[0:1], s[4:5], 2
	s_add_u32 s0, s2, s0
	v_cndmask_b32_e32 v3, v5, v6, vcc_lo
	s_addc_u32 s1, s3, s1
	v_add_co_u32 v0, vcc_lo, s0, v1
	v_add_co_ci_u32_e64 v1, null, s1, v2, vcc_lo
	global_store_dword v[0:1], v3, off
.LBB236_24:
	s_endpgm
	.section	.rodata,"a",@progbits
	.p2align	6, 0x0
	.amdhsa_kernel _ZL13mul_mat_vec_fI6__halffLi5ELi160ELb0ELb0EEvPKT_PKfPKi31ggml_cuda_mm_fusion_args_devicePfi15HIP_vector_typeIjLj3EEiiiSB_iiiSB_iiii
		.amdhsa_group_segment_fixed_size 0
		.amdhsa_private_segment_fixed_size 0
		.amdhsa_kernarg_size 144
		.amdhsa_user_sgpr_count 6
		.amdhsa_user_sgpr_private_segment_buffer 1
		.amdhsa_user_sgpr_dispatch_ptr 0
		.amdhsa_user_sgpr_queue_ptr 0
		.amdhsa_user_sgpr_kernarg_segment_ptr 1
		.amdhsa_user_sgpr_dispatch_id 0
		.amdhsa_user_sgpr_flat_scratch_init 0
		.amdhsa_user_sgpr_private_segment_size 0
		.amdhsa_wavefront_size32 1
		.amdhsa_uses_dynamic_stack 0
		.amdhsa_system_sgpr_private_segment_wavefront_offset 0
		.amdhsa_system_sgpr_workgroup_id_x 1
		.amdhsa_system_sgpr_workgroup_id_y 1
		.amdhsa_system_sgpr_workgroup_id_z 1
		.amdhsa_system_sgpr_workgroup_info 0
		.amdhsa_system_vgpr_workitem_id 0
		.amdhsa_next_free_vgpr 23
		.amdhsa_next_free_sgpr 36
		.amdhsa_reserve_vcc 1
		.amdhsa_reserve_flat_scratch 0
		.amdhsa_float_round_mode_32 0
		.amdhsa_float_round_mode_16_64 0
		.amdhsa_float_denorm_mode_32 3
		.amdhsa_float_denorm_mode_16_64 3
		.amdhsa_dx10_clamp 1
		.amdhsa_ieee_mode 1
		.amdhsa_fp16_overflow 0
		.amdhsa_workgroup_processor_mode 1
		.amdhsa_memory_ordered 1
		.amdhsa_forward_progress 1
		.amdhsa_shared_vgpr_count 0
		.amdhsa_exception_fp_ieee_invalid_op 0
		.amdhsa_exception_fp_denorm_src 0
		.amdhsa_exception_fp_ieee_div_zero 0
		.amdhsa_exception_fp_ieee_overflow 0
		.amdhsa_exception_fp_ieee_underflow 0
		.amdhsa_exception_fp_ieee_inexact 0
		.amdhsa_exception_int_div_zero 0
	.end_amdhsa_kernel
	.section	.text._ZL13mul_mat_vec_fI6__halffLi5ELi160ELb0ELb0EEvPKT_PKfPKi31ggml_cuda_mm_fusion_args_devicePfi15HIP_vector_typeIjLj3EEiiiSB_iiiSB_iiii,"axG",@progbits,_ZL13mul_mat_vec_fI6__halffLi5ELi160ELb0ELb0EEvPKT_PKfPKi31ggml_cuda_mm_fusion_args_devicePfi15HIP_vector_typeIjLj3EEiiiSB_iiiSB_iiii,comdat
.Lfunc_end236:
	.size	_ZL13mul_mat_vec_fI6__halffLi5ELi160ELb0ELb0EEvPKT_PKfPKi31ggml_cuda_mm_fusion_args_devicePfi15HIP_vector_typeIjLj3EEiiiSB_iiiSB_iiii, .Lfunc_end236-_ZL13mul_mat_vec_fI6__halffLi5ELi160ELb0ELb0EEvPKT_PKfPKi31ggml_cuda_mm_fusion_args_devicePfi15HIP_vector_typeIjLj3EEiiiSB_iiiSB_iiii
                                        ; -- End function
	.set _ZL13mul_mat_vec_fI6__halffLi5ELi160ELb0ELb0EEvPKT_PKfPKi31ggml_cuda_mm_fusion_args_devicePfi15HIP_vector_typeIjLj3EEiiiSB_iiiSB_iiii.num_vgpr, 23
	.set _ZL13mul_mat_vec_fI6__halffLi5ELi160ELb0ELb0EEvPKT_PKfPKi31ggml_cuda_mm_fusion_args_devicePfi15HIP_vector_typeIjLj3EEiiiSB_iiiSB_iiii.num_agpr, 0
	.set _ZL13mul_mat_vec_fI6__halffLi5ELi160ELb0ELb0EEvPKT_PKfPKi31ggml_cuda_mm_fusion_args_devicePfi15HIP_vector_typeIjLj3EEiiiSB_iiiSB_iiii.numbered_sgpr, 36
	.set _ZL13mul_mat_vec_fI6__halffLi5ELi160ELb0ELb0EEvPKT_PKfPKi31ggml_cuda_mm_fusion_args_devicePfi15HIP_vector_typeIjLj3EEiiiSB_iiiSB_iiii.num_named_barrier, 0
	.set _ZL13mul_mat_vec_fI6__halffLi5ELi160ELb0ELb0EEvPKT_PKfPKi31ggml_cuda_mm_fusion_args_devicePfi15HIP_vector_typeIjLj3EEiiiSB_iiiSB_iiii.private_seg_size, 0
	.set _ZL13mul_mat_vec_fI6__halffLi5ELi160ELb0ELb0EEvPKT_PKfPKi31ggml_cuda_mm_fusion_args_devicePfi15HIP_vector_typeIjLj3EEiiiSB_iiiSB_iiii.uses_vcc, 1
	.set _ZL13mul_mat_vec_fI6__halffLi5ELi160ELb0ELb0EEvPKT_PKfPKi31ggml_cuda_mm_fusion_args_devicePfi15HIP_vector_typeIjLj3EEiiiSB_iiiSB_iiii.uses_flat_scratch, 0
	.set _ZL13mul_mat_vec_fI6__halffLi5ELi160ELb0ELb0EEvPKT_PKfPKi31ggml_cuda_mm_fusion_args_devicePfi15HIP_vector_typeIjLj3EEiiiSB_iiiSB_iiii.has_dyn_sized_stack, 0
	.set _ZL13mul_mat_vec_fI6__halffLi5ELi160ELb0ELb0EEvPKT_PKfPKi31ggml_cuda_mm_fusion_args_devicePfi15HIP_vector_typeIjLj3EEiiiSB_iiiSB_iiii.has_recursion, 0
	.set _ZL13mul_mat_vec_fI6__halffLi5ELi160ELb0ELb0EEvPKT_PKfPKi31ggml_cuda_mm_fusion_args_devicePfi15HIP_vector_typeIjLj3EEiiiSB_iiiSB_iiii.has_indirect_call, 0
	.section	.AMDGPU.csdata,"",@progbits
; Kernel info:
; codeLenInByte = 2240
; TotalNumSgprs: 38
; NumVgprs: 23
; ScratchSize: 0
; MemoryBound: 0
; FloatMode: 240
; IeeeMode: 1
; LDSByteSize: 0 bytes/workgroup (compile time only)
; SGPRBlocks: 0
; VGPRBlocks: 2
; NumSGPRsForWavesPerEU: 38
; NumVGPRsForWavesPerEU: 23
; Occupancy: 16
; WaveLimiterHint : 0
; COMPUTE_PGM_RSRC2:SCRATCH_EN: 0
; COMPUTE_PGM_RSRC2:USER_SGPR: 6
; COMPUTE_PGM_RSRC2:TRAP_HANDLER: 0
; COMPUTE_PGM_RSRC2:TGID_X_EN: 1
; COMPUTE_PGM_RSRC2:TGID_Y_EN: 1
; COMPUTE_PGM_RSRC2:TGID_Z_EN: 1
; COMPUTE_PGM_RSRC2:TIDIG_COMP_CNT: 0
	.section	.text._ZL13mul_mat_vec_fI6__halffLi5ELi192ELb0ELb0EEvPKT_PKfPKi31ggml_cuda_mm_fusion_args_devicePfi15HIP_vector_typeIjLj3EEiiiSB_iiiSB_iiii,"axG",@progbits,_ZL13mul_mat_vec_fI6__halffLi5ELi192ELb0ELb0EEvPKT_PKfPKi31ggml_cuda_mm_fusion_args_devicePfi15HIP_vector_typeIjLj3EEiiiSB_iiiSB_iiii,comdat
	.globl	_ZL13mul_mat_vec_fI6__halffLi5ELi192ELb0ELb0EEvPKT_PKfPKi31ggml_cuda_mm_fusion_args_devicePfi15HIP_vector_typeIjLj3EEiiiSB_iiiSB_iiii ; -- Begin function _ZL13mul_mat_vec_fI6__halffLi5ELi192ELb0ELb0EEvPKT_PKfPKi31ggml_cuda_mm_fusion_args_devicePfi15HIP_vector_typeIjLj3EEiiiSB_iiiSB_iiii
	.p2align	8
	.type	_ZL13mul_mat_vec_fI6__halffLi5ELi192ELb0ELb0EEvPKT_PKfPKi31ggml_cuda_mm_fusion_args_devicePfi15HIP_vector_typeIjLj3EEiiiSB_iiiSB_iiii,@function
_ZL13mul_mat_vec_fI6__halffLi5ELi192ELb0ELb0EEvPKT_PKfPKi31ggml_cuda_mm_fusion_args_devicePfi15HIP_vector_typeIjLj3EEiiiSB_iiiSB_iiii: ; @_ZL13mul_mat_vec_fI6__halffLi5ELi192ELb0ELb0EEvPKT_PKfPKi31ggml_cuda_mm_fusion_args_devicePfi15HIP_vector_typeIjLj3EEiiiSB_iiiSB_iiii
; %bb.0:
	s_clause 0x2
	s_load_dwordx2 s[0:1], s[4:5], 0x10
	s_load_dwordx8 s[12:19], s[4:5], 0x40
	s_load_dwordx4 s[20:23], s[4:5], 0x80
	s_waitcnt lgkmcnt(0)
	s_cmp_eq_u64 s[0:1], 0
	s_cselect_b32 s10, -1, 0
	s_cmp_lg_u64 s[0:1], 0
	s_cselect_b32 s11, -1, 0
	s_and_b32 vcc_lo, exec_lo, s10
	s_cbranch_vccnz .LBB237_2
; %bb.1:
	s_mul_i32 s2, s23, s8
	s_mov_b32 s3, 0
	s_add_i32 s2, s2, s7
	s_lshl_b64 s[24:25], s[2:3], 2
	s_add_u32 s0, s0, s24
	s_addc_u32 s1, s1, s25
	s_load_dword s9, s[0:1], 0x0
	s_cbranch_execz .LBB237_3
	s_branch .LBB237_4
.LBB237_2:
                                        ; implicit-def: $sgpr9
.LBB237_3:
	s_load_dwordx2 s[0:1], s[4:5], 0x5c
	s_waitcnt lgkmcnt(0)
	s_mul_hi_u32 s0, s0, s7
	s_add_i32 s0, s7, s0
	s_lshr_b32 s9, s0, s1
.LBB237_4:
	s_load_dwordx4 s[24:27], s[4:5], 0x68
	s_andn2_b32 vcc_lo, exec_lo, s11
	s_mov_b32 s19, s7
	s_cbranch_vccnz .LBB237_6
; %bb.5:
	s_mul_hi_u32 s0, s13, s7
	s_add_i32 s0, s7, s0
	s_lshr_b32 s0, s0, s14
	s_mul_i32 s0, s0, s15
	s_sub_i32 s19, s7, s0
.LBB237_6:
	s_load_dword s14, s[4:5], 0x78
	v_cmp_gt_u32_e32 vcc_lo, 32, v0
	v_lshl_add_u32 v5, v0, 2, 0
	s_and_saveexec_b32 s0, vcc_lo
; %bb.7:
	v_mov_b32_e32 v1, 0
	ds_write_b32 v5, v1
; %bb.8:
	s_or_b32 exec_lo, exec_lo, s0
	v_mov_b32_e32 v6, 0
	v_mov_b32_e32 v7, 0
	;; [unrolled: 1-line block ×5, first 2 shown]
	s_and_b32 s0, exec_lo, s10
	s_mov_b32 s11, 0
	s_cselect_b32 s10, s8, 0
	s_mov_b32 s13, exec_lo
	s_waitcnt lgkmcnt(0)
	s_barrier
	buffer_gl0_inv
	v_cmpx_gt_i32_e64 s12, v0
	s_cbranch_execz .LBB237_12
; %bb.9:
	s_load_dwordx4 s[0:3], s[4:5], 0x0
	s_mul_hi_u32 s15, s27, s10
	s_mul_hi_i32 s29, s21, s10
	s_mul_i32 s28, s21, s10
	s_mul_i32 s8, s9, s24
	;; [unrolled: 1-line block ×4, first 2 shown]
	s_add_i32 s15, s10, s15
	s_lshl_b64 s[28:29], s[28:29], 2
	s_ashr_i32 s9, s8, 31
	s_ashr_i32 s25, s24, 31
	;; [unrolled: 1-line block ×3, first 2 shown]
	s_lshr_b32 s14, s15, s14
	s_mov_b32 s34, s17
	s_mul_hi_i32 s21, s14, s20
	s_mul_i32 s20, s14, s20
	v_lshlrev_b32_e32 v2, 3, v0
	v_lshlrev_b32_e32 v1, 2, v0
	v_mov_b32_e32 v10, 0
	v_mov_b32_e32 v11, v0
	s_waitcnt lgkmcnt(0)
	s_add_u32 s15, s2, s28
	s_addc_u32 s16, s3, s29
	s_lshl_b64 s[30:31], s[30:31], 2
	v_mov_b32_e32 v9, 0
	s_add_u32 s14, s15, s30
	s_addc_u32 s15, s16, s31
	s_lshl_b64 s[8:9], s[8:9], 1
	s_ashr_i32 s35, s17, 31
	s_add_i32 s16, s17, s17
	s_lshl_b32 s19, s17, 2
	s_lshl_b64 s[20:21], s[20:21], 1
	s_lshl_b64 s[24:25], s[24:25], 1
	s_add_u32 s0, s0, s8
	s_addc_u32 s1, s1, s9
	s_add_u32 s0, s0, s24
	s_addc_u32 s1, s1, s25
	;; [unrolled: 2-line block ×3, first 2 shown]
	s_lshl_b64 s[8:9], s[34:35], 3
	s_add_u32 s2, s2, s30
	s_addc_u32 s3, s3, s31
	s_add_u32 s2, s2, s28
	s_addc_u32 s3, s3, s29
	v_add_co_u32 v3, s2, s2, v2
	v_add_co_ci_u32_e64 v4, null, s3, 0, s2
	v_add_co_u32 v1, s0, s0, v1
	v_add_co_ci_u32_e64 v2, null, s1, 0, s0
	;; [unrolled: 2-line block ×3, first 2 shown]
	v_mov_b32_e32 v8, 0
	v_mov_b32_e32 v7, 0
	;; [unrolled: 1-line block ×3, first 2 shown]
	s_mul_i32 s1, s17, 3
.LBB237_10:                             ; =>This Inner Loop Header: Depth=1
	v_add_nc_u32_e32 v12, s16, v11
	v_add_nc_u32_e32 v16, s1, v11
	;; [unrolled: 1-line block ×3, first 2 shown]
	v_add_co_u32 v14, s0, v3, s8
	v_ashrrev_i32_e32 v13, 31, v12
	v_ashrrev_i32_e32 v17, 31, v16
	;; [unrolled: 1-line block ×3, first 2 shown]
	v_add_co_ci_u32_e64 v15, null, s9, v4, s0
	v_lshlrev_b64 v[12:13], 3, v[12:13]
	v_lshlrev_b64 v[16:17], 3, v[16:17]
	;; [unrolled: 1-line block ×3, first 2 shown]
	global_load_dword v22, v[1:2], off
	v_add_nc_u32_e32 v11, 0xc0, v11
	v_add_co_u32 v12, s0, s14, v12
	v_add_co_ci_u32_e64 v13, null, s15, v13, s0
	v_add_co_u32 v16, s0, s14, v16
	v_add_co_ci_u32_e64 v17, null, s15, v17, s0
	;; [unrolled: 2-line block ×3, first 2 shown]
	s_clause 0x1
	global_load_dwordx2 v[20:21], v[3:4], off offset:-4
	global_load_dwordx2 v[14:15], v[14:15], off offset:-4
	s_clause 0x2
	global_load_dwordx2 v[12:13], v[12:13], off
	global_load_dwordx2 v[16:17], v[16:17], off
	;; [unrolled: 1-line block ×3, first 2 shown]
	v_add_co_u32 v1, s0, 0x300, v1
	v_add_co_ci_u32_e64 v2, null, 0, v2, s0
	v_add_co_u32 v3, s0, 0x600, v3
	v_add_co_ci_u32_e64 v4, null, 0, v4, s0
	v_cmp_le_i32_e64 s0, s12, v11
	s_or_b32 s11, s0, s11
	s_waitcnt vmcnt(4)
	v_fma_mix_f32 v10, v20, v22, v10 op_sel_hi:[0,1,0]
	s_waitcnt vmcnt(3)
	v_fma_mix_f32 v9, v14, v22, v9 op_sel_hi:[0,1,0]
	;; [unrolled: 2-line block ×5, first 2 shown]
	v_fma_mix_f32 v10, v21, v22, v10 op_sel:[0,1,0] op_sel_hi:[0,1,0]
	v_fma_mix_f32 v9, v15, v22, v9 op_sel:[0,1,0] op_sel_hi:[0,1,0]
	;; [unrolled: 1-line block ×5, first 2 shown]
	s_andn2_b32 exec_lo, exec_lo, s11
	s_cbranch_execnz .LBB237_10
; %bb.11:
	s_or_b32 exec_lo, exec_lo, s11
.LBB237_12:
	s_or_b32 exec_lo, exec_lo, s13
	v_mbcnt_lo_u32_b32 v2, -1, 0
	v_xor_b32_e32 v1, 16, v2
	v_xor_b32_e32 v3, 8, v2
	v_cmp_gt_i32_e64 s0, 32, v1
	v_cndmask_b32_e64 v1, v2, v1, s0
	v_cmp_gt_i32_e64 s0, 32, v3
	v_lshlrev_b32_e32 v1, 2, v1
	v_cndmask_b32_e64 v3, v2, v3, s0
	ds_bpermute_b32 v4, v1, v10
	v_lshlrev_b32_e32 v3, 2, v3
	s_waitcnt lgkmcnt(0)
	v_add_f32_e32 v10, v10, v4
	v_xor_b32_e32 v4, 4, v2
	ds_bpermute_b32 v11, v3, v10
	v_cmp_gt_i32_e64 s0, 32, v4
	v_cndmask_b32_e64 v4, v2, v4, s0
	v_lshlrev_b32_e32 v4, 2, v4
	s_waitcnt lgkmcnt(0)
	v_add_f32_e32 v11, v10, v11
	v_xor_b32_e32 v10, 2, v2
	ds_bpermute_b32 v12, v4, v11
	v_cmp_gt_i32_e64 s0, 32, v10
	v_cndmask_b32_e64 v10, v2, v10, s0
	v_lshlrev_b32_e32 v10, 2, v10
	s_waitcnt lgkmcnt(0)
	v_add_f32_e32 v12, v11, v12
	v_xor_b32_e32 v11, 1, v2
	ds_bpermute_b32 v13, v10, v12
	v_cmp_gt_i32_e64 s0, 32, v11
	v_cndmask_b32_e64 v2, v2, v11, s0
	v_lshlrev_b32_e32 v11, 2, v2
	s_waitcnt lgkmcnt(0)
	v_add_f32_e32 v2, v12, v13
	v_lshrrev_b32_e32 v12, 3, v0
	ds_bpermute_b32 v13, v11, v2
	v_and_b32_e32 v12, 0x7c, v12
	v_add_nc_u32_e32 v12, 0, v12
	s_waitcnt lgkmcnt(0)
	v_add_f32_e32 v2, v2, v13
	ds_write_b32 v12, v2
	s_waitcnt lgkmcnt(0)
	s_barrier
	buffer_gl0_inv
	s_and_saveexec_b32 s0, vcc_lo
	s_cbranch_execz .LBB237_14
; %bb.13:
	ds_read_b32 v2, v5
	s_waitcnt lgkmcnt(0)
	ds_bpermute_b32 v13, v1, v2
	s_waitcnt lgkmcnt(0)
	v_add_f32_e32 v2, v2, v13
	ds_bpermute_b32 v13, v3, v2
	s_waitcnt lgkmcnt(0)
	v_add_f32_e32 v2, v2, v13
	ds_bpermute_b32 v13, v4, v2
	s_waitcnt lgkmcnt(0)
	v_add_f32_e32 v2, v2, v13
	ds_bpermute_b32 v13, v10, v2
	s_waitcnt lgkmcnt(0)
	v_add_f32_e32 v2, v2, v13
	ds_bpermute_b32 v13, v11, v2
	s_waitcnt lgkmcnt(0)
	v_add_f32_e32 v2, v2, v13
.LBB237_14:
	s_or_b32 exec_lo, exec_lo, s0
	ds_bpermute_b32 v13, v1, v9
	s_waitcnt lgkmcnt(0)
	s_barrier
	buffer_gl0_inv
	v_add_f32_e32 v9, v9, v13
	ds_bpermute_b32 v13, v3, v9
	s_waitcnt lgkmcnt(0)
	v_add_f32_e32 v9, v9, v13
	ds_bpermute_b32 v13, v4, v9
	s_waitcnt lgkmcnt(0)
	v_add_f32_e32 v9, v9, v13
	ds_bpermute_b32 v13, v10, v9
	s_waitcnt lgkmcnt(0)
	v_add_f32_e32 v9, v9, v13
	ds_bpermute_b32 v13, v11, v9
	s_waitcnt lgkmcnt(0)
	v_add_f32_e32 v9, v9, v13
	ds_write_b32 v12, v9
	s_waitcnt lgkmcnt(0)
	s_barrier
	buffer_gl0_inv
	s_and_saveexec_b32 s0, vcc_lo
	s_cbranch_execz .LBB237_16
; %bb.15:
	ds_read_b32 v9, v5
	s_waitcnt lgkmcnt(0)
	ds_bpermute_b32 v13, v1, v9
	s_waitcnt lgkmcnt(0)
	v_add_f32_e32 v9, v9, v13
	ds_bpermute_b32 v13, v3, v9
	s_waitcnt lgkmcnt(0)
	v_add_f32_e32 v9, v9, v13
	ds_bpermute_b32 v13, v4, v9
	s_waitcnt lgkmcnt(0)
	v_add_f32_e32 v9, v9, v13
	ds_bpermute_b32 v13, v10, v9
	s_waitcnt lgkmcnt(0)
	v_add_f32_e32 v9, v9, v13
	ds_bpermute_b32 v13, v11, v9
	s_waitcnt lgkmcnt(0)
	v_add_f32_e32 v9, v9, v13
.LBB237_16:
	s_or_b32 exec_lo, exec_lo, s0
	ds_bpermute_b32 v13, v1, v8
	s_waitcnt lgkmcnt(0)
	s_barrier
	buffer_gl0_inv
	v_add_f32_e32 v8, v8, v13
	ds_bpermute_b32 v13, v3, v8
	s_waitcnt lgkmcnt(0)
	v_add_f32_e32 v8, v8, v13
	ds_bpermute_b32 v13, v4, v8
	s_waitcnt lgkmcnt(0)
	v_add_f32_e32 v8, v8, v13
	ds_bpermute_b32 v13, v10, v8
	s_waitcnt lgkmcnt(0)
	v_add_f32_e32 v8, v8, v13
	ds_bpermute_b32 v13, v11, v8
	;; [unrolled: 43-line block ×4, first 2 shown]
	s_waitcnt lgkmcnt(0)
	v_add_f32_e32 v6, v6, v13
	ds_write_b32 v12, v6
	s_waitcnt lgkmcnt(0)
	s_barrier
	buffer_gl0_inv
	s_and_saveexec_b32 s0, vcc_lo
	s_cbranch_execz .LBB237_22
; %bb.21:
	ds_read_b32 v5, v5
	s_waitcnt lgkmcnt(0)
	ds_bpermute_b32 v1, v1, v5
	s_waitcnt lgkmcnt(0)
	v_add_f32_e32 v1, v5, v1
	ds_bpermute_b32 v3, v3, v1
	s_waitcnt lgkmcnt(0)
	v_add_f32_e32 v1, v1, v3
	;; [unrolled: 3-line block ×5, first 2 shown]
.LBB237_22:
	s_or_b32 exec_lo, exec_lo, s0
	s_barrier
	buffer_gl0_inv
	s_mov_b32 s0, exec_lo
	v_cmpx_gt_u32_e32 5, v0
	s_cbranch_execz .LBB237_24
; %bb.23:
	s_load_dwordx2 s[0:1], s[4:5], 0x38
	v_cmp_eq_u32_e32 vcc_lo, 1, v0
	v_mad_u64_u32 v[3:4], null, s18, v0, s[6:7]
	s_mul_hi_i32 s3, s22, s10
	s_mul_i32 s2, s22, s10
	v_cndmask_b32_e32 v1, v2, v9, vcc_lo
	v_cmp_eq_u32_e32 vcc_lo, 2, v0
	s_mul_i32 s4, s26, s7
	s_lshl_b64 s[2:3], s[2:3], 2
	v_ashrrev_i32_e32 v4, 31, v3
	s_ashr_i32 s5, s4, 31
	v_cndmask_b32_e32 v1, v1, v8, vcc_lo
	v_cmp_eq_u32_e32 vcc_lo, 3, v0
	v_cndmask_b32_e32 v5, v1, v7, vcc_lo
	v_lshlrev_b64 v[1:2], 2, v[3:4]
	s_waitcnt lgkmcnt(0)
	s_add_u32 s2, s0, s2
	v_cmp_eq_u32_e32 vcc_lo, 4, v0
	s_addc_u32 s3, s1, s3
	s_lshl_b64 s[0:1], s[4:5], 2
	s_add_u32 s0, s2, s0
	v_cndmask_b32_e32 v3, v5, v6, vcc_lo
	s_addc_u32 s1, s3, s1
	v_add_co_u32 v0, vcc_lo, s0, v1
	v_add_co_ci_u32_e64 v1, null, s1, v2, vcc_lo
	global_store_dword v[0:1], v3, off
.LBB237_24:
	s_endpgm
	.section	.rodata,"a",@progbits
	.p2align	6, 0x0
	.amdhsa_kernel _ZL13mul_mat_vec_fI6__halffLi5ELi192ELb0ELb0EEvPKT_PKfPKi31ggml_cuda_mm_fusion_args_devicePfi15HIP_vector_typeIjLj3EEiiiSB_iiiSB_iiii
		.amdhsa_group_segment_fixed_size 0
		.amdhsa_private_segment_fixed_size 0
		.amdhsa_kernarg_size 144
		.amdhsa_user_sgpr_count 6
		.amdhsa_user_sgpr_private_segment_buffer 1
		.amdhsa_user_sgpr_dispatch_ptr 0
		.amdhsa_user_sgpr_queue_ptr 0
		.amdhsa_user_sgpr_kernarg_segment_ptr 1
		.amdhsa_user_sgpr_dispatch_id 0
		.amdhsa_user_sgpr_flat_scratch_init 0
		.amdhsa_user_sgpr_private_segment_size 0
		.amdhsa_wavefront_size32 1
		.amdhsa_uses_dynamic_stack 0
		.amdhsa_system_sgpr_private_segment_wavefront_offset 0
		.amdhsa_system_sgpr_workgroup_id_x 1
		.amdhsa_system_sgpr_workgroup_id_y 1
		.amdhsa_system_sgpr_workgroup_id_z 1
		.amdhsa_system_sgpr_workgroup_info 0
		.amdhsa_system_vgpr_workitem_id 0
		.amdhsa_next_free_vgpr 23
		.amdhsa_next_free_sgpr 36
		.amdhsa_reserve_vcc 1
		.amdhsa_reserve_flat_scratch 0
		.amdhsa_float_round_mode_32 0
		.amdhsa_float_round_mode_16_64 0
		.amdhsa_float_denorm_mode_32 3
		.amdhsa_float_denorm_mode_16_64 3
		.amdhsa_dx10_clamp 1
		.amdhsa_ieee_mode 1
		.amdhsa_fp16_overflow 0
		.amdhsa_workgroup_processor_mode 1
		.amdhsa_memory_ordered 1
		.amdhsa_forward_progress 1
		.amdhsa_shared_vgpr_count 0
		.amdhsa_exception_fp_ieee_invalid_op 0
		.amdhsa_exception_fp_denorm_src 0
		.amdhsa_exception_fp_ieee_div_zero 0
		.amdhsa_exception_fp_ieee_overflow 0
		.amdhsa_exception_fp_ieee_underflow 0
		.amdhsa_exception_fp_ieee_inexact 0
		.amdhsa_exception_int_div_zero 0
	.end_amdhsa_kernel
	.section	.text._ZL13mul_mat_vec_fI6__halffLi5ELi192ELb0ELb0EEvPKT_PKfPKi31ggml_cuda_mm_fusion_args_devicePfi15HIP_vector_typeIjLj3EEiiiSB_iiiSB_iiii,"axG",@progbits,_ZL13mul_mat_vec_fI6__halffLi5ELi192ELb0ELb0EEvPKT_PKfPKi31ggml_cuda_mm_fusion_args_devicePfi15HIP_vector_typeIjLj3EEiiiSB_iiiSB_iiii,comdat
.Lfunc_end237:
	.size	_ZL13mul_mat_vec_fI6__halffLi5ELi192ELb0ELb0EEvPKT_PKfPKi31ggml_cuda_mm_fusion_args_devicePfi15HIP_vector_typeIjLj3EEiiiSB_iiiSB_iiii, .Lfunc_end237-_ZL13mul_mat_vec_fI6__halffLi5ELi192ELb0ELb0EEvPKT_PKfPKi31ggml_cuda_mm_fusion_args_devicePfi15HIP_vector_typeIjLj3EEiiiSB_iiiSB_iiii
                                        ; -- End function
	.set _ZL13mul_mat_vec_fI6__halffLi5ELi192ELb0ELb0EEvPKT_PKfPKi31ggml_cuda_mm_fusion_args_devicePfi15HIP_vector_typeIjLj3EEiiiSB_iiiSB_iiii.num_vgpr, 23
	.set _ZL13mul_mat_vec_fI6__halffLi5ELi192ELb0ELb0EEvPKT_PKfPKi31ggml_cuda_mm_fusion_args_devicePfi15HIP_vector_typeIjLj3EEiiiSB_iiiSB_iiii.num_agpr, 0
	.set _ZL13mul_mat_vec_fI6__halffLi5ELi192ELb0ELb0EEvPKT_PKfPKi31ggml_cuda_mm_fusion_args_devicePfi15HIP_vector_typeIjLj3EEiiiSB_iiiSB_iiii.numbered_sgpr, 36
	.set _ZL13mul_mat_vec_fI6__halffLi5ELi192ELb0ELb0EEvPKT_PKfPKi31ggml_cuda_mm_fusion_args_devicePfi15HIP_vector_typeIjLj3EEiiiSB_iiiSB_iiii.num_named_barrier, 0
	.set _ZL13mul_mat_vec_fI6__halffLi5ELi192ELb0ELb0EEvPKT_PKfPKi31ggml_cuda_mm_fusion_args_devicePfi15HIP_vector_typeIjLj3EEiiiSB_iiiSB_iiii.private_seg_size, 0
	.set _ZL13mul_mat_vec_fI6__halffLi5ELi192ELb0ELb0EEvPKT_PKfPKi31ggml_cuda_mm_fusion_args_devicePfi15HIP_vector_typeIjLj3EEiiiSB_iiiSB_iiii.uses_vcc, 1
	.set _ZL13mul_mat_vec_fI6__halffLi5ELi192ELb0ELb0EEvPKT_PKfPKi31ggml_cuda_mm_fusion_args_devicePfi15HIP_vector_typeIjLj3EEiiiSB_iiiSB_iiii.uses_flat_scratch, 0
	.set _ZL13mul_mat_vec_fI6__halffLi5ELi192ELb0ELb0EEvPKT_PKfPKi31ggml_cuda_mm_fusion_args_devicePfi15HIP_vector_typeIjLj3EEiiiSB_iiiSB_iiii.has_dyn_sized_stack, 0
	.set _ZL13mul_mat_vec_fI6__halffLi5ELi192ELb0ELb0EEvPKT_PKfPKi31ggml_cuda_mm_fusion_args_devicePfi15HIP_vector_typeIjLj3EEiiiSB_iiiSB_iiii.has_recursion, 0
	.set _ZL13mul_mat_vec_fI6__halffLi5ELi192ELb0ELb0EEvPKT_PKfPKi31ggml_cuda_mm_fusion_args_devicePfi15HIP_vector_typeIjLj3EEiiiSB_iiiSB_iiii.has_indirect_call, 0
	.section	.AMDGPU.csdata,"",@progbits
; Kernel info:
; codeLenInByte = 2240
; TotalNumSgprs: 38
; NumVgprs: 23
; ScratchSize: 0
; MemoryBound: 0
; FloatMode: 240
; IeeeMode: 1
; LDSByteSize: 0 bytes/workgroup (compile time only)
; SGPRBlocks: 0
; VGPRBlocks: 2
; NumSGPRsForWavesPerEU: 38
; NumVGPRsForWavesPerEU: 23
; Occupancy: 16
; WaveLimiterHint : 0
; COMPUTE_PGM_RSRC2:SCRATCH_EN: 0
; COMPUTE_PGM_RSRC2:USER_SGPR: 6
; COMPUTE_PGM_RSRC2:TRAP_HANDLER: 0
; COMPUTE_PGM_RSRC2:TGID_X_EN: 1
; COMPUTE_PGM_RSRC2:TGID_Y_EN: 1
; COMPUTE_PGM_RSRC2:TGID_Z_EN: 1
; COMPUTE_PGM_RSRC2:TIDIG_COMP_CNT: 0
	.section	.text._ZL13mul_mat_vec_fI6__halffLi5ELi224ELb0ELb0EEvPKT_PKfPKi31ggml_cuda_mm_fusion_args_devicePfi15HIP_vector_typeIjLj3EEiiiSB_iiiSB_iiii,"axG",@progbits,_ZL13mul_mat_vec_fI6__halffLi5ELi224ELb0ELb0EEvPKT_PKfPKi31ggml_cuda_mm_fusion_args_devicePfi15HIP_vector_typeIjLj3EEiiiSB_iiiSB_iiii,comdat
	.globl	_ZL13mul_mat_vec_fI6__halffLi5ELi224ELb0ELb0EEvPKT_PKfPKi31ggml_cuda_mm_fusion_args_devicePfi15HIP_vector_typeIjLj3EEiiiSB_iiiSB_iiii ; -- Begin function _ZL13mul_mat_vec_fI6__halffLi5ELi224ELb0ELb0EEvPKT_PKfPKi31ggml_cuda_mm_fusion_args_devicePfi15HIP_vector_typeIjLj3EEiiiSB_iiiSB_iiii
	.p2align	8
	.type	_ZL13mul_mat_vec_fI6__halffLi5ELi224ELb0ELb0EEvPKT_PKfPKi31ggml_cuda_mm_fusion_args_devicePfi15HIP_vector_typeIjLj3EEiiiSB_iiiSB_iiii,@function
_ZL13mul_mat_vec_fI6__halffLi5ELi224ELb0ELb0EEvPKT_PKfPKi31ggml_cuda_mm_fusion_args_devicePfi15HIP_vector_typeIjLj3EEiiiSB_iiiSB_iiii: ; @_ZL13mul_mat_vec_fI6__halffLi5ELi224ELb0ELb0EEvPKT_PKfPKi31ggml_cuda_mm_fusion_args_devicePfi15HIP_vector_typeIjLj3EEiiiSB_iiiSB_iiii
; %bb.0:
	s_clause 0x2
	s_load_dwordx2 s[0:1], s[4:5], 0x10
	s_load_dwordx8 s[12:19], s[4:5], 0x40
	s_load_dwordx4 s[20:23], s[4:5], 0x80
	s_waitcnt lgkmcnt(0)
	s_cmp_eq_u64 s[0:1], 0
	s_cselect_b32 s10, -1, 0
	s_cmp_lg_u64 s[0:1], 0
	s_cselect_b32 s11, -1, 0
	s_and_b32 vcc_lo, exec_lo, s10
	s_cbranch_vccnz .LBB238_2
; %bb.1:
	s_mul_i32 s2, s23, s8
	s_mov_b32 s3, 0
	s_add_i32 s2, s2, s7
	s_lshl_b64 s[24:25], s[2:3], 2
	s_add_u32 s0, s0, s24
	s_addc_u32 s1, s1, s25
	s_load_dword s9, s[0:1], 0x0
	s_cbranch_execz .LBB238_3
	s_branch .LBB238_4
.LBB238_2:
                                        ; implicit-def: $sgpr9
.LBB238_3:
	s_load_dwordx2 s[0:1], s[4:5], 0x5c
	s_waitcnt lgkmcnt(0)
	s_mul_hi_u32 s0, s0, s7
	s_add_i32 s0, s7, s0
	s_lshr_b32 s9, s0, s1
.LBB238_4:
	s_load_dwordx4 s[24:27], s[4:5], 0x68
	s_andn2_b32 vcc_lo, exec_lo, s11
	s_mov_b32 s19, s7
	s_cbranch_vccnz .LBB238_6
; %bb.5:
	s_mul_hi_u32 s0, s13, s7
	s_add_i32 s0, s7, s0
	s_lshr_b32 s0, s0, s14
	s_mul_i32 s0, s0, s15
	s_sub_i32 s19, s7, s0
.LBB238_6:
	s_load_dword s14, s[4:5], 0x78
	v_cmp_gt_u32_e32 vcc_lo, 32, v0
	v_lshl_add_u32 v5, v0, 2, 0
	s_and_saveexec_b32 s0, vcc_lo
; %bb.7:
	v_mov_b32_e32 v1, 0
	ds_write_b32 v5, v1
; %bb.8:
	s_or_b32 exec_lo, exec_lo, s0
	v_mov_b32_e32 v6, 0
	v_mov_b32_e32 v7, 0
	;; [unrolled: 1-line block ×5, first 2 shown]
	s_and_b32 s0, exec_lo, s10
	s_mov_b32 s11, 0
	s_cselect_b32 s10, s8, 0
	s_mov_b32 s13, exec_lo
	s_waitcnt lgkmcnt(0)
	s_barrier
	buffer_gl0_inv
	v_cmpx_gt_i32_e64 s12, v0
	s_cbranch_execz .LBB238_12
; %bb.9:
	s_load_dwordx4 s[0:3], s[4:5], 0x0
	s_mul_hi_u32 s15, s27, s10
	s_mul_hi_i32 s29, s21, s10
	s_mul_i32 s28, s21, s10
	s_mul_i32 s8, s9, s24
	;; [unrolled: 1-line block ×4, first 2 shown]
	s_add_i32 s15, s10, s15
	s_lshl_b64 s[28:29], s[28:29], 2
	s_ashr_i32 s9, s8, 31
	s_ashr_i32 s25, s24, 31
	;; [unrolled: 1-line block ×3, first 2 shown]
	s_lshr_b32 s14, s15, s14
	s_mov_b32 s34, s17
	s_mul_hi_i32 s21, s14, s20
	s_mul_i32 s20, s14, s20
	v_lshlrev_b32_e32 v2, 3, v0
	v_lshlrev_b32_e32 v1, 2, v0
	v_mov_b32_e32 v10, 0
	v_mov_b32_e32 v11, v0
	s_waitcnt lgkmcnt(0)
	s_add_u32 s15, s2, s28
	s_addc_u32 s16, s3, s29
	s_lshl_b64 s[30:31], s[30:31], 2
	v_mov_b32_e32 v9, 0
	s_add_u32 s14, s15, s30
	s_addc_u32 s15, s16, s31
	s_lshl_b64 s[8:9], s[8:9], 1
	s_ashr_i32 s35, s17, 31
	s_add_i32 s16, s17, s17
	s_lshl_b32 s19, s17, 2
	s_lshl_b64 s[20:21], s[20:21], 1
	s_lshl_b64 s[24:25], s[24:25], 1
	s_add_u32 s0, s0, s8
	s_addc_u32 s1, s1, s9
	s_add_u32 s0, s0, s24
	s_addc_u32 s1, s1, s25
	;; [unrolled: 2-line block ×3, first 2 shown]
	s_lshl_b64 s[8:9], s[34:35], 3
	s_add_u32 s2, s2, s30
	s_addc_u32 s3, s3, s31
	s_add_u32 s2, s2, s28
	s_addc_u32 s3, s3, s29
	v_add_co_u32 v3, s2, s2, v2
	v_add_co_ci_u32_e64 v4, null, s3, 0, s2
	v_add_co_u32 v1, s0, s0, v1
	v_add_co_ci_u32_e64 v2, null, s1, 0, s0
	;; [unrolled: 2-line block ×3, first 2 shown]
	v_mov_b32_e32 v8, 0
	v_mov_b32_e32 v7, 0
	;; [unrolled: 1-line block ×3, first 2 shown]
	s_mul_i32 s1, s17, 3
.LBB238_10:                             ; =>This Inner Loop Header: Depth=1
	v_add_nc_u32_e32 v12, s16, v11
	v_add_nc_u32_e32 v16, s1, v11
	v_add_nc_u32_e32 v18, s19, v11
	v_add_co_u32 v14, s0, v3, s8
	v_ashrrev_i32_e32 v13, 31, v12
	v_ashrrev_i32_e32 v17, 31, v16
	v_ashrrev_i32_e32 v19, 31, v18
	v_add_co_ci_u32_e64 v15, null, s9, v4, s0
	v_lshlrev_b64 v[12:13], 3, v[12:13]
	v_lshlrev_b64 v[16:17], 3, v[16:17]
	v_lshlrev_b64 v[18:19], 3, v[18:19]
	global_load_dword v22, v[1:2], off
	v_add_nc_u32_e32 v11, 0xe0, v11
	v_add_co_u32 v12, s0, s14, v12
	v_add_co_ci_u32_e64 v13, null, s15, v13, s0
	v_add_co_u32 v16, s0, s14, v16
	v_add_co_ci_u32_e64 v17, null, s15, v17, s0
	;; [unrolled: 2-line block ×3, first 2 shown]
	s_clause 0x1
	global_load_dwordx2 v[20:21], v[3:4], off offset:-4
	global_load_dwordx2 v[14:15], v[14:15], off offset:-4
	s_clause 0x2
	global_load_dwordx2 v[12:13], v[12:13], off
	global_load_dwordx2 v[16:17], v[16:17], off
	;; [unrolled: 1-line block ×3, first 2 shown]
	v_add_co_u32 v1, s0, 0x380, v1
	v_add_co_ci_u32_e64 v2, null, 0, v2, s0
	v_add_co_u32 v3, s0, 0x700, v3
	v_add_co_ci_u32_e64 v4, null, 0, v4, s0
	v_cmp_le_i32_e64 s0, s12, v11
	s_or_b32 s11, s0, s11
	s_waitcnt vmcnt(4)
	v_fma_mix_f32 v10, v20, v22, v10 op_sel_hi:[0,1,0]
	s_waitcnt vmcnt(3)
	v_fma_mix_f32 v9, v14, v22, v9 op_sel_hi:[0,1,0]
	s_waitcnt vmcnt(2)
	v_fma_mix_f32 v8, v12, v22, v8 op_sel_hi:[0,1,0]
	s_waitcnt vmcnt(1)
	v_fma_mix_f32 v7, v16, v22, v7 op_sel_hi:[0,1,0]
	s_waitcnt vmcnt(0)
	v_fma_mix_f32 v6, v18, v22, v6 op_sel_hi:[0,1,0]
	v_fma_mix_f32 v10, v21, v22, v10 op_sel:[0,1,0] op_sel_hi:[0,1,0]
	v_fma_mix_f32 v9, v15, v22, v9 op_sel:[0,1,0] op_sel_hi:[0,1,0]
	;; [unrolled: 1-line block ×5, first 2 shown]
	s_andn2_b32 exec_lo, exec_lo, s11
	s_cbranch_execnz .LBB238_10
; %bb.11:
	s_or_b32 exec_lo, exec_lo, s11
.LBB238_12:
	s_or_b32 exec_lo, exec_lo, s13
	v_mbcnt_lo_u32_b32 v2, -1, 0
	v_xor_b32_e32 v1, 16, v2
	v_xor_b32_e32 v3, 8, v2
	v_cmp_gt_i32_e64 s0, 32, v1
	v_cndmask_b32_e64 v1, v2, v1, s0
	v_cmp_gt_i32_e64 s0, 32, v3
	v_lshlrev_b32_e32 v1, 2, v1
	v_cndmask_b32_e64 v3, v2, v3, s0
	ds_bpermute_b32 v4, v1, v10
	v_lshlrev_b32_e32 v3, 2, v3
	s_waitcnt lgkmcnt(0)
	v_add_f32_e32 v10, v10, v4
	v_xor_b32_e32 v4, 4, v2
	ds_bpermute_b32 v11, v3, v10
	v_cmp_gt_i32_e64 s0, 32, v4
	v_cndmask_b32_e64 v4, v2, v4, s0
	v_lshlrev_b32_e32 v4, 2, v4
	s_waitcnt lgkmcnt(0)
	v_add_f32_e32 v11, v10, v11
	v_xor_b32_e32 v10, 2, v2
	ds_bpermute_b32 v12, v4, v11
	v_cmp_gt_i32_e64 s0, 32, v10
	v_cndmask_b32_e64 v10, v2, v10, s0
	;; [unrolled: 7-line block ×3, first 2 shown]
	v_lshlrev_b32_e32 v11, 2, v2
	s_waitcnt lgkmcnt(0)
	v_add_f32_e32 v2, v12, v13
	v_lshrrev_b32_e32 v12, 3, v0
	ds_bpermute_b32 v13, v11, v2
	v_and_b32_e32 v12, 0x7c, v12
	v_add_nc_u32_e32 v12, 0, v12
	s_waitcnt lgkmcnt(0)
	v_add_f32_e32 v2, v2, v13
	ds_write_b32 v12, v2
	s_waitcnt lgkmcnt(0)
	s_barrier
	buffer_gl0_inv
	s_and_saveexec_b32 s0, vcc_lo
	s_cbranch_execz .LBB238_14
; %bb.13:
	ds_read_b32 v2, v5
	s_waitcnt lgkmcnt(0)
	ds_bpermute_b32 v13, v1, v2
	s_waitcnt lgkmcnt(0)
	v_add_f32_e32 v2, v2, v13
	ds_bpermute_b32 v13, v3, v2
	s_waitcnt lgkmcnt(0)
	v_add_f32_e32 v2, v2, v13
	ds_bpermute_b32 v13, v4, v2
	s_waitcnt lgkmcnt(0)
	v_add_f32_e32 v2, v2, v13
	ds_bpermute_b32 v13, v10, v2
	s_waitcnt lgkmcnt(0)
	v_add_f32_e32 v2, v2, v13
	ds_bpermute_b32 v13, v11, v2
	s_waitcnt lgkmcnt(0)
	v_add_f32_e32 v2, v2, v13
.LBB238_14:
	s_or_b32 exec_lo, exec_lo, s0
	ds_bpermute_b32 v13, v1, v9
	s_waitcnt lgkmcnt(0)
	s_barrier
	buffer_gl0_inv
	v_add_f32_e32 v9, v9, v13
	ds_bpermute_b32 v13, v3, v9
	s_waitcnt lgkmcnt(0)
	v_add_f32_e32 v9, v9, v13
	ds_bpermute_b32 v13, v4, v9
	s_waitcnt lgkmcnt(0)
	v_add_f32_e32 v9, v9, v13
	ds_bpermute_b32 v13, v10, v9
	s_waitcnt lgkmcnt(0)
	v_add_f32_e32 v9, v9, v13
	ds_bpermute_b32 v13, v11, v9
	s_waitcnt lgkmcnt(0)
	v_add_f32_e32 v9, v9, v13
	ds_write_b32 v12, v9
	s_waitcnt lgkmcnt(0)
	s_barrier
	buffer_gl0_inv
	s_and_saveexec_b32 s0, vcc_lo
	s_cbranch_execz .LBB238_16
; %bb.15:
	ds_read_b32 v9, v5
	s_waitcnt lgkmcnt(0)
	ds_bpermute_b32 v13, v1, v9
	s_waitcnt lgkmcnt(0)
	v_add_f32_e32 v9, v9, v13
	ds_bpermute_b32 v13, v3, v9
	s_waitcnt lgkmcnt(0)
	v_add_f32_e32 v9, v9, v13
	ds_bpermute_b32 v13, v4, v9
	s_waitcnt lgkmcnt(0)
	v_add_f32_e32 v9, v9, v13
	ds_bpermute_b32 v13, v10, v9
	s_waitcnt lgkmcnt(0)
	v_add_f32_e32 v9, v9, v13
	ds_bpermute_b32 v13, v11, v9
	s_waitcnt lgkmcnt(0)
	v_add_f32_e32 v9, v9, v13
.LBB238_16:
	s_or_b32 exec_lo, exec_lo, s0
	ds_bpermute_b32 v13, v1, v8
	s_waitcnt lgkmcnt(0)
	s_barrier
	buffer_gl0_inv
	v_add_f32_e32 v8, v8, v13
	ds_bpermute_b32 v13, v3, v8
	s_waitcnt lgkmcnt(0)
	v_add_f32_e32 v8, v8, v13
	ds_bpermute_b32 v13, v4, v8
	s_waitcnt lgkmcnt(0)
	v_add_f32_e32 v8, v8, v13
	ds_bpermute_b32 v13, v10, v8
	s_waitcnt lgkmcnt(0)
	v_add_f32_e32 v8, v8, v13
	ds_bpermute_b32 v13, v11, v8
	;; [unrolled: 43-line block ×4, first 2 shown]
	s_waitcnt lgkmcnt(0)
	v_add_f32_e32 v6, v6, v13
	ds_write_b32 v12, v6
	s_waitcnt lgkmcnt(0)
	s_barrier
	buffer_gl0_inv
	s_and_saveexec_b32 s0, vcc_lo
	s_cbranch_execz .LBB238_22
; %bb.21:
	ds_read_b32 v5, v5
	s_waitcnt lgkmcnt(0)
	ds_bpermute_b32 v1, v1, v5
	s_waitcnt lgkmcnt(0)
	v_add_f32_e32 v1, v5, v1
	ds_bpermute_b32 v3, v3, v1
	s_waitcnt lgkmcnt(0)
	v_add_f32_e32 v1, v1, v3
	;; [unrolled: 3-line block ×5, first 2 shown]
.LBB238_22:
	s_or_b32 exec_lo, exec_lo, s0
	s_barrier
	buffer_gl0_inv
	s_mov_b32 s0, exec_lo
	v_cmpx_gt_u32_e32 5, v0
	s_cbranch_execz .LBB238_24
; %bb.23:
	s_load_dwordx2 s[0:1], s[4:5], 0x38
	v_cmp_eq_u32_e32 vcc_lo, 1, v0
	v_mad_u64_u32 v[3:4], null, s18, v0, s[6:7]
	s_mul_hi_i32 s3, s22, s10
	s_mul_i32 s2, s22, s10
	v_cndmask_b32_e32 v1, v2, v9, vcc_lo
	v_cmp_eq_u32_e32 vcc_lo, 2, v0
	s_mul_i32 s4, s26, s7
	s_lshl_b64 s[2:3], s[2:3], 2
	v_ashrrev_i32_e32 v4, 31, v3
	s_ashr_i32 s5, s4, 31
	v_cndmask_b32_e32 v1, v1, v8, vcc_lo
	v_cmp_eq_u32_e32 vcc_lo, 3, v0
	v_cndmask_b32_e32 v5, v1, v7, vcc_lo
	v_lshlrev_b64 v[1:2], 2, v[3:4]
	s_waitcnt lgkmcnt(0)
	s_add_u32 s2, s0, s2
	v_cmp_eq_u32_e32 vcc_lo, 4, v0
	s_addc_u32 s3, s1, s3
	s_lshl_b64 s[0:1], s[4:5], 2
	s_add_u32 s0, s2, s0
	v_cndmask_b32_e32 v3, v5, v6, vcc_lo
	s_addc_u32 s1, s3, s1
	v_add_co_u32 v0, vcc_lo, s0, v1
	v_add_co_ci_u32_e64 v1, null, s1, v2, vcc_lo
	global_store_dword v[0:1], v3, off
.LBB238_24:
	s_endpgm
	.section	.rodata,"a",@progbits
	.p2align	6, 0x0
	.amdhsa_kernel _ZL13mul_mat_vec_fI6__halffLi5ELi224ELb0ELb0EEvPKT_PKfPKi31ggml_cuda_mm_fusion_args_devicePfi15HIP_vector_typeIjLj3EEiiiSB_iiiSB_iiii
		.amdhsa_group_segment_fixed_size 0
		.amdhsa_private_segment_fixed_size 0
		.amdhsa_kernarg_size 144
		.amdhsa_user_sgpr_count 6
		.amdhsa_user_sgpr_private_segment_buffer 1
		.amdhsa_user_sgpr_dispatch_ptr 0
		.amdhsa_user_sgpr_queue_ptr 0
		.amdhsa_user_sgpr_kernarg_segment_ptr 1
		.amdhsa_user_sgpr_dispatch_id 0
		.amdhsa_user_sgpr_flat_scratch_init 0
		.amdhsa_user_sgpr_private_segment_size 0
		.amdhsa_wavefront_size32 1
		.amdhsa_uses_dynamic_stack 0
		.amdhsa_system_sgpr_private_segment_wavefront_offset 0
		.amdhsa_system_sgpr_workgroup_id_x 1
		.amdhsa_system_sgpr_workgroup_id_y 1
		.amdhsa_system_sgpr_workgroup_id_z 1
		.amdhsa_system_sgpr_workgroup_info 0
		.amdhsa_system_vgpr_workitem_id 0
		.amdhsa_next_free_vgpr 23
		.amdhsa_next_free_sgpr 36
		.amdhsa_reserve_vcc 1
		.amdhsa_reserve_flat_scratch 0
		.amdhsa_float_round_mode_32 0
		.amdhsa_float_round_mode_16_64 0
		.amdhsa_float_denorm_mode_32 3
		.amdhsa_float_denorm_mode_16_64 3
		.amdhsa_dx10_clamp 1
		.amdhsa_ieee_mode 1
		.amdhsa_fp16_overflow 0
		.amdhsa_workgroup_processor_mode 1
		.amdhsa_memory_ordered 1
		.amdhsa_forward_progress 1
		.amdhsa_shared_vgpr_count 0
		.amdhsa_exception_fp_ieee_invalid_op 0
		.amdhsa_exception_fp_denorm_src 0
		.amdhsa_exception_fp_ieee_div_zero 0
		.amdhsa_exception_fp_ieee_overflow 0
		.amdhsa_exception_fp_ieee_underflow 0
		.amdhsa_exception_fp_ieee_inexact 0
		.amdhsa_exception_int_div_zero 0
	.end_amdhsa_kernel
	.section	.text._ZL13mul_mat_vec_fI6__halffLi5ELi224ELb0ELb0EEvPKT_PKfPKi31ggml_cuda_mm_fusion_args_devicePfi15HIP_vector_typeIjLj3EEiiiSB_iiiSB_iiii,"axG",@progbits,_ZL13mul_mat_vec_fI6__halffLi5ELi224ELb0ELb0EEvPKT_PKfPKi31ggml_cuda_mm_fusion_args_devicePfi15HIP_vector_typeIjLj3EEiiiSB_iiiSB_iiii,comdat
.Lfunc_end238:
	.size	_ZL13mul_mat_vec_fI6__halffLi5ELi224ELb0ELb0EEvPKT_PKfPKi31ggml_cuda_mm_fusion_args_devicePfi15HIP_vector_typeIjLj3EEiiiSB_iiiSB_iiii, .Lfunc_end238-_ZL13mul_mat_vec_fI6__halffLi5ELi224ELb0ELb0EEvPKT_PKfPKi31ggml_cuda_mm_fusion_args_devicePfi15HIP_vector_typeIjLj3EEiiiSB_iiiSB_iiii
                                        ; -- End function
	.set _ZL13mul_mat_vec_fI6__halffLi5ELi224ELb0ELb0EEvPKT_PKfPKi31ggml_cuda_mm_fusion_args_devicePfi15HIP_vector_typeIjLj3EEiiiSB_iiiSB_iiii.num_vgpr, 23
	.set _ZL13mul_mat_vec_fI6__halffLi5ELi224ELb0ELb0EEvPKT_PKfPKi31ggml_cuda_mm_fusion_args_devicePfi15HIP_vector_typeIjLj3EEiiiSB_iiiSB_iiii.num_agpr, 0
	.set _ZL13mul_mat_vec_fI6__halffLi5ELi224ELb0ELb0EEvPKT_PKfPKi31ggml_cuda_mm_fusion_args_devicePfi15HIP_vector_typeIjLj3EEiiiSB_iiiSB_iiii.numbered_sgpr, 36
	.set _ZL13mul_mat_vec_fI6__halffLi5ELi224ELb0ELb0EEvPKT_PKfPKi31ggml_cuda_mm_fusion_args_devicePfi15HIP_vector_typeIjLj3EEiiiSB_iiiSB_iiii.num_named_barrier, 0
	.set _ZL13mul_mat_vec_fI6__halffLi5ELi224ELb0ELb0EEvPKT_PKfPKi31ggml_cuda_mm_fusion_args_devicePfi15HIP_vector_typeIjLj3EEiiiSB_iiiSB_iiii.private_seg_size, 0
	.set _ZL13mul_mat_vec_fI6__halffLi5ELi224ELb0ELb0EEvPKT_PKfPKi31ggml_cuda_mm_fusion_args_devicePfi15HIP_vector_typeIjLj3EEiiiSB_iiiSB_iiii.uses_vcc, 1
	.set _ZL13mul_mat_vec_fI6__halffLi5ELi224ELb0ELb0EEvPKT_PKfPKi31ggml_cuda_mm_fusion_args_devicePfi15HIP_vector_typeIjLj3EEiiiSB_iiiSB_iiii.uses_flat_scratch, 0
	.set _ZL13mul_mat_vec_fI6__halffLi5ELi224ELb0ELb0EEvPKT_PKfPKi31ggml_cuda_mm_fusion_args_devicePfi15HIP_vector_typeIjLj3EEiiiSB_iiiSB_iiii.has_dyn_sized_stack, 0
	.set _ZL13mul_mat_vec_fI6__halffLi5ELi224ELb0ELb0EEvPKT_PKfPKi31ggml_cuda_mm_fusion_args_devicePfi15HIP_vector_typeIjLj3EEiiiSB_iiiSB_iiii.has_recursion, 0
	.set _ZL13mul_mat_vec_fI6__halffLi5ELi224ELb0ELb0EEvPKT_PKfPKi31ggml_cuda_mm_fusion_args_devicePfi15HIP_vector_typeIjLj3EEiiiSB_iiiSB_iiii.has_indirect_call, 0
	.section	.AMDGPU.csdata,"",@progbits
; Kernel info:
; codeLenInByte = 2240
; TotalNumSgprs: 38
; NumVgprs: 23
; ScratchSize: 0
; MemoryBound: 0
; FloatMode: 240
; IeeeMode: 1
; LDSByteSize: 0 bytes/workgroup (compile time only)
; SGPRBlocks: 0
; VGPRBlocks: 2
; NumSGPRsForWavesPerEU: 38
; NumVGPRsForWavesPerEU: 23
; Occupancy: 16
; WaveLimiterHint : 0
; COMPUTE_PGM_RSRC2:SCRATCH_EN: 0
; COMPUTE_PGM_RSRC2:USER_SGPR: 6
; COMPUTE_PGM_RSRC2:TRAP_HANDLER: 0
; COMPUTE_PGM_RSRC2:TGID_X_EN: 1
; COMPUTE_PGM_RSRC2:TGID_Y_EN: 1
; COMPUTE_PGM_RSRC2:TGID_Z_EN: 1
; COMPUTE_PGM_RSRC2:TIDIG_COMP_CNT: 0
	.section	.text._ZL13mul_mat_vec_fI6__halffLi5ELi256ELb0ELb0EEvPKT_PKfPKi31ggml_cuda_mm_fusion_args_devicePfi15HIP_vector_typeIjLj3EEiiiSB_iiiSB_iiii,"axG",@progbits,_ZL13mul_mat_vec_fI6__halffLi5ELi256ELb0ELb0EEvPKT_PKfPKi31ggml_cuda_mm_fusion_args_devicePfi15HIP_vector_typeIjLj3EEiiiSB_iiiSB_iiii,comdat
	.globl	_ZL13mul_mat_vec_fI6__halffLi5ELi256ELb0ELb0EEvPKT_PKfPKi31ggml_cuda_mm_fusion_args_devicePfi15HIP_vector_typeIjLj3EEiiiSB_iiiSB_iiii ; -- Begin function _ZL13mul_mat_vec_fI6__halffLi5ELi256ELb0ELb0EEvPKT_PKfPKi31ggml_cuda_mm_fusion_args_devicePfi15HIP_vector_typeIjLj3EEiiiSB_iiiSB_iiii
	.p2align	8
	.type	_ZL13mul_mat_vec_fI6__halffLi5ELi256ELb0ELb0EEvPKT_PKfPKi31ggml_cuda_mm_fusion_args_devicePfi15HIP_vector_typeIjLj3EEiiiSB_iiiSB_iiii,@function
_ZL13mul_mat_vec_fI6__halffLi5ELi256ELb0ELb0EEvPKT_PKfPKi31ggml_cuda_mm_fusion_args_devicePfi15HIP_vector_typeIjLj3EEiiiSB_iiiSB_iiii: ; @_ZL13mul_mat_vec_fI6__halffLi5ELi256ELb0ELb0EEvPKT_PKfPKi31ggml_cuda_mm_fusion_args_devicePfi15HIP_vector_typeIjLj3EEiiiSB_iiiSB_iiii
; %bb.0:
	s_clause 0x2
	s_load_dwordx2 s[0:1], s[4:5], 0x10
	s_load_dwordx8 s[12:19], s[4:5], 0x40
	s_load_dwordx4 s[20:23], s[4:5], 0x80
	s_waitcnt lgkmcnt(0)
	s_cmp_eq_u64 s[0:1], 0
	s_cselect_b32 s10, -1, 0
	s_cmp_lg_u64 s[0:1], 0
	s_cselect_b32 s11, -1, 0
	s_and_b32 vcc_lo, exec_lo, s10
	s_cbranch_vccnz .LBB239_2
; %bb.1:
	s_mul_i32 s2, s23, s8
	s_mov_b32 s3, 0
	s_add_i32 s2, s2, s7
	s_lshl_b64 s[24:25], s[2:3], 2
	s_add_u32 s0, s0, s24
	s_addc_u32 s1, s1, s25
	s_load_dword s9, s[0:1], 0x0
	s_cbranch_execz .LBB239_3
	s_branch .LBB239_4
.LBB239_2:
                                        ; implicit-def: $sgpr9
.LBB239_3:
	s_load_dwordx2 s[0:1], s[4:5], 0x5c
	s_waitcnt lgkmcnt(0)
	s_mul_hi_u32 s0, s0, s7
	s_add_i32 s0, s7, s0
	s_lshr_b32 s9, s0, s1
.LBB239_4:
	s_load_dwordx4 s[24:27], s[4:5], 0x68
	s_andn2_b32 vcc_lo, exec_lo, s11
	s_mov_b32 s19, s7
	s_cbranch_vccnz .LBB239_6
; %bb.5:
	s_mul_hi_u32 s0, s13, s7
	s_add_i32 s0, s7, s0
	s_lshr_b32 s0, s0, s14
	s_mul_i32 s0, s0, s15
	s_sub_i32 s19, s7, s0
.LBB239_6:
	s_load_dword s14, s[4:5], 0x78
	v_cmp_gt_u32_e32 vcc_lo, 32, v0
	v_lshl_add_u32 v5, v0, 2, 0
	s_and_saveexec_b32 s0, vcc_lo
; %bb.7:
	v_mov_b32_e32 v1, 0
	ds_write_b32 v5, v1
; %bb.8:
	s_or_b32 exec_lo, exec_lo, s0
	v_mov_b32_e32 v6, 0
	v_mov_b32_e32 v7, 0
	v_mov_b32_e32 v8, 0
	v_mov_b32_e32 v9, 0
	v_mov_b32_e32 v10, 0
	s_and_b32 s0, exec_lo, s10
	s_mov_b32 s11, 0
	s_cselect_b32 s10, s8, 0
	s_mov_b32 s13, exec_lo
	s_waitcnt lgkmcnt(0)
	s_barrier
	buffer_gl0_inv
	v_cmpx_gt_i32_e64 s12, v0
	s_cbranch_execz .LBB239_12
; %bb.9:
	s_load_dwordx4 s[0:3], s[4:5], 0x0
	s_mul_hi_u32 s15, s27, s10
	s_mul_hi_i32 s29, s21, s10
	s_mul_i32 s28, s21, s10
	s_mul_i32 s8, s9, s24
	;; [unrolled: 1-line block ×4, first 2 shown]
	s_add_i32 s15, s10, s15
	s_lshl_b64 s[28:29], s[28:29], 2
	s_ashr_i32 s9, s8, 31
	s_ashr_i32 s25, s24, 31
	;; [unrolled: 1-line block ×3, first 2 shown]
	s_lshr_b32 s14, s15, s14
	s_mov_b32 s34, s17
	s_mul_hi_i32 s21, s14, s20
	s_mul_i32 s20, s14, s20
	v_lshlrev_b32_e32 v2, 3, v0
	v_lshlrev_b32_e32 v1, 2, v0
	v_mov_b32_e32 v10, 0
	v_mov_b32_e32 v11, v0
	s_waitcnt lgkmcnt(0)
	s_add_u32 s15, s2, s28
	s_addc_u32 s16, s3, s29
	s_lshl_b64 s[30:31], s[30:31], 2
	v_mov_b32_e32 v9, 0
	s_add_u32 s14, s15, s30
	s_addc_u32 s15, s16, s31
	s_lshl_b64 s[8:9], s[8:9], 1
	s_ashr_i32 s35, s17, 31
	s_add_i32 s16, s17, s17
	s_lshl_b32 s19, s17, 2
	s_lshl_b64 s[20:21], s[20:21], 1
	s_lshl_b64 s[24:25], s[24:25], 1
	s_add_u32 s0, s0, s8
	s_addc_u32 s1, s1, s9
	s_add_u32 s0, s0, s24
	s_addc_u32 s1, s1, s25
	;; [unrolled: 2-line block ×3, first 2 shown]
	s_lshl_b64 s[8:9], s[34:35], 3
	s_add_u32 s2, s2, s30
	s_addc_u32 s3, s3, s31
	s_add_u32 s2, s2, s28
	s_addc_u32 s3, s3, s29
	v_add_co_u32 v3, s2, s2, v2
	v_add_co_ci_u32_e64 v4, null, s3, 0, s2
	v_add_co_u32 v1, s0, s0, v1
	v_add_co_ci_u32_e64 v2, null, s1, 0, s0
	;; [unrolled: 2-line block ×3, first 2 shown]
	v_mov_b32_e32 v8, 0
	v_mov_b32_e32 v7, 0
	;; [unrolled: 1-line block ×3, first 2 shown]
	s_mul_i32 s1, s17, 3
.LBB239_10:                             ; =>This Inner Loop Header: Depth=1
	v_add_nc_u32_e32 v12, s16, v11
	v_add_nc_u32_e32 v16, s1, v11
	v_add_nc_u32_e32 v18, s19, v11
	v_add_co_u32 v14, s0, v3, s8
	v_ashrrev_i32_e32 v13, 31, v12
	v_ashrrev_i32_e32 v17, 31, v16
	;; [unrolled: 1-line block ×3, first 2 shown]
	v_add_co_ci_u32_e64 v15, null, s9, v4, s0
	v_lshlrev_b64 v[12:13], 3, v[12:13]
	v_lshlrev_b64 v[16:17], 3, v[16:17]
	;; [unrolled: 1-line block ×3, first 2 shown]
	global_load_dword v22, v[1:2], off
	v_add_nc_u32_e32 v11, 0x100, v11
	v_add_co_u32 v12, s0, s14, v12
	v_add_co_ci_u32_e64 v13, null, s15, v13, s0
	v_add_co_u32 v16, s0, s14, v16
	v_add_co_ci_u32_e64 v17, null, s15, v17, s0
	;; [unrolled: 2-line block ×3, first 2 shown]
	s_clause 0x1
	global_load_dwordx2 v[20:21], v[3:4], off offset:-4
	global_load_dwordx2 v[14:15], v[14:15], off offset:-4
	s_clause 0x2
	global_load_dwordx2 v[12:13], v[12:13], off
	global_load_dwordx2 v[16:17], v[16:17], off
	;; [unrolled: 1-line block ×3, first 2 shown]
	v_add_co_u32 v1, s0, 0x400, v1
	v_add_co_ci_u32_e64 v2, null, 0, v2, s0
	v_add_co_u32 v3, s0, 0x800, v3
	v_add_co_ci_u32_e64 v4, null, 0, v4, s0
	v_cmp_le_i32_e64 s0, s12, v11
	s_or_b32 s11, s0, s11
	s_waitcnt vmcnt(4)
	v_fma_mix_f32 v10, v20, v22, v10 op_sel_hi:[0,1,0]
	s_waitcnt vmcnt(3)
	v_fma_mix_f32 v9, v14, v22, v9 op_sel_hi:[0,1,0]
	;; [unrolled: 2-line block ×5, first 2 shown]
	v_fma_mix_f32 v10, v21, v22, v10 op_sel:[0,1,0] op_sel_hi:[0,1,0]
	v_fma_mix_f32 v9, v15, v22, v9 op_sel:[0,1,0] op_sel_hi:[0,1,0]
	;; [unrolled: 1-line block ×5, first 2 shown]
	s_andn2_b32 exec_lo, exec_lo, s11
	s_cbranch_execnz .LBB239_10
; %bb.11:
	s_or_b32 exec_lo, exec_lo, s11
.LBB239_12:
	s_or_b32 exec_lo, exec_lo, s13
	v_mbcnt_lo_u32_b32 v2, -1, 0
	v_xor_b32_e32 v1, 16, v2
	v_xor_b32_e32 v3, 8, v2
	v_cmp_gt_i32_e64 s0, 32, v1
	v_cndmask_b32_e64 v1, v2, v1, s0
	v_cmp_gt_i32_e64 s0, 32, v3
	v_lshlrev_b32_e32 v1, 2, v1
	v_cndmask_b32_e64 v3, v2, v3, s0
	ds_bpermute_b32 v4, v1, v10
	v_lshlrev_b32_e32 v3, 2, v3
	s_waitcnt lgkmcnt(0)
	v_add_f32_e32 v10, v10, v4
	v_xor_b32_e32 v4, 4, v2
	ds_bpermute_b32 v11, v3, v10
	v_cmp_gt_i32_e64 s0, 32, v4
	v_cndmask_b32_e64 v4, v2, v4, s0
	v_lshlrev_b32_e32 v4, 2, v4
	s_waitcnt lgkmcnt(0)
	v_add_f32_e32 v11, v10, v11
	v_xor_b32_e32 v10, 2, v2
	ds_bpermute_b32 v12, v4, v11
	v_cmp_gt_i32_e64 s0, 32, v10
	v_cndmask_b32_e64 v10, v2, v10, s0
	;; [unrolled: 7-line block ×3, first 2 shown]
	v_lshlrev_b32_e32 v11, 2, v2
	s_waitcnt lgkmcnt(0)
	v_add_f32_e32 v2, v12, v13
	v_lshrrev_b32_e32 v12, 3, v0
	ds_bpermute_b32 v13, v11, v2
	v_and_b32_e32 v12, 0x7c, v12
	v_add_nc_u32_e32 v12, 0, v12
	s_waitcnt lgkmcnt(0)
	v_add_f32_e32 v2, v2, v13
	ds_write_b32 v12, v2
	s_waitcnt lgkmcnt(0)
	s_barrier
	buffer_gl0_inv
	s_and_saveexec_b32 s0, vcc_lo
	s_cbranch_execz .LBB239_14
; %bb.13:
	ds_read_b32 v2, v5
	s_waitcnt lgkmcnt(0)
	ds_bpermute_b32 v13, v1, v2
	s_waitcnt lgkmcnt(0)
	v_add_f32_e32 v2, v2, v13
	ds_bpermute_b32 v13, v3, v2
	s_waitcnt lgkmcnt(0)
	v_add_f32_e32 v2, v2, v13
	ds_bpermute_b32 v13, v4, v2
	s_waitcnt lgkmcnt(0)
	v_add_f32_e32 v2, v2, v13
	ds_bpermute_b32 v13, v10, v2
	s_waitcnt lgkmcnt(0)
	v_add_f32_e32 v2, v2, v13
	ds_bpermute_b32 v13, v11, v2
	s_waitcnt lgkmcnt(0)
	v_add_f32_e32 v2, v2, v13
.LBB239_14:
	s_or_b32 exec_lo, exec_lo, s0
	ds_bpermute_b32 v13, v1, v9
	s_waitcnt lgkmcnt(0)
	s_barrier
	buffer_gl0_inv
	v_add_f32_e32 v9, v9, v13
	ds_bpermute_b32 v13, v3, v9
	s_waitcnt lgkmcnt(0)
	v_add_f32_e32 v9, v9, v13
	ds_bpermute_b32 v13, v4, v9
	s_waitcnt lgkmcnt(0)
	v_add_f32_e32 v9, v9, v13
	ds_bpermute_b32 v13, v10, v9
	s_waitcnt lgkmcnt(0)
	v_add_f32_e32 v9, v9, v13
	ds_bpermute_b32 v13, v11, v9
	s_waitcnt lgkmcnt(0)
	v_add_f32_e32 v9, v9, v13
	ds_write_b32 v12, v9
	s_waitcnt lgkmcnt(0)
	s_barrier
	buffer_gl0_inv
	s_and_saveexec_b32 s0, vcc_lo
	s_cbranch_execz .LBB239_16
; %bb.15:
	ds_read_b32 v9, v5
	s_waitcnt lgkmcnt(0)
	ds_bpermute_b32 v13, v1, v9
	s_waitcnt lgkmcnt(0)
	v_add_f32_e32 v9, v9, v13
	ds_bpermute_b32 v13, v3, v9
	s_waitcnt lgkmcnt(0)
	v_add_f32_e32 v9, v9, v13
	ds_bpermute_b32 v13, v4, v9
	s_waitcnt lgkmcnt(0)
	v_add_f32_e32 v9, v9, v13
	ds_bpermute_b32 v13, v10, v9
	s_waitcnt lgkmcnt(0)
	v_add_f32_e32 v9, v9, v13
	ds_bpermute_b32 v13, v11, v9
	s_waitcnt lgkmcnt(0)
	v_add_f32_e32 v9, v9, v13
.LBB239_16:
	s_or_b32 exec_lo, exec_lo, s0
	ds_bpermute_b32 v13, v1, v8
	s_waitcnt lgkmcnt(0)
	s_barrier
	buffer_gl0_inv
	v_add_f32_e32 v8, v8, v13
	ds_bpermute_b32 v13, v3, v8
	s_waitcnt lgkmcnt(0)
	v_add_f32_e32 v8, v8, v13
	ds_bpermute_b32 v13, v4, v8
	s_waitcnt lgkmcnt(0)
	v_add_f32_e32 v8, v8, v13
	ds_bpermute_b32 v13, v10, v8
	s_waitcnt lgkmcnt(0)
	v_add_f32_e32 v8, v8, v13
	ds_bpermute_b32 v13, v11, v8
	;; [unrolled: 43-line block ×4, first 2 shown]
	s_waitcnt lgkmcnt(0)
	v_add_f32_e32 v6, v6, v13
	ds_write_b32 v12, v6
	s_waitcnt lgkmcnt(0)
	s_barrier
	buffer_gl0_inv
	s_and_saveexec_b32 s0, vcc_lo
	s_cbranch_execz .LBB239_22
; %bb.21:
	ds_read_b32 v5, v5
	s_waitcnt lgkmcnt(0)
	ds_bpermute_b32 v1, v1, v5
	s_waitcnt lgkmcnt(0)
	v_add_f32_e32 v1, v5, v1
	ds_bpermute_b32 v3, v3, v1
	s_waitcnt lgkmcnt(0)
	v_add_f32_e32 v1, v1, v3
	;; [unrolled: 3-line block ×5, first 2 shown]
.LBB239_22:
	s_or_b32 exec_lo, exec_lo, s0
	s_barrier
	buffer_gl0_inv
	s_mov_b32 s0, exec_lo
	v_cmpx_gt_u32_e32 5, v0
	s_cbranch_execz .LBB239_24
; %bb.23:
	s_load_dwordx2 s[0:1], s[4:5], 0x38
	v_cmp_eq_u32_e32 vcc_lo, 1, v0
	v_mad_u64_u32 v[3:4], null, s18, v0, s[6:7]
	s_mul_hi_i32 s3, s22, s10
	s_mul_i32 s2, s22, s10
	v_cndmask_b32_e32 v1, v2, v9, vcc_lo
	v_cmp_eq_u32_e32 vcc_lo, 2, v0
	s_mul_i32 s4, s26, s7
	s_lshl_b64 s[2:3], s[2:3], 2
	v_ashrrev_i32_e32 v4, 31, v3
	s_ashr_i32 s5, s4, 31
	v_cndmask_b32_e32 v1, v1, v8, vcc_lo
	v_cmp_eq_u32_e32 vcc_lo, 3, v0
	v_cndmask_b32_e32 v5, v1, v7, vcc_lo
	v_lshlrev_b64 v[1:2], 2, v[3:4]
	s_waitcnt lgkmcnt(0)
	s_add_u32 s2, s0, s2
	v_cmp_eq_u32_e32 vcc_lo, 4, v0
	s_addc_u32 s3, s1, s3
	s_lshl_b64 s[0:1], s[4:5], 2
	s_add_u32 s0, s2, s0
	v_cndmask_b32_e32 v3, v5, v6, vcc_lo
	s_addc_u32 s1, s3, s1
	v_add_co_u32 v0, vcc_lo, s0, v1
	v_add_co_ci_u32_e64 v1, null, s1, v2, vcc_lo
	global_store_dword v[0:1], v3, off
.LBB239_24:
	s_endpgm
	.section	.rodata,"a",@progbits
	.p2align	6, 0x0
	.amdhsa_kernel _ZL13mul_mat_vec_fI6__halffLi5ELi256ELb0ELb0EEvPKT_PKfPKi31ggml_cuda_mm_fusion_args_devicePfi15HIP_vector_typeIjLj3EEiiiSB_iiiSB_iiii
		.amdhsa_group_segment_fixed_size 0
		.amdhsa_private_segment_fixed_size 0
		.amdhsa_kernarg_size 144
		.amdhsa_user_sgpr_count 6
		.amdhsa_user_sgpr_private_segment_buffer 1
		.amdhsa_user_sgpr_dispatch_ptr 0
		.amdhsa_user_sgpr_queue_ptr 0
		.amdhsa_user_sgpr_kernarg_segment_ptr 1
		.amdhsa_user_sgpr_dispatch_id 0
		.amdhsa_user_sgpr_flat_scratch_init 0
		.amdhsa_user_sgpr_private_segment_size 0
		.amdhsa_wavefront_size32 1
		.amdhsa_uses_dynamic_stack 0
		.amdhsa_system_sgpr_private_segment_wavefront_offset 0
		.amdhsa_system_sgpr_workgroup_id_x 1
		.amdhsa_system_sgpr_workgroup_id_y 1
		.amdhsa_system_sgpr_workgroup_id_z 1
		.amdhsa_system_sgpr_workgroup_info 0
		.amdhsa_system_vgpr_workitem_id 0
		.amdhsa_next_free_vgpr 23
		.amdhsa_next_free_sgpr 36
		.amdhsa_reserve_vcc 1
		.amdhsa_reserve_flat_scratch 0
		.amdhsa_float_round_mode_32 0
		.amdhsa_float_round_mode_16_64 0
		.amdhsa_float_denorm_mode_32 3
		.amdhsa_float_denorm_mode_16_64 3
		.amdhsa_dx10_clamp 1
		.amdhsa_ieee_mode 1
		.amdhsa_fp16_overflow 0
		.amdhsa_workgroup_processor_mode 1
		.amdhsa_memory_ordered 1
		.amdhsa_forward_progress 1
		.amdhsa_shared_vgpr_count 0
		.amdhsa_exception_fp_ieee_invalid_op 0
		.amdhsa_exception_fp_denorm_src 0
		.amdhsa_exception_fp_ieee_div_zero 0
		.amdhsa_exception_fp_ieee_overflow 0
		.amdhsa_exception_fp_ieee_underflow 0
		.amdhsa_exception_fp_ieee_inexact 0
		.amdhsa_exception_int_div_zero 0
	.end_amdhsa_kernel
	.section	.text._ZL13mul_mat_vec_fI6__halffLi5ELi256ELb0ELb0EEvPKT_PKfPKi31ggml_cuda_mm_fusion_args_devicePfi15HIP_vector_typeIjLj3EEiiiSB_iiiSB_iiii,"axG",@progbits,_ZL13mul_mat_vec_fI6__halffLi5ELi256ELb0ELb0EEvPKT_PKfPKi31ggml_cuda_mm_fusion_args_devicePfi15HIP_vector_typeIjLj3EEiiiSB_iiiSB_iiii,comdat
.Lfunc_end239:
	.size	_ZL13mul_mat_vec_fI6__halffLi5ELi256ELb0ELb0EEvPKT_PKfPKi31ggml_cuda_mm_fusion_args_devicePfi15HIP_vector_typeIjLj3EEiiiSB_iiiSB_iiii, .Lfunc_end239-_ZL13mul_mat_vec_fI6__halffLi5ELi256ELb0ELb0EEvPKT_PKfPKi31ggml_cuda_mm_fusion_args_devicePfi15HIP_vector_typeIjLj3EEiiiSB_iiiSB_iiii
                                        ; -- End function
	.set _ZL13mul_mat_vec_fI6__halffLi5ELi256ELb0ELb0EEvPKT_PKfPKi31ggml_cuda_mm_fusion_args_devicePfi15HIP_vector_typeIjLj3EEiiiSB_iiiSB_iiii.num_vgpr, 23
	.set _ZL13mul_mat_vec_fI6__halffLi5ELi256ELb0ELb0EEvPKT_PKfPKi31ggml_cuda_mm_fusion_args_devicePfi15HIP_vector_typeIjLj3EEiiiSB_iiiSB_iiii.num_agpr, 0
	.set _ZL13mul_mat_vec_fI6__halffLi5ELi256ELb0ELb0EEvPKT_PKfPKi31ggml_cuda_mm_fusion_args_devicePfi15HIP_vector_typeIjLj3EEiiiSB_iiiSB_iiii.numbered_sgpr, 36
	.set _ZL13mul_mat_vec_fI6__halffLi5ELi256ELb0ELb0EEvPKT_PKfPKi31ggml_cuda_mm_fusion_args_devicePfi15HIP_vector_typeIjLj3EEiiiSB_iiiSB_iiii.num_named_barrier, 0
	.set _ZL13mul_mat_vec_fI6__halffLi5ELi256ELb0ELb0EEvPKT_PKfPKi31ggml_cuda_mm_fusion_args_devicePfi15HIP_vector_typeIjLj3EEiiiSB_iiiSB_iiii.private_seg_size, 0
	.set _ZL13mul_mat_vec_fI6__halffLi5ELi256ELb0ELb0EEvPKT_PKfPKi31ggml_cuda_mm_fusion_args_devicePfi15HIP_vector_typeIjLj3EEiiiSB_iiiSB_iiii.uses_vcc, 1
	.set _ZL13mul_mat_vec_fI6__halffLi5ELi256ELb0ELb0EEvPKT_PKfPKi31ggml_cuda_mm_fusion_args_devicePfi15HIP_vector_typeIjLj3EEiiiSB_iiiSB_iiii.uses_flat_scratch, 0
	.set _ZL13mul_mat_vec_fI6__halffLi5ELi256ELb0ELb0EEvPKT_PKfPKi31ggml_cuda_mm_fusion_args_devicePfi15HIP_vector_typeIjLj3EEiiiSB_iiiSB_iiii.has_dyn_sized_stack, 0
	.set _ZL13mul_mat_vec_fI6__halffLi5ELi256ELb0ELb0EEvPKT_PKfPKi31ggml_cuda_mm_fusion_args_devicePfi15HIP_vector_typeIjLj3EEiiiSB_iiiSB_iiii.has_recursion, 0
	.set _ZL13mul_mat_vec_fI6__halffLi5ELi256ELb0ELb0EEvPKT_PKfPKi31ggml_cuda_mm_fusion_args_devicePfi15HIP_vector_typeIjLj3EEiiiSB_iiiSB_iiii.has_indirect_call, 0
	.section	.AMDGPU.csdata,"",@progbits
; Kernel info:
; codeLenInByte = 2240
; TotalNumSgprs: 38
; NumVgprs: 23
; ScratchSize: 0
; MemoryBound: 0
; FloatMode: 240
; IeeeMode: 1
; LDSByteSize: 0 bytes/workgroup (compile time only)
; SGPRBlocks: 0
; VGPRBlocks: 2
; NumSGPRsForWavesPerEU: 38
; NumVGPRsForWavesPerEU: 23
; Occupancy: 16
; WaveLimiterHint : 0
; COMPUTE_PGM_RSRC2:SCRATCH_EN: 0
; COMPUTE_PGM_RSRC2:USER_SGPR: 6
; COMPUTE_PGM_RSRC2:TRAP_HANDLER: 0
; COMPUTE_PGM_RSRC2:TGID_X_EN: 1
; COMPUTE_PGM_RSRC2:TGID_Y_EN: 1
; COMPUTE_PGM_RSRC2:TGID_Z_EN: 1
; COMPUTE_PGM_RSRC2:TIDIG_COMP_CNT: 0
	.section	.text._ZL13mul_mat_vec_fI6__halffLi6ELi32ELb0ELb0EEvPKT_PKfPKi31ggml_cuda_mm_fusion_args_devicePfi15HIP_vector_typeIjLj3EEiiiSB_iiiSB_iiii,"axG",@progbits,_ZL13mul_mat_vec_fI6__halffLi6ELi32ELb0ELb0EEvPKT_PKfPKi31ggml_cuda_mm_fusion_args_devicePfi15HIP_vector_typeIjLj3EEiiiSB_iiiSB_iiii,comdat
	.globl	_ZL13mul_mat_vec_fI6__halffLi6ELi32ELb0ELb0EEvPKT_PKfPKi31ggml_cuda_mm_fusion_args_devicePfi15HIP_vector_typeIjLj3EEiiiSB_iiiSB_iiii ; -- Begin function _ZL13mul_mat_vec_fI6__halffLi6ELi32ELb0ELb0EEvPKT_PKfPKi31ggml_cuda_mm_fusion_args_devicePfi15HIP_vector_typeIjLj3EEiiiSB_iiiSB_iiii
	.p2align	8
	.type	_ZL13mul_mat_vec_fI6__halffLi6ELi32ELb0ELb0EEvPKT_PKfPKi31ggml_cuda_mm_fusion_args_devicePfi15HIP_vector_typeIjLj3EEiiiSB_iiiSB_iiii,@function
_ZL13mul_mat_vec_fI6__halffLi6ELi32ELb0ELb0EEvPKT_PKfPKi31ggml_cuda_mm_fusion_args_devicePfi15HIP_vector_typeIjLj3EEiiiSB_iiiSB_iiii: ; @_ZL13mul_mat_vec_fI6__halffLi6ELi32ELb0ELb0EEvPKT_PKfPKi31ggml_cuda_mm_fusion_args_devicePfi15HIP_vector_typeIjLj3EEiiiSB_iiiSB_iiii
; %bb.0:
	s_clause 0x2
	s_load_dwordx2 s[0:1], s[4:5], 0x10
	s_load_dwordx8 s[12:19], s[4:5], 0x40
	s_load_dwordx4 s[20:23], s[4:5], 0x80
	s_waitcnt lgkmcnt(0)
	s_cmp_eq_u64 s[0:1], 0
	s_cselect_b32 s9, -1, 0
	s_cmp_lg_u64 s[0:1], 0
	s_cselect_b32 s24, -1, 0
	s_and_b32 vcc_lo, exec_lo, s9
	s_cbranch_vccnz .LBB240_2
; %bb.1:
	s_mul_i32 s2, s23, s8
	s_mov_b32 s11, 0
	s_add_i32 s10, s2, s7
	s_lshl_b64 s[2:3], s[10:11], 2
	s_add_u32 s0, s0, s2
	s_addc_u32 s1, s1, s3
	s_load_dword s23, s[0:1], 0x0
	s_load_dwordx4 s[0:3], s[4:5], 0x68
	s_cbranch_execz .LBB240_3
	s_branch .LBB240_4
.LBB240_2:
                                        ; implicit-def: $sgpr23
	s_load_dwordx4 s[0:3], s[4:5], 0x68
.LBB240_3:
	s_load_dwordx2 s[10:11], s[4:5], 0x5c
	s_waitcnt lgkmcnt(0)
	s_mul_hi_u32 s10, s10, s7
	s_add_i32 s10, s7, s10
	s_lshr_b32 s23, s10, s11
.LBB240_4:
	s_load_dword s19, s[4:5], 0x78
	s_andn2_b32 vcc_lo, exec_lo, s24
	s_mov_b32 s24, s7
	s_cbranch_vccnz .LBB240_6
; %bb.5:
	s_mul_hi_u32 s10, s13, s7
	s_add_i32 s10, s7, s10
	s_lshr_b32 s10, s10, s14
	s_mul_i32 s10, s10, s15
	s_sub_i32 s24, s7, s10
.LBB240_6:
	v_mov_b32_e32 v6, 0
	v_mov_b32_e32 v7, 0
	;; [unrolled: 1-line block ×6, first 2 shown]
	s_and_b32 s9, exec_lo, s9
	s_mov_b32 s15, 0
	s_cselect_b32 s13, s8, 0
	s_mov_b32 s14, exec_lo
	v_cmpx_gt_i32_e64 s12, v0
	s_cbranch_execz .LBB240_10
; %bb.7:
	s_load_dwordx4 s[8:11], s[4:5], 0x0
	s_waitcnt lgkmcnt(0)
	s_mul_hi_u32 s3, s3, s13
	s_mul_hi_i32 s29, s21, s13
	s_mul_i32 s28, s21, s13
	s_mul_i32 s0, s23, s0
	;; [unrolled: 1-line block ×4, first 2 shown]
	s_add_i32 s3, s13, s3
	s_lshl_b64 s[28:29], s[28:29], 2
	s_ashr_i32 s1, s0, 31
	s_ashr_i32 s27, s26, 31
	s_ashr_i32 s25, s24, 31
	s_lshr_b32 s3, s3, s19
	s_mov_b32 s30, s17
	s_mul_hi_i32 s35, s3, s20
	s_mul_i32 s34, s3, s20
	v_lshlrev_b32_e32 v2, 3, v0
	v_lshlrev_b32_e32 v1, 2, v0
	v_mov_b32_e32 v5, 0
	v_mov_b32_e32 v11, v0
	s_add_u32 s16, s10, s28
	s_addc_u32 s19, s11, s29
	s_lshl_b64 s[24:25], s[24:25], 2
	v_mov_b32_e32 v10, 0
	s_add_u32 s3, s16, s24
	s_addc_u32 s16, s19, s25
	s_lshl_b64 s[0:1], s[0:1], 1
	s_ashr_i32 s31, s17, 31
	s_add_i32 s19, s17, s17
	s_lshl_b32 s20, s17, 2
	s_lshl_b64 s[34:35], s[34:35], 1
	s_lshl_b64 s[26:27], s[26:27], 1
	s_add_u32 s0, s8, s0
	s_addc_u32 s1, s9, s1
	s_add_u32 s0, s0, s26
	s_addc_u32 s1, s1, s27
	s_add_u32 s8, s0, s34
	s_addc_u32 s9, s1, s35
	s_lshl_b64 s[0:1], s[30:31], 3
	s_add_u32 s10, s10, s24
	s_addc_u32 s11, s11, s25
	s_add_u32 s10, s10, s28
	s_addc_u32 s11, s11, s29
	v_add_co_u32 v3, s10, s10, v2
	v_add_co_ci_u32_e64 v4, null, s11, 0, s10
	v_add_co_u32 v1, s8, s8, v1
	v_add_co_u32 v3, vcc_lo, v3, 4
	v_add_co_ci_u32_e64 v2, null, s9, 0, s8
	v_add_co_ci_u32_e64 v4, null, 0, v4, vcc_lo
	v_mov_b32_e32 v9, 0
	v_mov_b32_e32 v8, 0
	;; [unrolled: 1-line block ×4, first 2 shown]
	s_mul_i32 s8, s17, 3
	s_mul_i32 s9, s17, 5
.LBB240_8:                              ; =>This Inner Loop Header: Depth=1
	v_add_nc_u32_e32 v14, s19, v11
	v_add_nc_u32_e32 v18, s8, v11
	;; [unrolled: 1-line block ×4, first 2 shown]
	v_add_co_u32 v16, vcc_lo, v3, s0
	v_ashrrev_i32_e32 v15, 31, v14
	v_ashrrev_i32_e32 v19, 31, v18
	;; [unrolled: 1-line block ×4, first 2 shown]
	v_add_co_ci_u32_e64 v17, null, s1, v4, vcc_lo
	v_lshlrev_b64 v[14:15], 3, v[14:15]
	v_lshlrev_b64 v[18:19], 3, v[18:19]
	;; [unrolled: 1-line block ×4, first 2 shown]
	global_load_dword v24, v[1:2], off
	global_load_dwordx2 v[12:13], v[3:4], off offset:-4
	v_add_nc_u32_e32 v11, 32, v11
	v_add_co_u32 v14, vcc_lo, s3, v14
	v_add_co_ci_u32_e64 v15, null, s16, v15, vcc_lo
	v_add_co_u32 v18, vcc_lo, s3, v18
	v_add_co_ci_u32_e64 v19, null, s16, v19, vcc_lo
	;; [unrolled: 2-line block ×4, first 2 shown]
	global_load_dwordx2 v[16:17], v[16:17], off offset:-4
	s_clause 0x3
	global_load_dwordx2 v[14:15], v[14:15], off
	global_load_dwordx2 v[18:19], v[18:19], off
	;; [unrolled: 1-line block ×4, first 2 shown]
	v_add_co_u32 v1, vcc_lo, 0x80, v1
	v_add_co_ci_u32_e64 v2, null, 0, v2, vcc_lo
	v_add_co_u32 v3, vcc_lo, 0x100, v3
	v_add_co_ci_u32_e64 v4, null, 0, v4, vcc_lo
	v_cmp_le_i32_e32 vcc_lo, s12, v11
	s_or_b32 s15, vcc_lo, s15
	s_waitcnt vmcnt(5)
	v_fma_mix_f32 v5, v12, v24, v5 op_sel_hi:[0,1,0]
	v_fma_mix_f32 v5, v13, v24, v5 op_sel:[0,1,0] op_sel_hi:[0,1,0]
	s_waitcnt vmcnt(4)
	v_fma_mix_f32 v10, v16, v24, v10 op_sel_hi:[0,1,0]
	s_waitcnt vmcnt(3)
	v_fma_mix_f32 v9, v14, v24, v9 op_sel_hi:[0,1,0]
	;; [unrolled: 2-line block ×5, first 2 shown]
	v_fma_mix_f32 v10, v17, v24, v10 op_sel:[0,1,0] op_sel_hi:[0,1,0]
	v_fma_mix_f32 v9, v15, v24, v9 op_sel:[0,1,0] op_sel_hi:[0,1,0]
	;; [unrolled: 1-line block ×5, first 2 shown]
	s_andn2_b32 exec_lo, exec_lo, s15
	s_cbranch_execnz .LBB240_8
; %bb.9:
	s_or_b32 exec_lo, exec_lo, s15
.LBB240_10:
	s_or_b32 exec_lo, exec_lo, s14
	v_mbcnt_lo_u32_b32 v1, -1, 0
	s_waitcnt lgkmcnt(0)
	s_mov_b32 s0, exec_lo
	v_xor_b32_e32 v2, 16, v1
	v_xor_b32_e32 v14, 8, v1
	v_cmp_gt_i32_e32 vcc_lo, 32, v2
	v_cndmask_b32_e32 v2, v1, v2, vcc_lo
	v_cmp_gt_i32_e32 vcc_lo, 32, v14
	v_lshlrev_b32_e32 v2, 2, v2
	v_cndmask_b32_e32 v14, v1, v14, vcc_lo
	ds_bpermute_b32 v3, v2, v5
	ds_bpermute_b32 v4, v2, v10
	;; [unrolled: 1-line block ×6, first 2 shown]
	v_lshlrev_b32_e32 v14, 2, v14
	s_waitcnt lgkmcnt(5)
	v_add_f32_e32 v3, v5, v3
	s_waitcnt lgkmcnt(4)
	v_add_f32_e32 v4, v10, v4
	;; [unrolled: 2-line block ×6, first 2 shown]
	ds_bpermute_b32 v6, v14, v3
	ds_bpermute_b32 v9, v14, v4
	ds_bpermute_b32 v10, v14, v5
	ds_bpermute_b32 v11, v14, v8
	ds_bpermute_b32 v12, v14, v7
	ds_bpermute_b32 v13, v14, v2
	v_xor_b32_e32 v14, 4, v1
	v_cmp_gt_i32_e32 vcc_lo, 32, v14
	v_cndmask_b32_e32 v14, v1, v14, vcc_lo
	s_waitcnt lgkmcnt(5)
	v_add_f32_e32 v3, v3, v6
	v_lshlrev_b32_e32 v14, 2, v14
	s_waitcnt lgkmcnt(4)
	v_add_f32_e32 v4, v4, v9
	s_waitcnt lgkmcnt(3)
	v_add_f32_e32 v5, v5, v10
	s_waitcnt lgkmcnt(2)
	v_add_f32_e32 v6, v8, v11
	s_waitcnt lgkmcnt(1)
	v_add_f32_e32 v7, v7, v12
	s_waitcnt lgkmcnt(0)
	v_add_f32_e32 v2, v2, v13
	ds_bpermute_b32 v8, v14, v3
	ds_bpermute_b32 v9, v14, v4
	ds_bpermute_b32 v10, v14, v5
	ds_bpermute_b32 v11, v14, v6
	ds_bpermute_b32 v12, v14, v7
	ds_bpermute_b32 v13, v14, v2
	v_xor_b32_e32 v14, 2, v1
	v_cmp_gt_i32_e32 vcc_lo, 32, v14
	v_cndmask_b32_e32 v14, v1, v14, vcc_lo
	s_waitcnt lgkmcnt(5)
	v_add_f32_e32 v3, v3, v8
	v_lshlrev_b32_e32 v14, 2, v14
	s_waitcnt lgkmcnt(4)
	v_add_f32_e32 v4, v4, v9
	s_waitcnt lgkmcnt(3)
	v_add_f32_e32 v5, v5, v10
	s_waitcnt lgkmcnt(2)
	v_add_f32_e32 v6, v6, v11
	s_waitcnt lgkmcnt(1)
	v_add_f32_e32 v10, v7, v12
	s_waitcnt lgkmcnt(0)
	v_add_f32_e32 v2, v2, v13
	;; [unrolled: 22-line block ×3, first 2 shown]
	ds_bpermute_b32 v10, v14, v7
	ds_bpermute_b32 v11, v14, v8
	;; [unrolled: 1-line block ×6, first 2 shown]
	v_cmpx_gt_u32_e32 6, v0
	s_cbranch_execz .LBB240_12
; %bb.11:
	s_load_dwordx2 s[0:1], s[4:5], 0x38
	s_waitcnt lgkmcnt(0)
	v_add_f32_e32 v10, v7, v10
	v_add_f32_e32 v11, v8, v11
	v_cmp_eq_u32_e32 vcc_lo, 1, v0
	v_mad_u64_u32 v[7:8], null, s18, v0, s[6:7]
	v_add_f32_e32 v9, v9, v12
	v_add_f32_e32 v3, v3, v5
	v_cndmask_b32_e32 v8, v10, v11, vcc_lo
	v_cmp_eq_u32_e32 vcc_lo, 2, v0
	v_add_f32_e32 v4, v4, v6
	s_mul_hi_i32 s5, s22, s13
	s_mul_i32 s4, s22, s13
	s_mul_i32 s2, s2, s7
	v_cndmask_b32_e32 v5, v8, v9, vcc_lo
	v_cmp_eq_u32_e32 vcc_lo, 3, v0
	v_ashrrev_i32_e32 v8, 31, v7
	s_lshl_b64 s[4:5], s[4:5], 2
	s_ashr_i32 s3, s2, 31
	v_cndmask_b32_e32 v3, v5, v3, vcc_lo
	v_cmp_eq_u32_e32 vcc_lo, 4, v0
	v_add_f32_e32 v5, v1, v2
	v_lshlrev_b64 v[1:2], 2, v[7:8]
	s_add_u32 s4, s0, s4
	s_addc_u32 s5, s1, s5
	v_cndmask_b32_e32 v3, v3, v4, vcc_lo
	v_cmp_eq_u32_e32 vcc_lo, 5, v0
	s_lshl_b64 s[0:1], s[2:3], 2
	s_add_u32 s0, s4, s0
	s_addc_u32 s1, s5, s1
	v_cndmask_b32_e32 v3, v3, v5, vcc_lo
	v_add_co_u32 v0, vcc_lo, s0, v1
	v_add_co_ci_u32_e64 v1, null, s1, v2, vcc_lo
	global_store_dword v[0:1], v3, off
.LBB240_12:
	s_endpgm
	.section	.rodata,"a",@progbits
	.p2align	6, 0x0
	.amdhsa_kernel _ZL13mul_mat_vec_fI6__halffLi6ELi32ELb0ELb0EEvPKT_PKfPKi31ggml_cuda_mm_fusion_args_devicePfi15HIP_vector_typeIjLj3EEiiiSB_iiiSB_iiii
		.amdhsa_group_segment_fixed_size 0
		.amdhsa_private_segment_fixed_size 0
		.amdhsa_kernarg_size 144
		.amdhsa_user_sgpr_count 6
		.amdhsa_user_sgpr_private_segment_buffer 1
		.amdhsa_user_sgpr_dispatch_ptr 0
		.amdhsa_user_sgpr_queue_ptr 0
		.amdhsa_user_sgpr_kernarg_segment_ptr 1
		.amdhsa_user_sgpr_dispatch_id 0
		.amdhsa_user_sgpr_flat_scratch_init 0
		.amdhsa_user_sgpr_private_segment_size 0
		.amdhsa_wavefront_size32 1
		.amdhsa_uses_dynamic_stack 0
		.amdhsa_system_sgpr_private_segment_wavefront_offset 0
		.amdhsa_system_sgpr_workgroup_id_x 1
		.amdhsa_system_sgpr_workgroup_id_y 1
		.amdhsa_system_sgpr_workgroup_id_z 1
		.amdhsa_system_sgpr_workgroup_info 0
		.amdhsa_system_vgpr_workitem_id 0
		.amdhsa_next_free_vgpr 25
		.amdhsa_next_free_sgpr 36
		.amdhsa_reserve_vcc 1
		.amdhsa_reserve_flat_scratch 0
		.amdhsa_float_round_mode_32 0
		.amdhsa_float_round_mode_16_64 0
		.amdhsa_float_denorm_mode_32 3
		.amdhsa_float_denorm_mode_16_64 3
		.amdhsa_dx10_clamp 1
		.amdhsa_ieee_mode 1
		.amdhsa_fp16_overflow 0
		.amdhsa_workgroup_processor_mode 1
		.amdhsa_memory_ordered 1
		.amdhsa_forward_progress 1
		.amdhsa_shared_vgpr_count 0
		.amdhsa_exception_fp_ieee_invalid_op 0
		.amdhsa_exception_fp_denorm_src 0
		.amdhsa_exception_fp_ieee_div_zero 0
		.amdhsa_exception_fp_ieee_overflow 0
		.amdhsa_exception_fp_ieee_underflow 0
		.amdhsa_exception_fp_ieee_inexact 0
		.amdhsa_exception_int_div_zero 0
	.end_amdhsa_kernel
	.section	.text._ZL13mul_mat_vec_fI6__halffLi6ELi32ELb0ELb0EEvPKT_PKfPKi31ggml_cuda_mm_fusion_args_devicePfi15HIP_vector_typeIjLj3EEiiiSB_iiiSB_iiii,"axG",@progbits,_ZL13mul_mat_vec_fI6__halffLi6ELi32ELb0ELb0EEvPKT_PKfPKi31ggml_cuda_mm_fusion_args_devicePfi15HIP_vector_typeIjLj3EEiiiSB_iiiSB_iiii,comdat
.Lfunc_end240:
	.size	_ZL13mul_mat_vec_fI6__halffLi6ELi32ELb0ELb0EEvPKT_PKfPKi31ggml_cuda_mm_fusion_args_devicePfi15HIP_vector_typeIjLj3EEiiiSB_iiiSB_iiii, .Lfunc_end240-_ZL13mul_mat_vec_fI6__halffLi6ELi32ELb0ELb0EEvPKT_PKfPKi31ggml_cuda_mm_fusion_args_devicePfi15HIP_vector_typeIjLj3EEiiiSB_iiiSB_iiii
                                        ; -- End function
	.set _ZL13mul_mat_vec_fI6__halffLi6ELi32ELb0ELb0EEvPKT_PKfPKi31ggml_cuda_mm_fusion_args_devicePfi15HIP_vector_typeIjLj3EEiiiSB_iiiSB_iiii.num_vgpr, 25
	.set _ZL13mul_mat_vec_fI6__halffLi6ELi32ELb0ELb0EEvPKT_PKfPKi31ggml_cuda_mm_fusion_args_devicePfi15HIP_vector_typeIjLj3EEiiiSB_iiiSB_iiii.num_agpr, 0
	.set _ZL13mul_mat_vec_fI6__halffLi6ELi32ELb0ELb0EEvPKT_PKfPKi31ggml_cuda_mm_fusion_args_devicePfi15HIP_vector_typeIjLj3EEiiiSB_iiiSB_iiii.numbered_sgpr, 36
	.set _ZL13mul_mat_vec_fI6__halffLi6ELi32ELb0ELb0EEvPKT_PKfPKi31ggml_cuda_mm_fusion_args_devicePfi15HIP_vector_typeIjLj3EEiiiSB_iiiSB_iiii.num_named_barrier, 0
	.set _ZL13mul_mat_vec_fI6__halffLi6ELi32ELb0ELb0EEvPKT_PKfPKi31ggml_cuda_mm_fusion_args_devicePfi15HIP_vector_typeIjLj3EEiiiSB_iiiSB_iiii.private_seg_size, 0
	.set _ZL13mul_mat_vec_fI6__halffLi6ELi32ELb0ELb0EEvPKT_PKfPKi31ggml_cuda_mm_fusion_args_devicePfi15HIP_vector_typeIjLj3EEiiiSB_iiiSB_iiii.uses_vcc, 1
	.set _ZL13mul_mat_vec_fI6__halffLi6ELi32ELb0ELb0EEvPKT_PKfPKi31ggml_cuda_mm_fusion_args_devicePfi15HIP_vector_typeIjLj3EEiiiSB_iiiSB_iiii.uses_flat_scratch, 0
	.set _ZL13mul_mat_vec_fI6__halffLi6ELi32ELb0ELb0EEvPKT_PKfPKi31ggml_cuda_mm_fusion_args_devicePfi15HIP_vector_typeIjLj3EEiiiSB_iiiSB_iiii.has_dyn_sized_stack, 0
	.set _ZL13mul_mat_vec_fI6__halffLi6ELi32ELb0ELb0EEvPKT_PKfPKi31ggml_cuda_mm_fusion_args_devicePfi15HIP_vector_typeIjLj3EEiiiSB_iiiSB_iiii.has_recursion, 0
	.set _ZL13mul_mat_vec_fI6__halffLi6ELi32ELb0ELb0EEvPKT_PKfPKi31ggml_cuda_mm_fusion_args_devicePfi15HIP_vector_typeIjLj3EEiiiSB_iiiSB_iiii.has_indirect_call, 0
	.section	.AMDGPU.csdata,"",@progbits
; Kernel info:
; codeLenInByte = 1572
; TotalNumSgprs: 38
; NumVgprs: 25
; ScratchSize: 0
; MemoryBound: 0
; FloatMode: 240
; IeeeMode: 1
; LDSByteSize: 0 bytes/workgroup (compile time only)
; SGPRBlocks: 0
; VGPRBlocks: 3
; NumSGPRsForWavesPerEU: 38
; NumVGPRsForWavesPerEU: 25
; Occupancy: 16
; WaveLimiterHint : 0
; COMPUTE_PGM_RSRC2:SCRATCH_EN: 0
; COMPUTE_PGM_RSRC2:USER_SGPR: 6
; COMPUTE_PGM_RSRC2:TRAP_HANDLER: 0
; COMPUTE_PGM_RSRC2:TGID_X_EN: 1
; COMPUTE_PGM_RSRC2:TGID_Y_EN: 1
; COMPUTE_PGM_RSRC2:TGID_Z_EN: 1
; COMPUTE_PGM_RSRC2:TIDIG_COMP_CNT: 0
	.section	.text._ZL13mul_mat_vec_fI6__halffLi6ELi64ELb0ELb0EEvPKT_PKfPKi31ggml_cuda_mm_fusion_args_devicePfi15HIP_vector_typeIjLj3EEiiiSB_iiiSB_iiii,"axG",@progbits,_ZL13mul_mat_vec_fI6__halffLi6ELi64ELb0ELb0EEvPKT_PKfPKi31ggml_cuda_mm_fusion_args_devicePfi15HIP_vector_typeIjLj3EEiiiSB_iiiSB_iiii,comdat
	.globl	_ZL13mul_mat_vec_fI6__halffLi6ELi64ELb0ELb0EEvPKT_PKfPKi31ggml_cuda_mm_fusion_args_devicePfi15HIP_vector_typeIjLj3EEiiiSB_iiiSB_iiii ; -- Begin function _ZL13mul_mat_vec_fI6__halffLi6ELi64ELb0ELb0EEvPKT_PKfPKi31ggml_cuda_mm_fusion_args_devicePfi15HIP_vector_typeIjLj3EEiiiSB_iiiSB_iiii
	.p2align	8
	.type	_ZL13mul_mat_vec_fI6__halffLi6ELi64ELb0ELb0EEvPKT_PKfPKi31ggml_cuda_mm_fusion_args_devicePfi15HIP_vector_typeIjLj3EEiiiSB_iiiSB_iiii,@function
_ZL13mul_mat_vec_fI6__halffLi6ELi64ELb0ELb0EEvPKT_PKfPKi31ggml_cuda_mm_fusion_args_devicePfi15HIP_vector_typeIjLj3EEiiiSB_iiiSB_iiii: ; @_ZL13mul_mat_vec_fI6__halffLi6ELi64ELb0ELb0EEvPKT_PKfPKi31ggml_cuda_mm_fusion_args_devicePfi15HIP_vector_typeIjLj3EEiiiSB_iiiSB_iiii
; %bb.0:
	s_clause 0x2
	s_load_dwordx2 s[0:1], s[4:5], 0x10
	s_load_dwordx8 s[12:19], s[4:5], 0x40
	s_load_dwordx4 s[20:23], s[4:5], 0x80
	s_waitcnt lgkmcnt(0)
	s_cmp_eq_u64 s[0:1], 0
	s_cselect_b32 s10, -1, 0
	s_cmp_lg_u64 s[0:1], 0
	s_cselect_b32 s11, -1, 0
	s_and_b32 vcc_lo, exec_lo, s10
	s_cbranch_vccnz .LBB241_2
; %bb.1:
	s_mul_i32 s2, s23, s8
	s_mov_b32 s3, 0
	s_add_i32 s2, s2, s7
	s_lshl_b64 s[24:25], s[2:3], 2
	s_add_u32 s0, s0, s24
	s_addc_u32 s1, s1, s25
	s_load_dword s9, s[0:1], 0x0
	s_cbranch_execz .LBB241_3
	s_branch .LBB241_4
.LBB241_2:
                                        ; implicit-def: $sgpr9
.LBB241_3:
	s_load_dwordx2 s[0:1], s[4:5], 0x5c
	s_waitcnt lgkmcnt(0)
	s_mul_hi_u32 s0, s0, s7
	s_add_i32 s0, s7, s0
	s_lshr_b32 s9, s0, s1
.LBB241_4:
	s_load_dwordx4 s[24:27], s[4:5], 0x68
	s_andn2_b32 vcc_lo, exec_lo, s11
	s_mov_b32 s19, s7
	s_cbranch_vccnz .LBB241_6
; %bb.5:
	s_mul_hi_u32 s0, s13, s7
	s_add_i32 s0, s7, s0
	s_lshr_b32 s0, s0, s14
	s_mul_i32 s0, s0, s15
	s_sub_i32 s19, s7, s0
.LBB241_6:
	s_load_dword s14, s[4:5], 0x78
	v_cmp_gt_u32_e32 vcc_lo, 32, v0
	v_lshl_add_u32 v5, v0, 2, 0
	s_and_saveexec_b32 s0, vcc_lo
; %bb.7:
	v_mov_b32_e32 v1, 0
	ds_write_b32 v5, v1
; %bb.8:
	s_or_b32 exec_lo, exec_lo, s0
	v_mov_b32_e32 v6, 0
	v_mov_b32_e32 v7, 0
	;; [unrolled: 1-line block ×6, first 2 shown]
	s_and_b32 s0, exec_lo, s10
	s_mov_b32 s11, 0
	s_cselect_b32 s10, s8, 0
	s_mov_b32 s13, exec_lo
	s_waitcnt lgkmcnt(0)
	s_barrier
	buffer_gl0_inv
	v_cmpx_gt_i32_e64 s12, v0
	s_cbranch_execz .LBB241_12
; %bb.9:
	s_load_dwordx4 s[0:3], s[4:5], 0x0
	s_mul_hi_u32 s15, s27, s10
	s_mul_hi_i32 s29, s21, s10
	s_mul_i32 s28, s21, s10
	s_mul_i32 s8, s9, s24
	;; [unrolled: 1-line block ×4, first 2 shown]
	s_add_i32 s15, s10, s15
	s_lshl_b64 s[28:29], s[28:29], 2
	s_ashr_i32 s9, s8, 31
	s_ashr_i32 s25, s24, 31
	;; [unrolled: 1-line block ×3, first 2 shown]
	s_lshr_b32 s14, s15, s14
	s_mov_b32 s34, s17
	s_mul_hi_i32 s21, s14, s20
	s_mul_i32 s20, s14, s20
	v_lshlrev_b32_e32 v2, 3, v0
	v_lshlrev_b32_e32 v1, 2, v0
	v_mov_b32_e32 v10, 0
	v_mov_b32_e32 v12, v0
	s_waitcnt lgkmcnt(0)
	s_add_u32 s15, s2, s28
	s_addc_u32 s16, s3, s29
	s_lshl_b64 s[30:31], s[30:31], 2
	v_mov_b32_e32 v11, 0
	s_add_u32 s14, s15, s30
	s_addc_u32 s15, s16, s31
	s_lshl_b64 s[8:9], s[8:9], 1
	s_ashr_i32 s35, s17, 31
	s_add_i32 s16, s17, s17
	s_lshl_b32 s19, s17, 2
	s_lshl_b64 s[20:21], s[20:21], 1
	s_lshl_b64 s[24:25], s[24:25], 1
	s_add_u32 s0, s0, s8
	s_addc_u32 s1, s1, s9
	s_add_u32 s0, s0, s24
	s_addc_u32 s1, s1, s25
	;; [unrolled: 2-line block ×3, first 2 shown]
	s_lshl_b64 s[8:9], s[34:35], 3
	s_add_u32 s2, s2, s30
	s_addc_u32 s3, s3, s31
	s_add_u32 s2, s2, s28
	s_addc_u32 s3, s3, s29
	v_add_co_u32 v3, s2, s2, v2
	v_add_co_ci_u32_e64 v4, null, s3, 0, s2
	v_add_co_u32 v1, s0, s0, v1
	v_add_co_ci_u32_e64 v2, null, s1, 0, s0
	;; [unrolled: 2-line block ×3, first 2 shown]
	v_mov_b32_e32 v9, 0
	v_mov_b32_e32 v8, 0
	;; [unrolled: 1-line block ×4, first 2 shown]
	s_mul_i32 s1, s17, 3
	s_mul_i32 s2, s17, 5
.LBB241_10:                             ; =>This Inner Loop Header: Depth=1
	v_add_nc_u32_e32 v15, s16, v12
	v_add_nc_u32_e32 v19, s1, v12
	;; [unrolled: 1-line block ×4, first 2 shown]
	v_add_co_u32 v17, s0, v3, s8
	v_ashrrev_i32_e32 v16, 31, v15
	v_ashrrev_i32_e32 v20, 31, v19
	;; [unrolled: 1-line block ×4, first 2 shown]
	v_add_co_ci_u32_e64 v18, null, s9, v4, s0
	v_lshlrev_b64 v[15:16], 3, v[15:16]
	v_lshlrev_b64 v[19:20], 3, v[19:20]
	;; [unrolled: 1-line block ×4, first 2 shown]
	global_load_dword v25, v[1:2], off
	global_load_dwordx2 v[13:14], v[3:4], off offset:-4
	v_add_nc_u32_e32 v12, 64, v12
	v_add_co_u32 v15, s0, s14, v15
	v_add_co_ci_u32_e64 v16, null, s15, v16, s0
	v_add_co_u32 v19, s0, s14, v19
	v_add_co_ci_u32_e64 v20, null, s15, v20, s0
	;; [unrolled: 2-line block ×4, first 2 shown]
	global_load_dwordx2 v[17:18], v[17:18], off offset:-4
	s_clause 0x3
	global_load_dwordx2 v[15:16], v[15:16], off
	global_load_dwordx2 v[19:20], v[19:20], off
	global_load_dwordx2 v[21:22], v[21:22], off
	global_load_dwordx2 v[23:24], v[23:24], off
	v_add_co_u32 v1, s0, 0x100, v1
	v_add_co_ci_u32_e64 v2, null, 0, v2, s0
	v_add_co_u32 v3, s0, 0x200, v3
	v_add_co_ci_u32_e64 v4, null, 0, v4, s0
	v_cmp_le_i32_e64 s0, s12, v12
	s_or_b32 s11, s0, s11
	s_waitcnt vmcnt(5)
	v_fma_mix_f32 v10, v13, v25, v10 op_sel_hi:[0,1,0]
	v_fma_mix_f32 v10, v14, v25, v10 op_sel:[0,1,0] op_sel_hi:[0,1,0]
	s_waitcnt vmcnt(4)
	v_fma_mix_f32 v11, v17, v25, v11 op_sel_hi:[0,1,0]
	s_waitcnt vmcnt(3)
	v_fma_mix_f32 v9, v15, v25, v9 op_sel_hi:[0,1,0]
	;; [unrolled: 2-line block ×5, first 2 shown]
	v_fma_mix_f32 v11, v18, v25, v11 op_sel:[0,1,0] op_sel_hi:[0,1,0]
	v_fma_mix_f32 v9, v16, v25, v9 op_sel:[0,1,0] op_sel_hi:[0,1,0]
	;; [unrolled: 1-line block ×5, first 2 shown]
	s_andn2_b32 exec_lo, exec_lo, s11
	s_cbranch_execnz .LBB241_10
; %bb.11:
	s_or_b32 exec_lo, exec_lo, s11
.LBB241_12:
	s_or_b32 exec_lo, exec_lo, s13
	v_mbcnt_lo_u32_b32 v2, -1, 0
	v_xor_b32_e32 v1, 16, v2
	v_xor_b32_e32 v3, 8, v2
	v_cmp_gt_i32_e64 s0, 32, v1
	v_cndmask_b32_e64 v1, v2, v1, s0
	v_cmp_gt_i32_e64 s0, 32, v3
	v_lshlrev_b32_e32 v1, 2, v1
	v_cndmask_b32_e64 v3, v2, v3, s0
	ds_bpermute_b32 v4, v1, v10
	v_lshlrev_b32_e32 v3, 2, v3
	s_waitcnt lgkmcnt(0)
	v_add_f32_e32 v10, v10, v4
	v_xor_b32_e32 v4, 4, v2
	ds_bpermute_b32 v12, v3, v10
	v_cmp_gt_i32_e64 s0, 32, v4
	v_cndmask_b32_e64 v4, v2, v4, s0
	v_lshlrev_b32_e32 v4, 2, v4
	s_waitcnt lgkmcnt(0)
	v_add_f32_e32 v12, v10, v12
	v_xor_b32_e32 v10, 2, v2
	ds_bpermute_b32 v13, v4, v12
	v_cmp_gt_i32_e64 s0, 32, v10
	v_cndmask_b32_e64 v10, v2, v10, s0
	;; [unrolled: 7-line block ×3, first 2 shown]
	v_lshlrev_b32_e32 v12, 2, v2
	s_waitcnt lgkmcnt(0)
	v_add_f32_e32 v2, v13, v14
	v_lshrrev_b32_e32 v13, 3, v0
	ds_bpermute_b32 v14, v12, v2
	v_and_b32_e32 v13, 0x7c, v13
	v_add_nc_u32_e32 v13, 0, v13
	s_waitcnt lgkmcnt(0)
	v_add_f32_e32 v2, v2, v14
	ds_write_b32 v13, v2
	s_waitcnt lgkmcnt(0)
	s_barrier
	buffer_gl0_inv
	s_and_saveexec_b32 s0, vcc_lo
	s_cbranch_execz .LBB241_14
; %bb.13:
	ds_read_b32 v2, v5
	s_waitcnt lgkmcnt(0)
	ds_bpermute_b32 v14, v1, v2
	s_waitcnt lgkmcnt(0)
	v_add_f32_e32 v2, v2, v14
	ds_bpermute_b32 v14, v3, v2
	s_waitcnt lgkmcnt(0)
	v_add_f32_e32 v2, v2, v14
	ds_bpermute_b32 v14, v4, v2
	s_waitcnt lgkmcnt(0)
	v_add_f32_e32 v2, v2, v14
	ds_bpermute_b32 v14, v10, v2
	s_waitcnt lgkmcnt(0)
	v_add_f32_e32 v2, v2, v14
	ds_bpermute_b32 v14, v12, v2
	s_waitcnt lgkmcnt(0)
	v_add_f32_e32 v2, v2, v14
.LBB241_14:
	s_or_b32 exec_lo, exec_lo, s0
	ds_bpermute_b32 v14, v1, v11
	s_waitcnt lgkmcnt(0)
	s_barrier
	buffer_gl0_inv
	v_add_f32_e32 v11, v11, v14
	ds_bpermute_b32 v14, v3, v11
	s_waitcnt lgkmcnt(0)
	v_add_f32_e32 v11, v11, v14
	ds_bpermute_b32 v14, v4, v11
	s_waitcnt lgkmcnt(0)
	v_add_f32_e32 v11, v11, v14
	ds_bpermute_b32 v14, v10, v11
	s_waitcnt lgkmcnt(0)
	v_add_f32_e32 v11, v11, v14
	ds_bpermute_b32 v14, v12, v11
	s_waitcnt lgkmcnt(0)
	v_add_f32_e32 v11, v11, v14
	ds_write_b32 v13, v11
	s_waitcnt lgkmcnt(0)
	s_barrier
	buffer_gl0_inv
	s_and_saveexec_b32 s0, vcc_lo
	s_cbranch_execz .LBB241_16
; %bb.15:
	ds_read_b32 v11, v5
	s_waitcnt lgkmcnt(0)
	ds_bpermute_b32 v14, v1, v11
	s_waitcnt lgkmcnt(0)
	v_add_f32_e32 v11, v11, v14
	ds_bpermute_b32 v14, v3, v11
	s_waitcnt lgkmcnt(0)
	v_add_f32_e32 v11, v11, v14
	ds_bpermute_b32 v14, v4, v11
	s_waitcnt lgkmcnt(0)
	v_add_f32_e32 v11, v11, v14
	ds_bpermute_b32 v14, v10, v11
	s_waitcnt lgkmcnt(0)
	v_add_f32_e32 v11, v11, v14
	ds_bpermute_b32 v14, v12, v11
	s_waitcnt lgkmcnt(0)
	v_add_f32_e32 v11, v11, v14
.LBB241_16:
	s_or_b32 exec_lo, exec_lo, s0
	ds_bpermute_b32 v14, v1, v9
	s_waitcnt lgkmcnt(0)
	s_barrier
	buffer_gl0_inv
	v_add_f32_e32 v9, v9, v14
	ds_bpermute_b32 v14, v3, v9
	s_waitcnt lgkmcnt(0)
	v_add_f32_e32 v9, v9, v14
	ds_bpermute_b32 v14, v4, v9
	s_waitcnt lgkmcnt(0)
	v_add_f32_e32 v9, v9, v14
	ds_bpermute_b32 v14, v10, v9
	s_waitcnt lgkmcnt(0)
	v_add_f32_e32 v9, v9, v14
	ds_bpermute_b32 v14, v12, v9
	;; [unrolled: 43-line block ×5, first 2 shown]
	s_waitcnt lgkmcnt(0)
	v_add_f32_e32 v6, v6, v14
	ds_write_b32 v13, v6
	s_waitcnt lgkmcnt(0)
	s_barrier
	buffer_gl0_inv
	s_and_saveexec_b32 s0, vcc_lo
	s_cbranch_execz .LBB241_24
; %bb.23:
	ds_read_b32 v5, v5
	s_waitcnt lgkmcnt(0)
	ds_bpermute_b32 v1, v1, v5
	s_waitcnt lgkmcnt(0)
	v_add_f32_e32 v1, v5, v1
	ds_bpermute_b32 v3, v3, v1
	s_waitcnt lgkmcnt(0)
	v_add_f32_e32 v1, v1, v3
	;; [unrolled: 3-line block ×5, first 2 shown]
.LBB241_24:
	s_or_b32 exec_lo, exec_lo, s0
	s_barrier
	buffer_gl0_inv
	s_mov_b32 s0, exec_lo
	v_cmpx_gt_u32_e32 6, v0
	s_cbranch_execz .LBB241_26
; %bb.25:
	s_load_dwordx2 s[0:1], s[4:5], 0x38
	v_cmp_eq_u32_e32 vcc_lo, 1, v0
	s_mul_hi_i32 s3, s22, s10
	s_mul_i32 s2, s22, s10
	s_mul_i32 s4, s26, s7
	s_lshl_b64 s[2:3], s[2:3], 2
	v_cndmask_b32_e32 v3, v2, v11, vcc_lo
	v_cmp_eq_u32_e32 vcc_lo, 2, v0
	v_mad_u64_u32 v[1:2], null, s18, v0, s[6:7]
	s_ashr_i32 s5, s4, 31
	v_cndmask_b32_e32 v3, v3, v9, vcc_lo
	v_cmp_eq_u32_e32 vcc_lo, 3, v0
	v_ashrrev_i32_e32 v2, 31, v1
	v_cndmask_b32_e32 v3, v3, v8, vcc_lo
	v_cmp_eq_u32_e32 vcc_lo, 4, v0
	s_waitcnt lgkmcnt(0)
	s_add_u32 s2, s0, s2
	v_lshlrev_b64 v[1:2], 2, v[1:2]
	s_addc_u32 s3, s1, s3
	s_lshl_b64 s[0:1], s[4:5], 2
	v_cndmask_b32_e32 v3, v3, v7, vcc_lo
	v_cmp_eq_u32_e32 vcc_lo, 5, v0
	s_add_u32 s0, s2, s0
	s_addc_u32 s1, s3, s1
	v_cndmask_b32_e32 v3, v3, v6, vcc_lo
	v_add_co_u32 v0, vcc_lo, s0, v1
	v_add_co_ci_u32_e64 v1, null, s1, v2, vcc_lo
	global_store_dword v[0:1], v3, off
.LBB241_26:
	s_endpgm
	.section	.rodata,"a",@progbits
	.p2align	6, 0x0
	.amdhsa_kernel _ZL13mul_mat_vec_fI6__halffLi6ELi64ELb0ELb0EEvPKT_PKfPKi31ggml_cuda_mm_fusion_args_devicePfi15HIP_vector_typeIjLj3EEiiiSB_iiiSB_iiii
		.amdhsa_group_segment_fixed_size 0
		.amdhsa_private_segment_fixed_size 0
		.amdhsa_kernarg_size 144
		.amdhsa_user_sgpr_count 6
		.amdhsa_user_sgpr_private_segment_buffer 1
		.amdhsa_user_sgpr_dispatch_ptr 0
		.amdhsa_user_sgpr_queue_ptr 0
		.amdhsa_user_sgpr_kernarg_segment_ptr 1
		.amdhsa_user_sgpr_dispatch_id 0
		.amdhsa_user_sgpr_flat_scratch_init 0
		.amdhsa_user_sgpr_private_segment_size 0
		.amdhsa_wavefront_size32 1
		.amdhsa_uses_dynamic_stack 0
		.amdhsa_system_sgpr_private_segment_wavefront_offset 0
		.amdhsa_system_sgpr_workgroup_id_x 1
		.amdhsa_system_sgpr_workgroup_id_y 1
		.amdhsa_system_sgpr_workgroup_id_z 1
		.amdhsa_system_sgpr_workgroup_info 0
		.amdhsa_system_vgpr_workitem_id 0
		.amdhsa_next_free_vgpr 26
		.amdhsa_next_free_sgpr 36
		.amdhsa_reserve_vcc 1
		.amdhsa_reserve_flat_scratch 0
		.amdhsa_float_round_mode_32 0
		.amdhsa_float_round_mode_16_64 0
		.amdhsa_float_denorm_mode_32 3
		.amdhsa_float_denorm_mode_16_64 3
		.amdhsa_dx10_clamp 1
		.amdhsa_ieee_mode 1
		.amdhsa_fp16_overflow 0
		.amdhsa_workgroup_processor_mode 1
		.amdhsa_memory_ordered 1
		.amdhsa_forward_progress 1
		.amdhsa_shared_vgpr_count 0
		.amdhsa_exception_fp_ieee_invalid_op 0
		.amdhsa_exception_fp_denorm_src 0
		.amdhsa_exception_fp_ieee_div_zero 0
		.amdhsa_exception_fp_ieee_overflow 0
		.amdhsa_exception_fp_ieee_underflow 0
		.amdhsa_exception_fp_ieee_inexact 0
		.amdhsa_exception_int_div_zero 0
	.end_amdhsa_kernel
	.section	.text._ZL13mul_mat_vec_fI6__halffLi6ELi64ELb0ELb0EEvPKT_PKfPKi31ggml_cuda_mm_fusion_args_devicePfi15HIP_vector_typeIjLj3EEiiiSB_iiiSB_iiii,"axG",@progbits,_ZL13mul_mat_vec_fI6__halffLi6ELi64ELb0ELb0EEvPKT_PKfPKi31ggml_cuda_mm_fusion_args_devicePfi15HIP_vector_typeIjLj3EEiiiSB_iiiSB_iiii,comdat
.Lfunc_end241:
	.size	_ZL13mul_mat_vec_fI6__halffLi6ELi64ELb0ELb0EEvPKT_PKfPKi31ggml_cuda_mm_fusion_args_devicePfi15HIP_vector_typeIjLj3EEiiiSB_iiiSB_iiii, .Lfunc_end241-_ZL13mul_mat_vec_fI6__halffLi6ELi64ELb0ELb0EEvPKT_PKfPKi31ggml_cuda_mm_fusion_args_devicePfi15HIP_vector_typeIjLj3EEiiiSB_iiiSB_iiii
                                        ; -- End function
	.set _ZL13mul_mat_vec_fI6__halffLi6ELi64ELb0ELb0EEvPKT_PKfPKi31ggml_cuda_mm_fusion_args_devicePfi15HIP_vector_typeIjLj3EEiiiSB_iiiSB_iiii.num_vgpr, 26
	.set _ZL13mul_mat_vec_fI6__halffLi6ELi64ELb0ELb0EEvPKT_PKfPKi31ggml_cuda_mm_fusion_args_devicePfi15HIP_vector_typeIjLj3EEiiiSB_iiiSB_iiii.num_agpr, 0
	.set _ZL13mul_mat_vec_fI6__halffLi6ELi64ELb0ELb0EEvPKT_PKfPKi31ggml_cuda_mm_fusion_args_devicePfi15HIP_vector_typeIjLj3EEiiiSB_iiiSB_iiii.numbered_sgpr, 36
	.set _ZL13mul_mat_vec_fI6__halffLi6ELi64ELb0ELb0EEvPKT_PKfPKi31ggml_cuda_mm_fusion_args_devicePfi15HIP_vector_typeIjLj3EEiiiSB_iiiSB_iiii.num_named_barrier, 0
	.set _ZL13mul_mat_vec_fI6__halffLi6ELi64ELb0ELb0EEvPKT_PKfPKi31ggml_cuda_mm_fusion_args_devicePfi15HIP_vector_typeIjLj3EEiiiSB_iiiSB_iiii.private_seg_size, 0
	.set _ZL13mul_mat_vec_fI6__halffLi6ELi64ELb0ELb0EEvPKT_PKfPKi31ggml_cuda_mm_fusion_args_devicePfi15HIP_vector_typeIjLj3EEiiiSB_iiiSB_iiii.uses_vcc, 1
	.set _ZL13mul_mat_vec_fI6__halffLi6ELi64ELb0ELb0EEvPKT_PKfPKi31ggml_cuda_mm_fusion_args_devicePfi15HIP_vector_typeIjLj3EEiiiSB_iiiSB_iiii.uses_flat_scratch, 0
	.set _ZL13mul_mat_vec_fI6__halffLi6ELi64ELb0ELb0EEvPKT_PKfPKi31ggml_cuda_mm_fusion_args_devicePfi15HIP_vector_typeIjLj3EEiiiSB_iiiSB_iiii.has_dyn_sized_stack, 0
	.set _ZL13mul_mat_vec_fI6__halffLi6ELi64ELb0ELb0EEvPKT_PKfPKi31ggml_cuda_mm_fusion_args_devicePfi15HIP_vector_typeIjLj3EEiiiSB_iiiSB_iiii.has_recursion, 0
	.set _ZL13mul_mat_vec_fI6__halffLi6ELi64ELb0ELb0EEvPKT_PKfPKi31ggml_cuda_mm_fusion_args_devicePfi15HIP_vector_typeIjLj3EEiiiSB_iiiSB_iiii.has_indirect_call, 0
	.section	.AMDGPU.csdata,"",@progbits
; Kernel info:
; codeLenInByte = 2532
; TotalNumSgprs: 38
; NumVgprs: 26
; ScratchSize: 0
; MemoryBound: 0
; FloatMode: 240
; IeeeMode: 1
; LDSByteSize: 0 bytes/workgroup (compile time only)
; SGPRBlocks: 0
; VGPRBlocks: 3
; NumSGPRsForWavesPerEU: 38
; NumVGPRsForWavesPerEU: 26
; Occupancy: 16
; WaveLimiterHint : 0
; COMPUTE_PGM_RSRC2:SCRATCH_EN: 0
; COMPUTE_PGM_RSRC2:USER_SGPR: 6
; COMPUTE_PGM_RSRC2:TRAP_HANDLER: 0
; COMPUTE_PGM_RSRC2:TGID_X_EN: 1
; COMPUTE_PGM_RSRC2:TGID_Y_EN: 1
; COMPUTE_PGM_RSRC2:TGID_Z_EN: 1
; COMPUTE_PGM_RSRC2:TIDIG_COMP_CNT: 0
	.section	.text._ZL13mul_mat_vec_fI6__halffLi6ELi96ELb0ELb0EEvPKT_PKfPKi31ggml_cuda_mm_fusion_args_devicePfi15HIP_vector_typeIjLj3EEiiiSB_iiiSB_iiii,"axG",@progbits,_ZL13mul_mat_vec_fI6__halffLi6ELi96ELb0ELb0EEvPKT_PKfPKi31ggml_cuda_mm_fusion_args_devicePfi15HIP_vector_typeIjLj3EEiiiSB_iiiSB_iiii,comdat
	.globl	_ZL13mul_mat_vec_fI6__halffLi6ELi96ELb0ELb0EEvPKT_PKfPKi31ggml_cuda_mm_fusion_args_devicePfi15HIP_vector_typeIjLj3EEiiiSB_iiiSB_iiii ; -- Begin function _ZL13mul_mat_vec_fI6__halffLi6ELi96ELb0ELb0EEvPKT_PKfPKi31ggml_cuda_mm_fusion_args_devicePfi15HIP_vector_typeIjLj3EEiiiSB_iiiSB_iiii
	.p2align	8
	.type	_ZL13mul_mat_vec_fI6__halffLi6ELi96ELb0ELb0EEvPKT_PKfPKi31ggml_cuda_mm_fusion_args_devicePfi15HIP_vector_typeIjLj3EEiiiSB_iiiSB_iiii,@function
_ZL13mul_mat_vec_fI6__halffLi6ELi96ELb0ELb0EEvPKT_PKfPKi31ggml_cuda_mm_fusion_args_devicePfi15HIP_vector_typeIjLj3EEiiiSB_iiiSB_iiii: ; @_ZL13mul_mat_vec_fI6__halffLi6ELi96ELb0ELb0EEvPKT_PKfPKi31ggml_cuda_mm_fusion_args_devicePfi15HIP_vector_typeIjLj3EEiiiSB_iiiSB_iiii
; %bb.0:
	s_clause 0x2
	s_load_dwordx2 s[0:1], s[4:5], 0x10
	s_load_dwordx8 s[12:19], s[4:5], 0x40
	s_load_dwordx4 s[20:23], s[4:5], 0x80
	s_waitcnt lgkmcnt(0)
	s_cmp_eq_u64 s[0:1], 0
	s_cselect_b32 s10, -1, 0
	s_cmp_lg_u64 s[0:1], 0
	s_cselect_b32 s11, -1, 0
	s_and_b32 vcc_lo, exec_lo, s10
	s_cbranch_vccnz .LBB242_2
; %bb.1:
	s_mul_i32 s2, s23, s8
	s_mov_b32 s3, 0
	s_add_i32 s2, s2, s7
	s_lshl_b64 s[24:25], s[2:3], 2
	s_add_u32 s0, s0, s24
	s_addc_u32 s1, s1, s25
	s_load_dword s9, s[0:1], 0x0
	s_cbranch_execz .LBB242_3
	s_branch .LBB242_4
.LBB242_2:
                                        ; implicit-def: $sgpr9
.LBB242_3:
	s_load_dwordx2 s[0:1], s[4:5], 0x5c
	s_waitcnt lgkmcnt(0)
	s_mul_hi_u32 s0, s0, s7
	s_add_i32 s0, s7, s0
	s_lshr_b32 s9, s0, s1
.LBB242_4:
	s_load_dwordx4 s[24:27], s[4:5], 0x68
	s_andn2_b32 vcc_lo, exec_lo, s11
	s_mov_b32 s19, s7
	s_cbranch_vccnz .LBB242_6
; %bb.5:
	s_mul_hi_u32 s0, s13, s7
	s_add_i32 s0, s7, s0
	s_lshr_b32 s0, s0, s14
	s_mul_i32 s0, s0, s15
	s_sub_i32 s19, s7, s0
.LBB242_6:
	s_load_dword s14, s[4:5], 0x78
	v_cmp_gt_u32_e32 vcc_lo, 32, v0
	v_lshl_add_u32 v5, v0, 2, 0
	s_and_saveexec_b32 s0, vcc_lo
; %bb.7:
	v_mov_b32_e32 v1, 0
	ds_write_b32 v5, v1
; %bb.8:
	s_or_b32 exec_lo, exec_lo, s0
	v_mov_b32_e32 v6, 0
	v_mov_b32_e32 v7, 0
	v_mov_b32_e32 v8, 0
	v_mov_b32_e32 v9, 0
	v_mov_b32_e32 v11, 0
	v_mov_b32_e32 v10, 0
	s_and_b32 s0, exec_lo, s10
	s_mov_b32 s11, 0
	s_cselect_b32 s10, s8, 0
	s_mov_b32 s13, exec_lo
	s_waitcnt lgkmcnt(0)
	s_barrier
	buffer_gl0_inv
	v_cmpx_gt_i32_e64 s12, v0
	s_cbranch_execz .LBB242_12
; %bb.9:
	s_load_dwordx4 s[0:3], s[4:5], 0x0
	s_mul_hi_u32 s15, s27, s10
	s_mul_hi_i32 s29, s21, s10
	s_mul_i32 s28, s21, s10
	s_mul_i32 s8, s9, s24
	;; [unrolled: 1-line block ×4, first 2 shown]
	s_add_i32 s15, s10, s15
	s_lshl_b64 s[28:29], s[28:29], 2
	s_ashr_i32 s9, s8, 31
	s_ashr_i32 s25, s24, 31
	;; [unrolled: 1-line block ×3, first 2 shown]
	s_lshr_b32 s14, s15, s14
	s_mov_b32 s34, s17
	s_mul_hi_i32 s21, s14, s20
	s_mul_i32 s20, s14, s20
	v_lshlrev_b32_e32 v2, 3, v0
	v_lshlrev_b32_e32 v1, 2, v0
	v_mov_b32_e32 v10, 0
	v_mov_b32_e32 v12, v0
	s_waitcnt lgkmcnt(0)
	s_add_u32 s15, s2, s28
	s_addc_u32 s16, s3, s29
	s_lshl_b64 s[30:31], s[30:31], 2
	v_mov_b32_e32 v11, 0
	s_add_u32 s14, s15, s30
	s_addc_u32 s15, s16, s31
	s_lshl_b64 s[8:9], s[8:9], 1
	s_ashr_i32 s35, s17, 31
	s_add_i32 s16, s17, s17
	s_lshl_b32 s19, s17, 2
	s_lshl_b64 s[20:21], s[20:21], 1
	s_lshl_b64 s[24:25], s[24:25], 1
	s_add_u32 s0, s0, s8
	s_addc_u32 s1, s1, s9
	s_add_u32 s0, s0, s24
	s_addc_u32 s1, s1, s25
	;; [unrolled: 2-line block ×3, first 2 shown]
	s_lshl_b64 s[8:9], s[34:35], 3
	s_add_u32 s2, s2, s30
	s_addc_u32 s3, s3, s31
	s_add_u32 s2, s2, s28
	s_addc_u32 s3, s3, s29
	v_add_co_u32 v3, s2, s2, v2
	v_add_co_ci_u32_e64 v4, null, s3, 0, s2
	v_add_co_u32 v1, s0, s0, v1
	v_add_co_ci_u32_e64 v2, null, s1, 0, s0
	;; [unrolled: 2-line block ×3, first 2 shown]
	v_mov_b32_e32 v9, 0
	v_mov_b32_e32 v8, 0
	;; [unrolled: 1-line block ×4, first 2 shown]
	s_mul_i32 s1, s17, 3
	s_mul_i32 s2, s17, 5
.LBB242_10:                             ; =>This Inner Loop Header: Depth=1
	v_add_nc_u32_e32 v15, s16, v12
	v_add_nc_u32_e32 v19, s1, v12
	;; [unrolled: 1-line block ×4, first 2 shown]
	v_add_co_u32 v17, s0, v3, s8
	v_ashrrev_i32_e32 v16, 31, v15
	v_ashrrev_i32_e32 v20, 31, v19
	;; [unrolled: 1-line block ×4, first 2 shown]
	v_add_co_ci_u32_e64 v18, null, s9, v4, s0
	v_lshlrev_b64 v[15:16], 3, v[15:16]
	v_lshlrev_b64 v[19:20], 3, v[19:20]
	;; [unrolled: 1-line block ×4, first 2 shown]
	global_load_dword v25, v[1:2], off
	global_load_dwordx2 v[13:14], v[3:4], off offset:-4
	v_add_nc_u32_e32 v12, 0x60, v12
	v_add_co_u32 v15, s0, s14, v15
	v_add_co_ci_u32_e64 v16, null, s15, v16, s0
	v_add_co_u32 v19, s0, s14, v19
	v_add_co_ci_u32_e64 v20, null, s15, v20, s0
	;; [unrolled: 2-line block ×4, first 2 shown]
	global_load_dwordx2 v[17:18], v[17:18], off offset:-4
	s_clause 0x3
	global_load_dwordx2 v[15:16], v[15:16], off
	global_load_dwordx2 v[19:20], v[19:20], off
	;; [unrolled: 1-line block ×4, first 2 shown]
	v_add_co_u32 v1, s0, 0x180, v1
	v_add_co_ci_u32_e64 v2, null, 0, v2, s0
	v_add_co_u32 v3, s0, 0x300, v3
	v_add_co_ci_u32_e64 v4, null, 0, v4, s0
	v_cmp_le_i32_e64 s0, s12, v12
	s_or_b32 s11, s0, s11
	s_waitcnt vmcnt(5)
	v_fma_mix_f32 v10, v13, v25, v10 op_sel_hi:[0,1,0]
	v_fma_mix_f32 v10, v14, v25, v10 op_sel:[0,1,0] op_sel_hi:[0,1,0]
	s_waitcnt vmcnt(4)
	v_fma_mix_f32 v11, v17, v25, v11 op_sel_hi:[0,1,0]
	s_waitcnt vmcnt(3)
	v_fma_mix_f32 v9, v15, v25, v9 op_sel_hi:[0,1,0]
	s_waitcnt vmcnt(2)
	v_fma_mix_f32 v8, v19, v25, v8 op_sel_hi:[0,1,0]
	s_waitcnt vmcnt(1)
	v_fma_mix_f32 v7, v21, v25, v7 op_sel_hi:[0,1,0]
	s_waitcnt vmcnt(0)
	v_fma_mix_f32 v6, v23, v25, v6 op_sel_hi:[0,1,0]
	v_fma_mix_f32 v11, v18, v25, v11 op_sel:[0,1,0] op_sel_hi:[0,1,0]
	v_fma_mix_f32 v9, v16, v25, v9 op_sel:[0,1,0] op_sel_hi:[0,1,0]
	;; [unrolled: 1-line block ×5, first 2 shown]
	s_andn2_b32 exec_lo, exec_lo, s11
	s_cbranch_execnz .LBB242_10
; %bb.11:
	s_or_b32 exec_lo, exec_lo, s11
.LBB242_12:
	s_or_b32 exec_lo, exec_lo, s13
	v_mbcnt_lo_u32_b32 v2, -1, 0
	v_xor_b32_e32 v1, 16, v2
	v_xor_b32_e32 v3, 8, v2
	v_cmp_gt_i32_e64 s0, 32, v1
	v_cndmask_b32_e64 v1, v2, v1, s0
	v_cmp_gt_i32_e64 s0, 32, v3
	v_lshlrev_b32_e32 v1, 2, v1
	v_cndmask_b32_e64 v3, v2, v3, s0
	ds_bpermute_b32 v4, v1, v10
	v_lshlrev_b32_e32 v3, 2, v3
	s_waitcnt lgkmcnt(0)
	v_add_f32_e32 v10, v10, v4
	v_xor_b32_e32 v4, 4, v2
	ds_bpermute_b32 v12, v3, v10
	v_cmp_gt_i32_e64 s0, 32, v4
	v_cndmask_b32_e64 v4, v2, v4, s0
	v_lshlrev_b32_e32 v4, 2, v4
	s_waitcnt lgkmcnt(0)
	v_add_f32_e32 v12, v10, v12
	v_xor_b32_e32 v10, 2, v2
	ds_bpermute_b32 v13, v4, v12
	v_cmp_gt_i32_e64 s0, 32, v10
	v_cndmask_b32_e64 v10, v2, v10, s0
	v_lshlrev_b32_e32 v10, 2, v10
	s_waitcnt lgkmcnt(0)
	v_add_f32_e32 v13, v12, v13
	v_xor_b32_e32 v12, 1, v2
	ds_bpermute_b32 v14, v10, v13
	v_cmp_gt_i32_e64 s0, 32, v12
	v_cndmask_b32_e64 v2, v2, v12, s0
	v_lshlrev_b32_e32 v12, 2, v2
	s_waitcnt lgkmcnt(0)
	v_add_f32_e32 v2, v13, v14
	v_lshrrev_b32_e32 v13, 3, v0
	ds_bpermute_b32 v14, v12, v2
	v_and_b32_e32 v13, 0x7c, v13
	v_add_nc_u32_e32 v13, 0, v13
	s_waitcnt lgkmcnt(0)
	v_add_f32_e32 v2, v2, v14
	ds_write_b32 v13, v2
	s_waitcnt lgkmcnt(0)
	s_barrier
	buffer_gl0_inv
	s_and_saveexec_b32 s0, vcc_lo
	s_cbranch_execz .LBB242_14
; %bb.13:
	ds_read_b32 v2, v5
	s_waitcnt lgkmcnt(0)
	ds_bpermute_b32 v14, v1, v2
	s_waitcnt lgkmcnt(0)
	v_add_f32_e32 v2, v2, v14
	ds_bpermute_b32 v14, v3, v2
	s_waitcnt lgkmcnt(0)
	v_add_f32_e32 v2, v2, v14
	ds_bpermute_b32 v14, v4, v2
	s_waitcnt lgkmcnt(0)
	v_add_f32_e32 v2, v2, v14
	ds_bpermute_b32 v14, v10, v2
	s_waitcnt lgkmcnt(0)
	v_add_f32_e32 v2, v2, v14
	ds_bpermute_b32 v14, v12, v2
	s_waitcnt lgkmcnt(0)
	v_add_f32_e32 v2, v2, v14
.LBB242_14:
	s_or_b32 exec_lo, exec_lo, s0
	ds_bpermute_b32 v14, v1, v11
	s_waitcnt lgkmcnt(0)
	s_barrier
	buffer_gl0_inv
	v_add_f32_e32 v11, v11, v14
	ds_bpermute_b32 v14, v3, v11
	s_waitcnt lgkmcnt(0)
	v_add_f32_e32 v11, v11, v14
	ds_bpermute_b32 v14, v4, v11
	s_waitcnt lgkmcnt(0)
	v_add_f32_e32 v11, v11, v14
	ds_bpermute_b32 v14, v10, v11
	s_waitcnt lgkmcnt(0)
	v_add_f32_e32 v11, v11, v14
	ds_bpermute_b32 v14, v12, v11
	s_waitcnt lgkmcnt(0)
	v_add_f32_e32 v11, v11, v14
	ds_write_b32 v13, v11
	s_waitcnt lgkmcnt(0)
	s_barrier
	buffer_gl0_inv
	s_and_saveexec_b32 s0, vcc_lo
	s_cbranch_execz .LBB242_16
; %bb.15:
	ds_read_b32 v11, v5
	s_waitcnt lgkmcnt(0)
	ds_bpermute_b32 v14, v1, v11
	s_waitcnt lgkmcnt(0)
	v_add_f32_e32 v11, v11, v14
	ds_bpermute_b32 v14, v3, v11
	s_waitcnt lgkmcnt(0)
	v_add_f32_e32 v11, v11, v14
	ds_bpermute_b32 v14, v4, v11
	s_waitcnt lgkmcnt(0)
	v_add_f32_e32 v11, v11, v14
	ds_bpermute_b32 v14, v10, v11
	s_waitcnt lgkmcnt(0)
	v_add_f32_e32 v11, v11, v14
	ds_bpermute_b32 v14, v12, v11
	s_waitcnt lgkmcnt(0)
	v_add_f32_e32 v11, v11, v14
.LBB242_16:
	s_or_b32 exec_lo, exec_lo, s0
	ds_bpermute_b32 v14, v1, v9
	s_waitcnt lgkmcnt(0)
	s_barrier
	buffer_gl0_inv
	v_add_f32_e32 v9, v9, v14
	ds_bpermute_b32 v14, v3, v9
	s_waitcnt lgkmcnt(0)
	v_add_f32_e32 v9, v9, v14
	ds_bpermute_b32 v14, v4, v9
	s_waitcnt lgkmcnt(0)
	v_add_f32_e32 v9, v9, v14
	ds_bpermute_b32 v14, v10, v9
	s_waitcnt lgkmcnt(0)
	v_add_f32_e32 v9, v9, v14
	ds_bpermute_b32 v14, v12, v9
	;; [unrolled: 43-line block ×5, first 2 shown]
	s_waitcnt lgkmcnt(0)
	v_add_f32_e32 v6, v6, v14
	ds_write_b32 v13, v6
	s_waitcnt lgkmcnt(0)
	s_barrier
	buffer_gl0_inv
	s_and_saveexec_b32 s0, vcc_lo
	s_cbranch_execz .LBB242_24
; %bb.23:
	ds_read_b32 v5, v5
	s_waitcnt lgkmcnt(0)
	ds_bpermute_b32 v1, v1, v5
	s_waitcnt lgkmcnt(0)
	v_add_f32_e32 v1, v5, v1
	ds_bpermute_b32 v3, v3, v1
	s_waitcnt lgkmcnt(0)
	v_add_f32_e32 v1, v1, v3
	;; [unrolled: 3-line block ×5, first 2 shown]
.LBB242_24:
	s_or_b32 exec_lo, exec_lo, s0
	s_barrier
	buffer_gl0_inv
	s_mov_b32 s0, exec_lo
	v_cmpx_gt_u32_e32 6, v0
	s_cbranch_execz .LBB242_26
; %bb.25:
	s_load_dwordx2 s[0:1], s[4:5], 0x38
	v_cmp_eq_u32_e32 vcc_lo, 1, v0
	s_mul_hi_i32 s3, s22, s10
	s_mul_i32 s2, s22, s10
	s_mul_i32 s4, s26, s7
	s_lshl_b64 s[2:3], s[2:3], 2
	v_cndmask_b32_e32 v3, v2, v11, vcc_lo
	v_cmp_eq_u32_e32 vcc_lo, 2, v0
	v_mad_u64_u32 v[1:2], null, s18, v0, s[6:7]
	s_ashr_i32 s5, s4, 31
	v_cndmask_b32_e32 v3, v3, v9, vcc_lo
	v_cmp_eq_u32_e32 vcc_lo, 3, v0
	v_ashrrev_i32_e32 v2, 31, v1
	v_cndmask_b32_e32 v3, v3, v8, vcc_lo
	v_cmp_eq_u32_e32 vcc_lo, 4, v0
	s_waitcnt lgkmcnt(0)
	s_add_u32 s2, s0, s2
	v_lshlrev_b64 v[1:2], 2, v[1:2]
	s_addc_u32 s3, s1, s3
	s_lshl_b64 s[0:1], s[4:5], 2
	v_cndmask_b32_e32 v3, v3, v7, vcc_lo
	v_cmp_eq_u32_e32 vcc_lo, 5, v0
	s_add_u32 s0, s2, s0
	s_addc_u32 s1, s3, s1
	v_cndmask_b32_e32 v3, v3, v6, vcc_lo
	v_add_co_u32 v0, vcc_lo, s0, v1
	v_add_co_ci_u32_e64 v1, null, s1, v2, vcc_lo
	global_store_dword v[0:1], v3, off
.LBB242_26:
	s_endpgm
	.section	.rodata,"a",@progbits
	.p2align	6, 0x0
	.amdhsa_kernel _ZL13mul_mat_vec_fI6__halffLi6ELi96ELb0ELb0EEvPKT_PKfPKi31ggml_cuda_mm_fusion_args_devicePfi15HIP_vector_typeIjLj3EEiiiSB_iiiSB_iiii
		.amdhsa_group_segment_fixed_size 0
		.amdhsa_private_segment_fixed_size 0
		.amdhsa_kernarg_size 144
		.amdhsa_user_sgpr_count 6
		.amdhsa_user_sgpr_private_segment_buffer 1
		.amdhsa_user_sgpr_dispatch_ptr 0
		.amdhsa_user_sgpr_queue_ptr 0
		.amdhsa_user_sgpr_kernarg_segment_ptr 1
		.amdhsa_user_sgpr_dispatch_id 0
		.amdhsa_user_sgpr_flat_scratch_init 0
		.amdhsa_user_sgpr_private_segment_size 0
		.amdhsa_wavefront_size32 1
		.amdhsa_uses_dynamic_stack 0
		.amdhsa_system_sgpr_private_segment_wavefront_offset 0
		.amdhsa_system_sgpr_workgroup_id_x 1
		.amdhsa_system_sgpr_workgroup_id_y 1
		.amdhsa_system_sgpr_workgroup_id_z 1
		.amdhsa_system_sgpr_workgroup_info 0
		.amdhsa_system_vgpr_workitem_id 0
		.amdhsa_next_free_vgpr 26
		.amdhsa_next_free_sgpr 36
		.amdhsa_reserve_vcc 1
		.amdhsa_reserve_flat_scratch 0
		.amdhsa_float_round_mode_32 0
		.amdhsa_float_round_mode_16_64 0
		.amdhsa_float_denorm_mode_32 3
		.amdhsa_float_denorm_mode_16_64 3
		.amdhsa_dx10_clamp 1
		.amdhsa_ieee_mode 1
		.amdhsa_fp16_overflow 0
		.amdhsa_workgroup_processor_mode 1
		.amdhsa_memory_ordered 1
		.amdhsa_forward_progress 1
		.amdhsa_shared_vgpr_count 0
		.amdhsa_exception_fp_ieee_invalid_op 0
		.amdhsa_exception_fp_denorm_src 0
		.amdhsa_exception_fp_ieee_div_zero 0
		.amdhsa_exception_fp_ieee_overflow 0
		.amdhsa_exception_fp_ieee_underflow 0
		.amdhsa_exception_fp_ieee_inexact 0
		.amdhsa_exception_int_div_zero 0
	.end_amdhsa_kernel
	.section	.text._ZL13mul_mat_vec_fI6__halffLi6ELi96ELb0ELb0EEvPKT_PKfPKi31ggml_cuda_mm_fusion_args_devicePfi15HIP_vector_typeIjLj3EEiiiSB_iiiSB_iiii,"axG",@progbits,_ZL13mul_mat_vec_fI6__halffLi6ELi96ELb0ELb0EEvPKT_PKfPKi31ggml_cuda_mm_fusion_args_devicePfi15HIP_vector_typeIjLj3EEiiiSB_iiiSB_iiii,comdat
.Lfunc_end242:
	.size	_ZL13mul_mat_vec_fI6__halffLi6ELi96ELb0ELb0EEvPKT_PKfPKi31ggml_cuda_mm_fusion_args_devicePfi15HIP_vector_typeIjLj3EEiiiSB_iiiSB_iiii, .Lfunc_end242-_ZL13mul_mat_vec_fI6__halffLi6ELi96ELb0ELb0EEvPKT_PKfPKi31ggml_cuda_mm_fusion_args_devicePfi15HIP_vector_typeIjLj3EEiiiSB_iiiSB_iiii
                                        ; -- End function
	.set _ZL13mul_mat_vec_fI6__halffLi6ELi96ELb0ELb0EEvPKT_PKfPKi31ggml_cuda_mm_fusion_args_devicePfi15HIP_vector_typeIjLj3EEiiiSB_iiiSB_iiii.num_vgpr, 26
	.set _ZL13mul_mat_vec_fI6__halffLi6ELi96ELb0ELb0EEvPKT_PKfPKi31ggml_cuda_mm_fusion_args_devicePfi15HIP_vector_typeIjLj3EEiiiSB_iiiSB_iiii.num_agpr, 0
	.set _ZL13mul_mat_vec_fI6__halffLi6ELi96ELb0ELb0EEvPKT_PKfPKi31ggml_cuda_mm_fusion_args_devicePfi15HIP_vector_typeIjLj3EEiiiSB_iiiSB_iiii.numbered_sgpr, 36
	.set _ZL13mul_mat_vec_fI6__halffLi6ELi96ELb0ELb0EEvPKT_PKfPKi31ggml_cuda_mm_fusion_args_devicePfi15HIP_vector_typeIjLj3EEiiiSB_iiiSB_iiii.num_named_barrier, 0
	.set _ZL13mul_mat_vec_fI6__halffLi6ELi96ELb0ELb0EEvPKT_PKfPKi31ggml_cuda_mm_fusion_args_devicePfi15HIP_vector_typeIjLj3EEiiiSB_iiiSB_iiii.private_seg_size, 0
	.set _ZL13mul_mat_vec_fI6__halffLi6ELi96ELb0ELb0EEvPKT_PKfPKi31ggml_cuda_mm_fusion_args_devicePfi15HIP_vector_typeIjLj3EEiiiSB_iiiSB_iiii.uses_vcc, 1
	.set _ZL13mul_mat_vec_fI6__halffLi6ELi96ELb0ELb0EEvPKT_PKfPKi31ggml_cuda_mm_fusion_args_devicePfi15HIP_vector_typeIjLj3EEiiiSB_iiiSB_iiii.uses_flat_scratch, 0
	.set _ZL13mul_mat_vec_fI6__halffLi6ELi96ELb0ELb0EEvPKT_PKfPKi31ggml_cuda_mm_fusion_args_devicePfi15HIP_vector_typeIjLj3EEiiiSB_iiiSB_iiii.has_dyn_sized_stack, 0
	.set _ZL13mul_mat_vec_fI6__halffLi6ELi96ELb0ELb0EEvPKT_PKfPKi31ggml_cuda_mm_fusion_args_devicePfi15HIP_vector_typeIjLj3EEiiiSB_iiiSB_iiii.has_recursion, 0
	.set _ZL13mul_mat_vec_fI6__halffLi6ELi96ELb0ELb0EEvPKT_PKfPKi31ggml_cuda_mm_fusion_args_devicePfi15HIP_vector_typeIjLj3EEiiiSB_iiiSB_iiii.has_indirect_call, 0
	.section	.AMDGPU.csdata,"",@progbits
; Kernel info:
; codeLenInByte = 2536
; TotalNumSgprs: 38
; NumVgprs: 26
; ScratchSize: 0
; MemoryBound: 0
; FloatMode: 240
; IeeeMode: 1
; LDSByteSize: 0 bytes/workgroup (compile time only)
; SGPRBlocks: 0
; VGPRBlocks: 3
; NumSGPRsForWavesPerEU: 38
; NumVGPRsForWavesPerEU: 26
; Occupancy: 16
; WaveLimiterHint : 0
; COMPUTE_PGM_RSRC2:SCRATCH_EN: 0
; COMPUTE_PGM_RSRC2:USER_SGPR: 6
; COMPUTE_PGM_RSRC2:TRAP_HANDLER: 0
; COMPUTE_PGM_RSRC2:TGID_X_EN: 1
; COMPUTE_PGM_RSRC2:TGID_Y_EN: 1
; COMPUTE_PGM_RSRC2:TGID_Z_EN: 1
; COMPUTE_PGM_RSRC2:TIDIG_COMP_CNT: 0
	.section	.text._ZL13mul_mat_vec_fI6__halffLi6ELi128ELb0ELb0EEvPKT_PKfPKi31ggml_cuda_mm_fusion_args_devicePfi15HIP_vector_typeIjLj3EEiiiSB_iiiSB_iiii,"axG",@progbits,_ZL13mul_mat_vec_fI6__halffLi6ELi128ELb0ELb0EEvPKT_PKfPKi31ggml_cuda_mm_fusion_args_devicePfi15HIP_vector_typeIjLj3EEiiiSB_iiiSB_iiii,comdat
	.globl	_ZL13mul_mat_vec_fI6__halffLi6ELi128ELb0ELb0EEvPKT_PKfPKi31ggml_cuda_mm_fusion_args_devicePfi15HIP_vector_typeIjLj3EEiiiSB_iiiSB_iiii ; -- Begin function _ZL13mul_mat_vec_fI6__halffLi6ELi128ELb0ELb0EEvPKT_PKfPKi31ggml_cuda_mm_fusion_args_devicePfi15HIP_vector_typeIjLj3EEiiiSB_iiiSB_iiii
	.p2align	8
	.type	_ZL13mul_mat_vec_fI6__halffLi6ELi128ELb0ELb0EEvPKT_PKfPKi31ggml_cuda_mm_fusion_args_devicePfi15HIP_vector_typeIjLj3EEiiiSB_iiiSB_iiii,@function
_ZL13mul_mat_vec_fI6__halffLi6ELi128ELb0ELb0EEvPKT_PKfPKi31ggml_cuda_mm_fusion_args_devicePfi15HIP_vector_typeIjLj3EEiiiSB_iiiSB_iiii: ; @_ZL13mul_mat_vec_fI6__halffLi6ELi128ELb0ELb0EEvPKT_PKfPKi31ggml_cuda_mm_fusion_args_devicePfi15HIP_vector_typeIjLj3EEiiiSB_iiiSB_iiii
; %bb.0:
	s_clause 0x2
	s_load_dwordx2 s[0:1], s[4:5], 0x10
	s_load_dwordx8 s[12:19], s[4:5], 0x40
	s_load_dwordx4 s[20:23], s[4:5], 0x80
	s_waitcnt lgkmcnt(0)
	s_cmp_eq_u64 s[0:1], 0
	s_cselect_b32 s10, -1, 0
	s_cmp_lg_u64 s[0:1], 0
	s_cselect_b32 s11, -1, 0
	s_and_b32 vcc_lo, exec_lo, s10
	s_cbranch_vccnz .LBB243_2
; %bb.1:
	s_mul_i32 s2, s23, s8
	s_mov_b32 s3, 0
	s_add_i32 s2, s2, s7
	s_lshl_b64 s[24:25], s[2:3], 2
	s_add_u32 s0, s0, s24
	s_addc_u32 s1, s1, s25
	s_load_dword s9, s[0:1], 0x0
	s_cbranch_execz .LBB243_3
	s_branch .LBB243_4
.LBB243_2:
                                        ; implicit-def: $sgpr9
.LBB243_3:
	s_load_dwordx2 s[0:1], s[4:5], 0x5c
	s_waitcnt lgkmcnt(0)
	s_mul_hi_u32 s0, s0, s7
	s_add_i32 s0, s7, s0
	s_lshr_b32 s9, s0, s1
.LBB243_4:
	s_load_dwordx4 s[24:27], s[4:5], 0x68
	s_andn2_b32 vcc_lo, exec_lo, s11
	s_mov_b32 s19, s7
	s_cbranch_vccnz .LBB243_6
; %bb.5:
	s_mul_hi_u32 s0, s13, s7
	s_add_i32 s0, s7, s0
	s_lshr_b32 s0, s0, s14
	s_mul_i32 s0, s0, s15
	s_sub_i32 s19, s7, s0
.LBB243_6:
	s_load_dword s14, s[4:5], 0x78
	v_cmp_gt_u32_e32 vcc_lo, 32, v0
	v_lshl_add_u32 v5, v0, 2, 0
	s_and_saveexec_b32 s0, vcc_lo
; %bb.7:
	v_mov_b32_e32 v1, 0
	ds_write_b32 v5, v1
; %bb.8:
	s_or_b32 exec_lo, exec_lo, s0
	v_mov_b32_e32 v6, 0
	v_mov_b32_e32 v7, 0
	;; [unrolled: 1-line block ×6, first 2 shown]
	s_and_b32 s0, exec_lo, s10
	s_mov_b32 s11, 0
	s_cselect_b32 s10, s8, 0
	s_mov_b32 s13, exec_lo
	s_waitcnt lgkmcnt(0)
	s_barrier
	buffer_gl0_inv
	v_cmpx_gt_i32_e64 s12, v0
	s_cbranch_execz .LBB243_12
; %bb.9:
	s_load_dwordx4 s[0:3], s[4:5], 0x0
	s_mul_hi_u32 s15, s27, s10
	s_mul_hi_i32 s29, s21, s10
	s_mul_i32 s28, s21, s10
	s_mul_i32 s8, s9, s24
	;; [unrolled: 1-line block ×4, first 2 shown]
	s_add_i32 s15, s10, s15
	s_lshl_b64 s[28:29], s[28:29], 2
	s_ashr_i32 s9, s8, 31
	s_ashr_i32 s25, s24, 31
	;; [unrolled: 1-line block ×3, first 2 shown]
	s_lshr_b32 s14, s15, s14
	s_mov_b32 s34, s17
	s_mul_hi_i32 s21, s14, s20
	s_mul_i32 s20, s14, s20
	v_lshlrev_b32_e32 v2, 3, v0
	v_lshlrev_b32_e32 v1, 2, v0
	v_mov_b32_e32 v10, 0
	v_mov_b32_e32 v12, v0
	s_waitcnt lgkmcnt(0)
	s_add_u32 s15, s2, s28
	s_addc_u32 s16, s3, s29
	s_lshl_b64 s[30:31], s[30:31], 2
	v_mov_b32_e32 v11, 0
	s_add_u32 s14, s15, s30
	s_addc_u32 s15, s16, s31
	s_lshl_b64 s[8:9], s[8:9], 1
	s_ashr_i32 s35, s17, 31
	s_add_i32 s16, s17, s17
	s_lshl_b32 s19, s17, 2
	s_lshl_b64 s[20:21], s[20:21], 1
	s_lshl_b64 s[24:25], s[24:25], 1
	s_add_u32 s0, s0, s8
	s_addc_u32 s1, s1, s9
	s_add_u32 s0, s0, s24
	s_addc_u32 s1, s1, s25
	;; [unrolled: 2-line block ×3, first 2 shown]
	s_lshl_b64 s[8:9], s[34:35], 3
	s_add_u32 s2, s2, s30
	s_addc_u32 s3, s3, s31
	s_add_u32 s2, s2, s28
	s_addc_u32 s3, s3, s29
	v_add_co_u32 v3, s2, s2, v2
	v_add_co_ci_u32_e64 v4, null, s3, 0, s2
	v_add_co_u32 v1, s0, s0, v1
	v_add_co_ci_u32_e64 v2, null, s1, 0, s0
	;; [unrolled: 2-line block ×3, first 2 shown]
	v_mov_b32_e32 v9, 0
	v_mov_b32_e32 v8, 0
	;; [unrolled: 1-line block ×4, first 2 shown]
	s_mul_i32 s1, s17, 3
	s_mul_i32 s2, s17, 5
.LBB243_10:                             ; =>This Inner Loop Header: Depth=1
	v_add_nc_u32_e32 v15, s16, v12
	v_add_nc_u32_e32 v19, s1, v12
	;; [unrolled: 1-line block ×4, first 2 shown]
	v_add_co_u32 v17, s0, v3, s8
	v_ashrrev_i32_e32 v16, 31, v15
	v_ashrrev_i32_e32 v20, 31, v19
	;; [unrolled: 1-line block ×4, first 2 shown]
	v_add_co_ci_u32_e64 v18, null, s9, v4, s0
	v_lshlrev_b64 v[15:16], 3, v[15:16]
	v_lshlrev_b64 v[19:20], 3, v[19:20]
	;; [unrolled: 1-line block ×4, first 2 shown]
	global_load_dword v25, v[1:2], off
	global_load_dwordx2 v[13:14], v[3:4], off offset:-4
	v_add_nc_u32_e32 v12, 0x80, v12
	v_add_co_u32 v15, s0, s14, v15
	v_add_co_ci_u32_e64 v16, null, s15, v16, s0
	v_add_co_u32 v19, s0, s14, v19
	v_add_co_ci_u32_e64 v20, null, s15, v20, s0
	;; [unrolled: 2-line block ×4, first 2 shown]
	global_load_dwordx2 v[17:18], v[17:18], off offset:-4
	s_clause 0x3
	global_load_dwordx2 v[15:16], v[15:16], off
	global_load_dwordx2 v[19:20], v[19:20], off
	;; [unrolled: 1-line block ×4, first 2 shown]
	v_add_co_u32 v1, s0, 0x200, v1
	v_add_co_ci_u32_e64 v2, null, 0, v2, s0
	v_add_co_u32 v3, s0, 0x400, v3
	v_add_co_ci_u32_e64 v4, null, 0, v4, s0
	v_cmp_le_i32_e64 s0, s12, v12
	s_or_b32 s11, s0, s11
	s_waitcnt vmcnt(5)
	v_fma_mix_f32 v10, v13, v25, v10 op_sel_hi:[0,1,0]
	v_fma_mix_f32 v10, v14, v25, v10 op_sel:[0,1,0] op_sel_hi:[0,1,0]
	s_waitcnt vmcnt(4)
	v_fma_mix_f32 v11, v17, v25, v11 op_sel_hi:[0,1,0]
	s_waitcnt vmcnt(3)
	v_fma_mix_f32 v9, v15, v25, v9 op_sel_hi:[0,1,0]
	;; [unrolled: 2-line block ×5, first 2 shown]
	v_fma_mix_f32 v11, v18, v25, v11 op_sel:[0,1,0] op_sel_hi:[0,1,0]
	v_fma_mix_f32 v9, v16, v25, v9 op_sel:[0,1,0] op_sel_hi:[0,1,0]
	;; [unrolled: 1-line block ×5, first 2 shown]
	s_andn2_b32 exec_lo, exec_lo, s11
	s_cbranch_execnz .LBB243_10
; %bb.11:
	s_or_b32 exec_lo, exec_lo, s11
.LBB243_12:
	s_or_b32 exec_lo, exec_lo, s13
	v_mbcnt_lo_u32_b32 v2, -1, 0
	v_xor_b32_e32 v1, 16, v2
	v_xor_b32_e32 v3, 8, v2
	v_cmp_gt_i32_e64 s0, 32, v1
	v_cndmask_b32_e64 v1, v2, v1, s0
	v_cmp_gt_i32_e64 s0, 32, v3
	v_lshlrev_b32_e32 v1, 2, v1
	v_cndmask_b32_e64 v3, v2, v3, s0
	ds_bpermute_b32 v4, v1, v10
	v_lshlrev_b32_e32 v3, 2, v3
	s_waitcnt lgkmcnt(0)
	v_add_f32_e32 v10, v10, v4
	v_xor_b32_e32 v4, 4, v2
	ds_bpermute_b32 v12, v3, v10
	v_cmp_gt_i32_e64 s0, 32, v4
	v_cndmask_b32_e64 v4, v2, v4, s0
	v_lshlrev_b32_e32 v4, 2, v4
	s_waitcnt lgkmcnt(0)
	v_add_f32_e32 v12, v10, v12
	v_xor_b32_e32 v10, 2, v2
	ds_bpermute_b32 v13, v4, v12
	v_cmp_gt_i32_e64 s0, 32, v10
	v_cndmask_b32_e64 v10, v2, v10, s0
	;; [unrolled: 7-line block ×3, first 2 shown]
	v_lshlrev_b32_e32 v12, 2, v2
	s_waitcnt lgkmcnt(0)
	v_add_f32_e32 v2, v13, v14
	v_lshrrev_b32_e32 v13, 3, v0
	ds_bpermute_b32 v14, v12, v2
	v_and_b32_e32 v13, 0x7c, v13
	v_add_nc_u32_e32 v13, 0, v13
	s_waitcnt lgkmcnt(0)
	v_add_f32_e32 v2, v2, v14
	ds_write_b32 v13, v2
	s_waitcnt lgkmcnt(0)
	s_barrier
	buffer_gl0_inv
	s_and_saveexec_b32 s0, vcc_lo
	s_cbranch_execz .LBB243_14
; %bb.13:
	ds_read_b32 v2, v5
	s_waitcnt lgkmcnt(0)
	ds_bpermute_b32 v14, v1, v2
	s_waitcnt lgkmcnt(0)
	v_add_f32_e32 v2, v2, v14
	ds_bpermute_b32 v14, v3, v2
	s_waitcnt lgkmcnt(0)
	v_add_f32_e32 v2, v2, v14
	ds_bpermute_b32 v14, v4, v2
	s_waitcnt lgkmcnt(0)
	v_add_f32_e32 v2, v2, v14
	ds_bpermute_b32 v14, v10, v2
	s_waitcnt lgkmcnt(0)
	v_add_f32_e32 v2, v2, v14
	ds_bpermute_b32 v14, v12, v2
	s_waitcnt lgkmcnt(0)
	v_add_f32_e32 v2, v2, v14
.LBB243_14:
	s_or_b32 exec_lo, exec_lo, s0
	ds_bpermute_b32 v14, v1, v11
	s_waitcnt lgkmcnt(0)
	s_barrier
	buffer_gl0_inv
	v_add_f32_e32 v11, v11, v14
	ds_bpermute_b32 v14, v3, v11
	s_waitcnt lgkmcnt(0)
	v_add_f32_e32 v11, v11, v14
	ds_bpermute_b32 v14, v4, v11
	s_waitcnt lgkmcnt(0)
	v_add_f32_e32 v11, v11, v14
	ds_bpermute_b32 v14, v10, v11
	s_waitcnt lgkmcnt(0)
	v_add_f32_e32 v11, v11, v14
	ds_bpermute_b32 v14, v12, v11
	s_waitcnt lgkmcnt(0)
	v_add_f32_e32 v11, v11, v14
	ds_write_b32 v13, v11
	s_waitcnt lgkmcnt(0)
	s_barrier
	buffer_gl0_inv
	s_and_saveexec_b32 s0, vcc_lo
	s_cbranch_execz .LBB243_16
; %bb.15:
	ds_read_b32 v11, v5
	s_waitcnt lgkmcnt(0)
	ds_bpermute_b32 v14, v1, v11
	s_waitcnt lgkmcnt(0)
	v_add_f32_e32 v11, v11, v14
	ds_bpermute_b32 v14, v3, v11
	s_waitcnt lgkmcnt(0)
	v_add_f32_e32 v11, v11, v14
	ds_bpermute_b32 v14, v4, v11
	s_waitcnt lgkmcnt(0)
	v_add_f32_e32 v11, v11, v14
	ds_bpermute_b32 v14, v10, v11
	s_waitcnt lgkmcnt(0)
	v_add_f32_e32 v11, v11, v14
	ds_bpermute_b32 v14, v12, v11
	s_waitcnt lgkmcnt(0)
	v_add_f32_e32 v11, v11, v14
.LBB243_16:
	s_or_b32 exec_lo, exec_lo, s0
	ds_bpermute_b32 v14, v1, v9
	s_waitcnt lgkmcnt(0)
	s_barrier
	buffer_gl0_inv
	v_add_f32_e32 v9, v9, v14
	ds_bpermute_b32 v14, v3, v9
	s_waitcnt lgkmcnt(0)
	v_add_f32_e32 v9, v9, v14
	ds_bpermute_b32 v14, v4, v9
	s_waitcnt lgkmcnt(0)
	v_add_f32_e32 v9, v9, v14
	ds_bpermute_b32 v14, v10, v9
	s_waitcnt lgkmcnt(0)
	v_add_f32_e32 v9, v9, v14
	ds_bpermute_b32 v14, v12, v9
	;; [unrolled: 43-line block ×5, first 2 shown]
	s_waitcnt lgkmcnt(0)
	v_add_f32_e32 v6, v6, v14
	ds_write_b32 v13, v6
	s_waitcnt lgkmcnt(0)
	s_barrier
	buffer_gl0_inv
	s_and_saveexec_b32 s0, vcc_lo
	s_cbranch_execz .LBB243_24
; %bb.23:
	ds_read_b32 v5, v5
	s_waitcnt lgkmcnt(0)
	ds_bpermute_b32 v1, v1, v5
	s_waitcnt lgkmcnt(0)
	v_add_f32_e32 v1, v5, v1
	ds_bpermute_b32 v3, v3, v1
	s_waitcnt lgkmcnt(0)
	v_add_f32_e32 v1, v1, v3
	;; [unrolled: 3-line block ×5, first 2 shown]
.LBB243_24:
	s_or_b32 exec_lo, exec_lo, s0
	s_barrier
	buffer_gl0_inv
	s_mov_b32 s0, exec_lo
	v_cmpx_gt_u32_e32 6, v0
	s_cbranch_execz .LBB243_26
; %bb.25:
	s_load_dwordx2 s[0:1], s[4:5], 0x38
	v_cmp_eq_u32_e32 vcc_lo, 1, v0
	s_mul_hi_i32 s3, s22, s10
	s_mul_i32 s2, s22, s10
	s_mul_i32 s4, s26, s7
	s_lshl_b64 s[2:3], s[2:3], 2
	v_cndmask_b32_e32 v3, v2, v11, vcc_lo
	v_cmp_eq_u32_e32 vcc_lo, 2, v0
	v_mad_u64_u32 v[1:2], null, s18, v0, s[6:7]
	s_ashr_i32 s5, s4, 31
	v_cndmask_b32_e32 v3, v3, v9, vcc_lo
	v_cmp_eq_u32_e32 vcc_lo, 3, v0
	v_ashrrev_i32_e32 v2, 31, v1
	v_cndmask_b32_e32 v3, v3, v8, vcc_lo
	v_cmp_eq_u32_e32 vcc_lo, 4, v0
	s_waitcnt lgkmcnt(0)
	s_add_u32 s2, s0, s2
	v_lshlrev_b64 v[1:2], 2, v[1:2]
	s_addc_u32 s3, s1, s3
	s_lshl_b64 s[0:1], s[4:5], 2
	v_cndmask_b32_e32 v3, v3, v7, vcc_lo
	v_cmp_eq_u32_e32 vcc_lo, 5, v0
	s_add_u32 s0, s2, s0
	s_addc_u32 s1, s3, s1
	v_cndmask_b32_e32 v3, v3, v6, vcc_lo
	v_add_co_u32 v0, vcc_lo, s0, v1
	v_add_co_ci_u32_e64 v1, null, s1, v2, vcc_lo
	global_store_dword v[0:1], v3, off
.LBB243_26:
	s_endpgm
	.section	.rodata,"a",@progbits
	.p2align	6, 0x0
	.amdhsa_kernel _ZL13mul_mat_vec_fI6__halffLi6ELi128ELb0ELb0EEvPKT_PKfPKi31ggml_cuda_mm_fusion_args_devicePfi15HIP_vector_typeIjLj3EEiiiSB_iiiSB_iiii
		.amdhsa_group_segment_fixed_size 0
		.amdhsa_private_segment_fixed_size 0
		.amdhsa_kernarg_size 144
		.amdhsa_user_sgpr_count 6
		.amdhsa_user_sgpr_private_segment_buffer 1
		.amdhsa_user_sgpr_dispatch_ptr 0
		.amdhsa_user_sgpr_queue_ptr 0
		.amdhsa_user_sgpr_kernarg_segment_ptr 1
		.amdhsa_user_sgpr_dispatch_id 0
		.amdhsa_user_sgpr_flat_scratch_init 0
		.amdhsa_user_sgpr_private_segment_size 0
		.amdhsa_wavefront_size32 1
		.amdhsa_uses_dynamic_stack 0
		.amdhsa_system_sgpr_private_segment_wavefront_offset 0
		.amdhsa_system_sgpr_workgroup_id_x 1
		.amdhsa_system_sgpr_workgroup_id_y 1
		.amdhsa_system_sgpr_workgroup_id_z 1
		.amdhsa_system_sgpr_workgroup_info 0
		.amdhsa_system_vgpr_workitem_id 0
		.amdhsa_next_free_vgpr 26
		.amdhsa_next_free_sgpr 36
		.amdhsa_reserve_vcc 1
		.amdhsa_reserve_flat_scratch 0
		.amdhsa_float_round_mode_32 0
		.amdhsa_float_round_mode_16_64 0
		.amdhsa_float_denorm_mode_32 3
		.amdhsa_float_denorm_mode_16_64 3
		.amdhsa_dx10_clamp 1
		.amdhsa_ieee_mode 1
		.amdhsa_fp16_overflow 0
		.amdhsa_workgroup_processor_mode 1
		.amdhsa_memory_ordered 1
		.amdhsa_forward_progress 1
		.amdhsa_shared_vgpr_count 0
		.amdhsa_exception_fp_ieee_invalid_op 0
		.amdhsa_exception_fp_denorm_src 0
		.amdhsa_exception_fp_ieee_div_zero 0
		.amdhsa_exception_fp_ieee_overflow 0
		.amdhsa_exception_fp_ieee_underflow 0
		.amdhsa_exception_fp_ieee_inexact 0
		.amdhsa_exception_int_div_zero 0
	.end_amdhsa_kernel
	.section	.text._ZL13mul_mat_vec_fI6__halffLi6ELi128ELb0ELb0EEvPKT_PKfPKi31ggml_cuda_mm_fusion_args_devicePfi15HIP_vector_typeIjLj3EEiiiSB_iiiSB_iiii,"axG",@progbits,_ZL13mul_mat_vec_fI6__halffLi6ELi128ELb0ELb0EEvPKT_PKfPKi31ggml_cuda_mm_fusion_args_devicePfi15HIP_vector_typeIjLj3EEiiiSB_iiiSB_iiii,comdat
.Lfunc_end243:
	.size	_ZL13mul_mat_vec_fI6__halffLi6ELi128ELb0ELb0EEvPKT_PKfPKi31ggml_cuda_mm_fusion_args_devicePfi15HIP_vector_typeIjLj3EEiiiSB_iiiSB_iiii, .Lfunc_end243-_ZL13mul_mat_vec_fI6__halffLi6ELi128ELb0ELb0EEvPKT_PKfPKi31ggml_cuda_mm_fusion_args_devicePfi15HIP_vector_typeIjLj3EEiiiSB_iiiSB_iiii
                                        ; -- End function
	.set _ZL13mul_mat_vec_fI6__halffLi6ELi128ELb0ELb0EEvPKT_PKfPKi31ggml_cuda_mm_fusion_args_devicePfi15HIP_vector_typeIjLj3EEiiiSB_iiiSB_iiii.num_vgpr, 26
	.set _ZL13mul_mat_vec_fI6__halffLi6ELi128ELb0ELb0EEvPKT_PKfPKi31ggml_cuda_mm_fusion_args_devicePfi15HIP_vector_typeIjLj3EEiiiSB_iiiSB_iiii.num_agpr, 0
	.set _ZL13mul_mat_vec_fI6__halffLi6ELi128ELb0ELb0EEvPKT_PKfPKi31ggml_cuda_mm_fusion_args_devicePfi15HIP_vector_typeIjLj3EEiiiSB_iiiSB_iiii.numbered_sgpr, 36
	.set _ZL13mul_mat_vec_fI6__halffLi6ELi128ELb0ELb0EEvPKT_PKfPKi31ggml_cuda_mm_fusion_args_devicePfi15HIP_vector_typeIjLj3EEiiiSB_iiiSB_iiii.num_named_barrier, 0
	.set _ZL13mul_mat_vec_fI6__halffLi6ELi128ELb0ELb0EEvPKT_PKfPKi31ggml_cuda_mm_fusion_args_devicePfi15HIP_vector_typeIjLj3EEiiiSB_iiiSB_iiii.private_seg_size, 0
	.set _ZL13mul_mat_vec_fI6__halffLi6ELi128ELb0ELb0EEvPKT_PKfPKi31ggml_cuda_mm_fusion_args_devicePfi15HIP_vector_typeIjLj3EEiiiSB_iiiSB_iiii.uses_vcc, 1
	.set _ZL13mul_mat_vec_fI6__halffLi6ELi128ELb0ELb0EEvPKT_PKfPKi31ggml_cuda_mm_fusion_args_devicePfi15HIP_vector_typeIjLj3EEiiiSB_iiiSB_iiii.uses_flat_scratch, 0
	.set _ZL13mul_mat_vec_fI6__halffLi6ELi128ELb0ELb0EEvPKT_PKfPKi31ggml_cuda_mm_fusion_args_devicePfi15HIP_vector_typeIjLj3EEiiiSB_iiiSB_iiii.has_dyn_sized_stack, 0
	.set _ZL13mul_mat_vec_fI6__halffLi6ELi128ELb0ELb0EEvPKT_PKfPKi31ggml_cuda_mm_fusion_args_devicePfi15HIP_vector_typeIjLj3EEiiiSB_iiiSB_iiii.has_recursion, 0
	.set _ZL13mul_mat_vec_fI6__halffLi6ELi128ELb0ELb0EEvPKT_PKfPKi31ggml_cuda_mm_fusion_args_devicePfi15HIP_vector_typeIjLj3EEiiiSB_iiiSB_iiii.has_indirect_call, 0
	.section	.AMDGPU.csdata,"",@progbits
; Kernel info:
; codeLenInByte = 2536
; TotalNumSgprs: 38
; NumVgprs: 26
; ScratchSize: 0
; MemoryBound: 0
; FloatMode: 240
; IeeeMode: 1
; LDSByteSize: 0 bytes/workgroup (compile time only)
; SGPRBlocks: 0
; VGPRBlocks: 3
; NumSGPRsForWavesPerEU: 38
; NumVGPRsForWavesPerEU: 26
; Occupancy: 16
; WaveLimiterHint : 0
; COMPUTE_PGM_RSRC2:SCRATCH_EN: 0
; COMPUTE_PGM_RSRC2:USER_SGPR: 6
; COMPUTE_PGM_RSRC2:TRAP_HANDLER: 0
; COMPUTE_PGM_RSRC2:TGID_X_EN: 1
; COMPUTE_PGM_RSRC2:TGID_Y_EN: 1
; COMPUTE_PGM_RSRC2:TGID_Z_EN: 1
; COMPUTE_PGM_RSRC2:TIDIG_COMP_CNT: 0
	.section	.text._ZL13mul_mat_vec_fI6__halffLi6ELi160ELb0ELb0EEvPKT_PKfPKi31ggml_cuda_mm_fusion_args_devicePfi15HIP_vector_typeIjLj3EEiiiSB_iiiSB_iiii,"axG",@progbits,_ZL13mul_mat_vec_fI6__halffLi6ELi160ELb0ELb0EEvPKT_PKfPKi31ggml_cuda_mm_fusion_args_devicePfi15HIP_vector_typeIjLj3EEiiiSB_iiiSB_iiii,comdat
	.globl	_ZL13mul_mat_vec_fI6__halffLi6ELi160ELb0ELb0EEvPKT_PKfPKi31ggml_cuda_mm_fusion_args_devicePfi15HIP_vector_typeIjLj3EEiiiSB_iiiSB_iiii ; -- Begin function _ZL13mul_mat_vec_fI6__halffLi6ELi160ELb0ELb0EEvPKT_PKfPKi31ggml_cuda_mm_fusion_args_devicePfi15HIP_vector_typeIjLj3EEiiiSB_iiiSB_iiii
	.p2align	8
	.type	_ZL13mul_mat_vec_fI6__halffLi6ELi160ELb0ELb0EEvPKT_PKfPKi31ggml_cuda_mm_fusion_args_devicePfi15HIP_vector_typeIjLj3EEiiiSB_iiiSB_iiii,@function
_ZL13mul_mat_vec_fI6__halffLi6ELi160ELb0ELb0EEvPKT_PKfPKi31ggml_cuda_mm_fusion_args_devicePfi15HIP_vector_typeIjLj3EEiiiSB_iiiSB_iiii: ; @_ZL13mul_mat_vec_fI6__halffLi6ELi160ELb0ELb0EEvPKT_PKfPKi31ggml_cuda_mm_fusion_args_devicePfi15HIP_vector_typeIjLj3EEiiiSB_iiiSB_iiii
; %bb.0:
	s_clause 0x2
	s_load_dwordx2 s[0:1], s[4:5], 0x10
	s_load_dwordx8 s[12:19], s[4:5], 0x40
	s_load_dwordx4 s[20:23], s[4:5], 0x80
	s_waitcnt lgkmcnt(0)
	s_cmp_eq_u64 s[0:1], 0
	s_cselect_b32 s10, -1, 0
	s_cmp_lg_u64 s[0:1], 0
	s_cselect_b32 s11, -1, 0
	s_and_b32 vcc_lo, exec_lo, s10
	s_cbranch_vccnz .LBB244_2
; %bb.1:
	s_mul_i32 s2, s23, s8
	s_mov_b32 s3, 0
	s_add_i32 s2, s2, s7
	s_lshl_b64 s[24:25], s[2:3], 2
	s_add_u32 s0, s0, s24
	s_addc_u32 s1, s1, s25
	s_load_dword s9, s[0:1], 0x0
	s_cbranch_execz .LBB244_3
	s_branch .LBB244_4
.LBB244_2:
                                        ; implicit-def: $sgpr9
.LBB244_3:
	s_load_dwordx2 s[0:1], s[4:5], 0x5c
	s_waitcnt lgkmcnt(0)
	s_mul_hi_u32 s0, s0, s7
	s_add_i32 s0, s7, s0
	s_lshr_b32 s9, s0, s1
.LBB244_4:
	s_load_dwordx4 s[24:27], s[4:5], 0x68
	s_andn2_b32 vcc_lo, exec_lo, s11
	s_mov_b32 s19, s7
	s_cbranch_vccnz .LBB244_6
; %bb.5:
	s_mul_hi_u32 s0, s13, s7
	s_add_i32 s0, s7, s0
	s_lshr_b32 s0, s0, s14
	s_mul_i32 s0, s0, s15
	s_sub_i32 s19, s7, s0
.LBB244_6:
	s_load_dword s14, s[4:5], 0x78
	v_cmp_gt_u32_e32 vcc_lo, 32, v0
	v_lshl_add_u32 v5, v0, 2, 0
	s_and_saveexec_b32 s0, vcc_lo
; %bb.7:
	v_mov_b32_e32 v1, 0
	ds_write_b32 v5, v1
; %bb.8:
	s_or_b32 exec_lo, exec_lo, s0
	v_mov_b32_e32 v6, 0
	v_mov_b32_e32 v7, 0
	;; [unrolled: 1-line block ×6, first 2 shown]
	s_and_b32 s0, exec_lo, s10
	s_mov_b32 s11, 0
	s_cselect_b32 s10, s8, 0
	s_mov_b32 s13, exec_lo
	s_waitcnt lgkmcnt(0)
	s_barrier
	buffer_gl0_inv
	v_cmpx_gt_i32_e64 s12, v0
	s_cbranch_execz .LBB244_12
; %bb.9:
	s_load_dwordx4 s[0:3], s[4:5], 0x0
	s_mul_hi_u32 s15, s27, s10
	s_mul_hi_i32 s29, s21, s10
	s_mul_i32 s28, s21, s10
	s_mul_i32 s8, s9, s24
	;; [unrolled: 1-line block ×4, first 2 shown]
	s_add_i32 s15, s10, s15
	s_lshl_b64 s[28:29], s[28:29], 2
	s_ashr_i32 s9, s8, 31
	s_ashr_i32 s25, s24, 31
	;; [unrolled: 1-line block ×3, first 2 shown]
	s_lshr_b32 s14, s15, s14
	s_mov_b32 s34, s17
	s_mul_hi_i32 s21, s14, s20
	s_mul_i32 s20, s14, s20
	v_lshlrev_b32_e32 v2, 3, v0
	v_lshlrev_b32_e32 v1, 2, v0
	v_mov_b32_e32 v10, 0
	v_mov_b32_e32 v12, v0
	s_waitcnt lgkmcnt(0)
	s_add_u32 s15, s2, s28
	s_addc_u32 s16, s3, s29
	s_lshl_b64 s[30:31], s[30:31], 2
	v_mov_b32_e32 v11, 0
	s_add_u32 s14, s15, s30
	s_addc_u32 s15, s16, s31
	s_lshl_b64 s[8:9], s[8:9], 1
	s_ashr_i32 s35, s17, 31
	s_add_i32 s16, s17, s17
	s_lshl_b32 s19, s17, 2
	s_lshl_b64 s[20:21], s[20:21], 1
	s_lshl_b64 s[24:25], s[24:25], 1
	s_add_u32 s0, s0, s8
	s_addc_u32 s1, s1, s9
	s_add_u32 s0, s0, s24
	s_addc_u32 s1, s1, s25
	s_add_u32 s0, s0, s20
	s_addc_u32 s1, s1, s21
	s_lshl_b64 s[8:9], s[34:35], 3
	s_add_u32 s2, s2, s30
	s_addc_u32 s3, s3, s31
	s_add_u32 s2, s2, s28
	s_addc_u32 s3, s3, s29
	v_add_co_u32 v3, s2, s2, v2
	v_add_co_ci_u32_e64 v4, null, s3, 0, s2
	v_add_co_u32 v1, s0, s0, v1
	v_add_co_ci_u32_e64 v2, null, s1, 0, s0
	;; [unrolled: 2-line block ×3, first 2 shown]
	v_mov_b32_e32 v9, 0
	v_mov_b32_e32 v8, 0
	;; [unrolled: 1-line block ×4, first 2 shown]
	s_mul_i32 s1, s17, 3
	s_mul_i32 s2, s17, 5
.LBB244_10:                             ; =>This Inner Loop Header: Depth=1
	v_add_nc_u32_e32 v15, s16, v12
	v_add_nc_u32_e32 v19, s1, v12
	;; [unrolled: 1-line block ×4, first 2 shown]
	v_add_co_u32 v17, s0, v3, s8
	v_ashrrev_i32_e32 v16, 31, v15
	v_ashrrev_i32_e32 v20, 31, v19
	;; [unrolled: 1-line block ×4, first 2 shown]
	v_add_co_ci_u32_e64 v18, null, s9, v4, s0
	v_lshlrev_b64 v[15:16], 3, v[15:16]
	v_lshlrev_b64 v[19:20], 3, v[19:20]
	;; [unrolled: 1-line block ×4, first 2 shown]
	global_load_dword v25, v[1:2], off
	global_load_dwordx2 v[13:14], v[3:4], off offset:-4
	v_add_nc_u32_e32 v12, 0xa0, v12
	v_add_co_u32 v15, s0, s14, v15
	v_add_co_ci_u32_e64 v16, null, s15, v16, s0
	v_add_co_u32 v19, s0, s14, v19
	v_add_co_ci_u32_e64 v20, null, s15, v20, s0
	v_add_co_u32 v21, s0, s14, v21
	v_add_co_ci_u32_e64 v22, null, s15, v22, s0
	v_add_co_u32 v23, s0, s14, v23
	v_add_co_ci_u32_e64 v24, null, s15, v24, s0
	global_load_dwordx2 v[17:18], v[17:18], off offset:-4
	s_clause 0x3
	global_load_dwordx2 v[15:16], v[15:16], off
	global_load_dwordx2 v[19:20], v[19:20], off
	;; [unrolled: 1-line block ×4, first 2 shown]
	v_add_co_u32 v1, s0, 0x280, v1
	v_add_co_ci_u32_e64 v2, null, 0, v2, s0
	v_add_co_u32 v3, s0, 0x500, v3
	v_add_co_ci_u32_e64 v4, null, 0, v4, s0
	v_cmp_le_i32_e64 s0, s12, v12
	s_or_b32 s11, s0, s11
	s_waitcnt vmcnt(5)
	v_fma_mix_f32 v10, v13, v25, v10 op_sel_hi:[0,1,0]
	v_fma_mix_f32 v10, v14, v25, v10 op_sel:[0,1,0] op_sel_hi:[0,1,0]
	s_waitcnt vmcnt(4)
	v_fma_mix_f32 v11, v17, v25, v11 op_sel_hi:[0,1,0]
	s_waitcnt vmcnt(3)
	v_fma_mix_f32 v9, v15, v25, v9 op_sel_hi:[0,1,0]
	;; [unrolled: 2-line block ×5, first 2 shown]
	v_fma_mix_f32 v11, v18, v25, v11 op_sel:[0,1,0] op_sel_hi:[0,1,0]
	v_fma_mix_f32 v9, v16, v25, v9 op_sel:[0,1,0] op_sel_hi:[0,1,0]
	;; [unrolled: 1-line block ×5, first 2 shown]
	s_andn2_b32 exec_lo, exec_lo, s11
	s_cbranch_execnz .LBB244_10
; %bb.11:
	s_or_b32 exec_lo, exec_lo, s11
.LBB244_12:
	s_or_b32 exec_lo, exec_lo, s13
	v_mbcnt_lo_u32_b32 v2, -1, 0
	v_xor_b32_e32 v1, 16, v2
	v_xor_b32_e32 v3, 8, v2
	v_cmp_gt_i32_e64 s0, 32, v1
	v_cndmask_b32_e64 v1, v2, v1, s0
	v_cmp_gt_i32_e64 s0, 32, v3
	v_lshlrev_b32_e32 v1, 2, v1
	v_cndmask_b32_e64 v3, v2, v3, s0
	ds_bpermute_b32 v4, v1, v10
	v_lshlrev_b32_e32 v3, 2, v3
	s_waitcnt lgkmcnt(0)
	v_add_f32_e32 v10, v10, v4
	v_xor_b32_e32 v4, 4, v2
	ds_bpermute_b32 v12, v3, v10
	v_cmp_gt_i32_e64 s0, 32, v4
	v_cndmask_b32_e64 v4, v2, v4, s0
	v_lshlrev_b32_e32 v4, 2, v4
	s_waitcnt lgkmcnt(0)
	v_add_f32_e32 v12, v10, v12
	v_xor_b32_e32 v10, 2, v2
	ds_bpermute_b32 v13, v4, v12
	v_cmp_gt_i32_e64 s0, 32, v10
	v_cndmask_b32_e64 v10, v2, v10, s0
	;; [unrolled: 7-line block ×3, first 2 shown]
	v_lshlrev_b32_e32 v12, 2, v2
	s_waitcnt lgkmcnt(0)
	v_add_f32_e32 v2, v13, v14
	v_lshrrev_b32_e32 v13, 3, v0
	ds_bpermute_b32 v14, v12, v2
	v_and_b32_e32 v13, 0x7c, v13
	v_add_nc_u32_e32 v13, 0, v13
	s_waitcnt lgkmcnt(0)
	v_add_f32_e32 v2, v2, v14
	ds_write_b32 v13, v2
	s_waitcnt lgkmcnt(0)
	s_barrier
	buffer_gl0_inv
	s_and_saveexec_b32 s0, vcc_lo
	s_cbranch_execz .LBB244_14
; %bb.13:
	ds_read_b32 v2, v5
	s_waitcnt lgkmcnt(0)
	ds_bpermute_b32 v14, v1, v2
	s_waitcnt lgkmcnt(0)
	v_add_f32_e32 v2, v2, v14
	ds_bpermute_b32 v14, v3, v2
	s_waitcnt lgkmcnt(0)
	v_add_f32_e32 v2, v2, v14
	ds_bpermute_b32 v14, v4, v2
	s_waitcnt lgkmcnt(0)
	v_add_f32_e32 v2, v2, v14
	ds_bpermute_b32 v14, v10, v2
	s_waitcnt lgkmcnt(0)
	v_add_f32_e32 v2, v2, v14
	ds_bpermute_b32 v14, v12, v2
	s_waitcnt lgkmcnt(0)
	v_add_f32_e32 v2, v2, v14
.LBB244_14:
	s_or_b32 exec_lo, exec_lo, s0
	ds_bpermute_b32 v14, v1, v11
	s_waitcnt lgkmcnt(0)
	s_barrier
	buffer_gl0_inv
	v_add_f32_e32 v11, v11, v14
	ds_bpermute_b32 v14, v3, v11
	s_waitcnt lgkmcnt(0)
	v_add_f32_e32 v11, v11, v14
	ds_bpermute_b32 v14, v4, v11
	s_waitcnt lgkmcnt(0)
	v_add_f32_e32 v11, v11, v14
	ds_bpermute_b32 v14, v10, v11
	s_waitcnt lgkmcnt(0)
	v_add_f32_e32 v11, v11, v14
	ds_bpermute_b32 v14, v12, v11
	s_waitcnt lgkmcnt(0)
	v_add_f32_e32 v11, v11, v14
	ds_write_b32 v13, v11
	s_waitcnt lgkmcnt(0)
	s_barrier
	buffer_gl0_inv
	s_and_saveexec_b32 s0, vcc_lo
	s_cbranch_execz .LBB244_16
; %bb.15:
	ds_read_b32 v11, v5
	s_waitcnt lgkmcnt(0)
	ds_bpermute_b32 v14, v1, v11
	s_waitcnt lgkmcnt(0)
	v_add_f32_e32 v11, v11, v14
	ds_bpermute_b32 v14, v3, v11
	s_waitcnt lgkmcnt(0)
	v_add_f32_e32 v11, v11, v14
	ds_bpermute_b32 v14, v4, v11
	s_waitcnt lgkmcnt(0)
	v_add_f32_e32 v11, v11, v14
	ds_bpermute_b32 v14, v10, v11
	s_waitcnt lgkmcnt(0)
	v_add_f32_e32 v11, v11, v14
	ds_bpermute_b32 v14, v12, v11
	s_waitcnt lgkmcnt(0)
	v_add_f32_e32 v11, v11, v14
.LBB244_16:
	s_or_b32 exec_lo, exec_lo, s0
	ds_bpermute_b32 v14, v1, v9
	s_waitcnt lgkmcnt(0)
	s_barrier
	buffer_gl0_inv
	v_add_f32_e32 v9, v9, v14
	ds_bpermute_b32 v14, v3, v9
	s_waitcnt lgkmcnt(0)
	v_add_f32_e32 v9, v9, v14
	ds_bpermute_b32 v14, v4, v9
	s_waitcnt lgkmcnt(0)
	v_add_f32_e32 v9, v9, v14
	ds_bpermute_b32 v14, v10, v9
	s_waitcnt lgkmcnt(0)
	v_add_f32_e32 v9, v9, v14
	ds_bpermute_b32 v14, v12, v9
	;; [unrolled: 43-line block ×5, first 2 shown]
	s_waitcnt lgkmcnt(0)
	v_add_f32_e32 v6, v6, v14
	ds_write_b32 v13, v6
	s_waitcnt lgkmcnt(0)
	s_barrier
	buffer_gl0_inv
	s_and_saveexec_b32 s0, vcc_lo
	s_cbranch_execz .LBB244_24
; %bb.23:
	ds_read_b32 v5, v5
	s_waitcnt lgkmcnt(0)
	ds_bpermute_b32 v1, v1, v5
	s_waitcnt lgkmcnt(0)
	v_add_f32_e32 v1, v5, v1
	ds_bpermute_b32 v3, v3, v1
	s_waitcnt lgkmcnt(0)
	v_add_f32_e32 v1, v1, v3
	;; [unrolled: 3-line block ×5, first 2 shown]
.LBB244_24:
	s_or_b32 exec_lo, exec_lo, s0
	s_barrier
	buffer_gl0_inv
	s_mov_b32 s0, exec_lo
	v_cmpx_gt_u32_e32 6, v0
	s_cbranch_execz .LBB244_26
; %bb.25:
	s_load_dwordx2 s[0:1], s[4:5], 0x38
	v_cmp_eq_u32_e32 vcc_lo, 1, v0
	s_mul_hi_i32 s3, s22, s10
	s_mul_i32 s2, s22, s10
	s_mul_i32 s4, s26, s7
	s_lshl_b64 s[2:3], s[2:3], 2
	v_cndmask_b32_e32 v3, v2, v11, vcc_lo
	v_cmp_eq_u32_e32 vcc_lo, 2, v0
	v_mad_u64_u32 v[1:2], null, s18, v0, s[6:7]
	s_ashr_i32 s5, s4, 31
	v_cndmask_b32_e32 v3, v3, v9, vcc_lo
	v_cmp_eq_u32_e32 vcc_lo, 3, v0
	v_ashrrev_i32_e32 v2, 31, v1
	v_cndmask_b32_e32 v3, v3, v8, vcc_lo
	v_cmp_eq_u32_e32 vcc_lo, 4, v0
	s_waitcnt lgkmcnt(0)
	s_add_u32 s2, s0, s2
	v_lshlrev_b64 v[1:2], 2, v[1:2]
	s_addc_u32 s3, s1, s3
	s_lshl_b64 s[0:1], s[4:5], 2
	v_cndmask_b32_e32 v3, v3, v7, vcc_lo
	v_cmp_eq_u32_e32 vcc_lo, 5, v0
	s_add_u32 s0, s2, s0
	s_addc_u32 s1, s3, s1
	v_cndmask_b32_e32 v3, v3, v6, vcc_lo
	v_add_co_u32 v0, vcc_lo, s0, v1
	v_add_co_ci_u32_e64 v1, null, s1, v2, vcc_lo
	global_store_dword v[0:1], v3, off
.LBB244_26:
	s_endpgm
	.section	.rodata,"a",@progbits
	.p2align	6, 0x0
	.amdhsa_kernel _ZL13mul_mat_vec_fI6__halffLi6ELi160ELb0ELb0EEvPKT_PKfPKi31ggml_cuda_mm_fusion_args_devicePfi15HIP_vector_typeIjLj3EEiiiSB_iiiSB_iiii
		.amdhsa_group_segment_fixed_size 0
		.amdhsa_private_segment_fixed_size 0
		.amdhsa_kernarg_size 144
		.amdhsa_user_sgpr_count 6
		.amdhsa_user_sgpr_private_segment_buffer 1
		.amdhsa_user_sgpr_dispatch_ptr 0
		.amdhsa_user_sgpr_queue_ptr 0
		.amdhsa_user_sgpr_kernarg_segment_ptr 1
		.amdhsa_user_sgpr_dispatch_id 0
		.amdhsa_user_sgpr_flat_scratch_init 0
		.amdhsa_user_sgpr_private_segment_size 0
		.amdhsa_wavefront_size32 1
		.amdhsa_uses_dynamic_stack 0
		.amdhsa_system_sgpr_private_segment_wavefront_offset 0
		.amdhsa_system_sgpr_workgroup_id_x 1
		.amdhsa_system_sgpr_workgroup_id_y 1
		.amdhsa_system_sgpr_workgroup_id_z 1
		.amdhsa_system_sgpr_workgroup_info 0
		.amdhsa_system_vgpr_workitem_id 0
		.amdhsa_next_free_vgpr 26
		.amdhsa_next_free_sgpr 36
		.amdhsa_reserve_vcc 1
		.amdhsa_reserve_flat_scratch 0
		.amdhsa_float_round_mode_32 0
		.amdhsa_float_round_mode_16_64 0
		.amdhsa_float_denorm_mode_32 3
		.amdhsa_float_denorm_mode_16_64 3
		.amdhsa_dx10_clamp 1
		.amdhsa_ieee_mode 1
		.amdhsa_fp16_overflow 0
		.amdhsa_workgroup_processor_mode 1
		.amdhsa_memory_ordered 1
		.amdhsa_forward_progress 1
		.amdhsa_shared_vgpr_count 0
		.amdhsa_exception_fp_ieee_invalid_op 0
		.amdhsa_exception_fp_denorm_src 0
		.amdhsa_exception_fp_ieee_div_zero 0
		.amdhsa_exception_fp_ieee_overflow 0
		.amdhsa_exception_fp_ieee_underflow 0
		.amdhsa_exception_fp_ieee_inexact 0
		.amdhsa_exception_int_div_zero 0
	.end_amdhsa_kernel
	.section	.text._ZL13mul_mat_vec_fI6__halffLi6ELi160ELb0ELb0EEvPKT_PKfPKi31ggml_cuda_mm_fusion_args_devicePfi15HIP_vector_typeIjLj3EEiiiSB_iiiSB_iiii,"axG",@progbits,_ZL13mul_mat_vec_fI6__halffLi6ELi160ELb0ELb0EEvPKT_PKfPKi31ggml_cuda_mm_fusion_args_devicePfi15HIP_vector_typeIjLj3EEiiiSB_iiiSB_iiii,comdat
.Lfunc_end244:
	.size	_ZL13mul_mat_vec_fI6__halffLi6ELi160ELb0ELb0EEvPKT_PKfPKi31ggml_cuda_mm_fusion_args_devicePfi15HIP_vector_typeIjLj3EEiiiSB_iiiSB_iiii, .Lfunc_end244-_ZL13mul_mat_vec_fI6__halffLi6ELi160ELb0ELb0EEvPKT_PKfPKi31ggml_cuda_mm_fusion_args_devicePfi15HIP_vector_typeIjLj3EEiiiSB_iiiSB_iiii
                                        ; -- End function
	.set _ZL13mul_mat_vec_fI6__halffLi6ELi160ELb0ELb0EEvPKT_PKfPKi31ggml_cuda_mm_fusion_args_devicePfi15HIP_vector_typeIjLj3EEiiiSB_iiiSB_iiii.num_vgpr, 26
	.set _ZL13mul_mat_vec_fI6__halffLi6ELi160ELb0ELb0EEvPKT_PKfPKi31ggml_cuda_mm_fusion_args_devicePfi15HIP_vector_typeIjLj3EEiiiSB_iiiSB_iiii.num_agpr, 0
	.set _ZL13mul_mat_vec_fI6__halffLi6ELi160ELb0ELb0EEvPKT_PKfPKi31ggml_cuda_mm_fusion_args_devicePfi15HIP_vector_typeIjLj3EEiiiSB_iiiSB_iiii.numbered_sgpr, 36
	.set _ZL13mul_mat_vec_fI6__halffLi6ELi160ELb0ELb0EEvPKT_PKfPKi31ggml_cuda_mm_fusion_args_devicePfi15HIP_vector_typeIjLj3EEiiiSB_iiiSB_iiii.num_named_barrier, 0
	.set _ZL13mul_mat_vec_fI6__halffLi6ELi160ELb0ELb0EEvPKT_PKfPKi31ggml_cuda_mm_fusion_args_devicePfi15HIP_vector_typeIjLj3EEiiiSB_iiiSB_iiii.private_seg_size, 0
	.set _ZL13mul_mat_vec_fI6__halffLi6ELi160ELb0ELb0EEvPKT_PKfPKi31ggml_cuda_mm_fusion_args_devicePfi15HIP_vector_typeIjLj3EEiiiSB_iiiSB_iiii.uses_vcc, 1
	.set _ZL13mul_mat_vec_fI6__halffLi6ELi160ELb0ELb0EEvPKT_PKfPKi31ggml_cuda_mm_fusion_args_devicePfi15HIP_vector_typeIjLj3EEiiiSB_iiiSB_iiii.uses_flat_scratch, 0
	.set _ZL13mul_mat_vec_fI6__halffLi6ELi160ELb0ELb0EEvPKT_PKfPKi31ggml_cuda_mm_fusion_args_devicePfi15HIP_vector_typeIjLj3EEiiiSB_iiiSB_iiii.has_dyn_sized_stack, 0
	.set _ZL13mul_mat_vec_fI6__halffLi6ELi160ELb0ELb0EEvPKT_PKfPKi31ggml_cuda_mm_fusion_args_devicePfi15HIP_vector_typeIjLj3EEiiiSB_iiiSB_iiii.has_recursion, 0
	.set _ZL13mul_mat_vec_fI6__halffLi6ELi160ELb0ELb0EEvPKT_PKfPKi31ggml_cuda_mm_fusion_args_devicePfi15HIP_vector_typeIjLj3EEiiiSB_iiiSB_iiii.has_indirect_call, 0
	.section	.AMDGPU.csdata,"",@progbits
; Kernel info:
; codeLenInByte = 2536
; TotalNumSgprs: 38
; NumVgprs: 26
; ScratchSize: 0
; MemoryBound: 0
; FloatMode: 240
; IeeeMode: 1
; LDSByteSize: 0 bytes/workgroup (compile time only)
; SGPRBlocks: 0
; VGPRBlocks: 3
; NumSGPRsForWavesPerEU: 38
; NumVGPRsForWavesPerEU: 26
; Occupancy: 16
; WaveLimiterHint : 0
; COMPUTE_PGM_RSRC2:SCRATCH_EN: 0
; COMPUTE_PGM_RSRC2:USER_SGPR: 6
; COMPUTE_PGM_RSRC2:TRAP_HANDLER: 0
; COMPUTE_PGM_RSRC2:TGID_X_EN: 1
; COMPUTE_PGM_RSRC2:TGID_Y_EN: 1
; COMPUTE_PGM_RSRC2:TGID_Z_EN: 1
; COMPUTE_PGM_RSRC2:TIDIG_COMP_CNT: 0
	.section	.text._ZL13mul_mat_vec_fI6__halffLi6ELi192ELb0ELb0EEvPKT_PKfPKi31ggml_cuda_mm_fusion_args_devicePfi15HIP_vector_typeIjLj3EEiiiSB_iiiSB_iiii,"axG",@progbits,_ZL13mul_mat_vec_fI6__halffLi6ELi192ELb0ELb0EEvPKT_PKfPKi31ggml_cuda_mm_fusion_args_devicePfi15HIP_vector_typeIjLj3EEiiiSB_iiiSB_iiii,comdat
	.globl	_ZL13mul_mat_vec_fI6__halffLi6ELi192ELb0ELb0EEvPKT_PKfPKi31ggml_cuda_mm_fusion_args_devicePfi15HIP_vector_typeIjLj3EEiiiSB_iiiSB_iiii ; -- Begin function _ZL13mul_mat_vec_fI6__halffLi6ELi192ELb0ELb0EEvPKT_PKfPKi31ggml_cuda_mm_fusion_args_devicePfi15HIP_vector_typeIjLj3EEiiiSB_iiiSB_iiii
	.p2align	8
	.type	_ZL13mul_mat_vec_fI6__halffLi6ELi192ELb0ELb0EEvPKT_PKfPKi31ggml_cuda_mm_fusion_args_devicePfi15HIP_vector_typeIjLj3EEiiiSB_iiiSB_iiii,@function
_ZL13mul_mat_vec_fI6__halffLi6ELi192ELb0ELb0EEvPKT_PKfPKi31ggml_cuda_mm_fusion_args_devicePfi15HIP_vector_typeIjLj3EEiiiSB_iiiSB_iiii: ; @_ZL13mul_mat_vec_fI6__halffLi6ELi192ELb0ELb0EEvPKT_PKfPKi31ggml_cuda_mm_fusion_args_devicePfi15HIP_vector_typeIjLj3EEiiiSB_iiiSB_iiii
; %bb.0:
	s_clause 0x2
	s_load_dwordx2 s[0:1], s[4:5], 0x10
	s_load_dwordx8 s[12:19], s[4:5], 0x40
	s_load_dwordx4 s[20:23], s[4:5], 0x80
	s_waitcnt lgkmcnt(0)
	s_cmp_eq_u64 s[0:1], 0
	s_cselect_b32 s10, -1, 0
	s_cmp_lg_u64 s[0:1], 0
	s_cselect_b32 s11, -1, 0
	s_and_b32 vcc_lo, exec_lo, s10
	s_cbranch_vccnz .LBB245_2
; %bb.1:
	s_mul_i32 s2, s23, s8
	s_mov_b32 s3, 0
	s_add_i32 s2, s2, s7
	s_lshl_b64 s[24:25], s[2:3], 2
	s_add_u32 s0, s0, s24
	s_addc_u32 s1, s1, s25
	s_load_dword s9, s[0:1], 0x0
	s_cbranch_execz .LBB245_3
	s_branch .LBB245_4
.LBB245_2:
                                        ; implicit-def: $sgpr9
.LBB245_3:
	s_load_dwordx2 s[0:1], s[4:5], 0x5c
	s_waitcnt lgkmcnt(0)
	s_mul_hi_u32 s0, s0, s7
	s_add_i32 s0, s7, s0
	s_lshr_b32 s9, s0, s1
.LBB245_4:
	s_load_dwordx4 s[24:27], s[4:5], 0x68
	s_andn2_b32 vcc_lo, exec_lo, s11
	s_mov_b32 s19, s7
	s_cbranch_vccnz .LBB245_6
; %bb.5:
	s_mul_hi_u32 s0, s13, s7
	s_add_i32 s0, s7, s0
	s_lshr_b32 s0, s0, s14
	s_mul_i32 s0, s0, s15
	s_sub_i32 s19, s7, s0
.LBB245_6:
	s_load_dword s14, s[4:5], 0x78
	v_cmp_gt_u32_e32 vcc_lo, 32, v0
	v_lshl_add_u32 v5, v0, 2, 0
	s_and_saveexec_b32 s0, vcc_lo
; %bb.7:
	v_mov_b32_e32 v1, 0
	ds_write_b32 v5, v1
; %bb.8:
	s_or_b32 exec_lo, exec_lo, s0
	v_mov_b32_e32 v6, 0
	v_mov_b32_e32 v7, 0
	;; [unrolled: 1-line block ×6, first 2 shown]
	s_and_b32 s0, exec_lo, s10
	s_mov_b32 s11, 0
	s_cselect_b32 s10, s8, 0
	s_mov_b32 s13, exec_lo
	s_waitcnt lgkmcnt(0)
	s_barrier
	buffer_gl0_inv
	v_cmpx_gt_i32_e64 s12, v0
	s_cbranch_execz .LBB245_12
; %bb.9:
	s_load_dwordx4 s[0:3], s[4:5], 0x0
	s_mul_hi_u32 s15, s27, s10
	s_mul_hi_i32 s29, s21, s10
	s_mul_i32 s28, s21, s10
	s_mul_i32 s8, s9, s24
	;; [unrolled: 1-line block ×4, first 2 shown]
	s_add_i32 s15, s10, s15
	s_lshl_b64 s[28:29], s[28:29], 2
	s_ashr_i32 s9, s8, 31
	s_ashr_i32 s25, s24, 31
	;; [unrolled: 1-line block ×3, first 2 shown]
	s_lshr_b32 s14, s15, s14
	s_mov_b32 s34, s17
	s_mul_hi_i32 s21, s14, s20
	s_mul_i32 s20, s14, s20
	v_lshlrev_b32_e32 v2, 3, v0
	v_lshlrev_b32_e32 v1, 2, v0
	v_mov_b32_e32 v10, 0
	v_mov_b32_e32 v12, v0
	s_waitcnt lgkmcnt(0)
	s_add_u32 s15, s2, s28
	s_addc_u32 s16, s3, s29
	s_lshl_b64 s[30:31], s[30:31], 2
	v_mov_b32_e32 v11, 0
	s_add_u32 s14, s15, s30
	s_addc_u32 s15, s16, s31
	s_lshl_b64 s[8:9], s[8:9], 1
	s_ashr_i32 s35, s17, 31
	s_add_i32 s16, s17, s17
	s_lshl_b32 s19, s17, 2
	s_lshl_b64 s[20:21], s[20:21], 1
	s_lshl_b64 s[24:25], s[24:25], 1
	s_add_u32 s0, s0, s8
	s_addc_u32 s1, s1, s9
	s_add_u32 s0, s0, s24
	s_addc_u32 s1, s1, s25
	;; [unrolled: 2-line block ×3, first 2 shown]
	s_lshl_b64 s[8:9], s[34:35], 3
	s_add_u32 s2, s2, s30
	s_addc_u32 s3, s3, s31
	s_add_u32 s2, s2, s28
	s_addc_u32 s3, s3, s29
	v_add_co_u32 v3, s2, s2, v2
	v_add_co_ci_u32_e64 v4, null, s3, 0, s2
	v_add_co_u32 v1, s0, s0, v1
	v_add_co_ci_u32_e64 v2, null, s1, 0, s0
	;; [unrolled: 2-line block ×3, first 2 shown]
	v_mov_b32_e32 v9, 0
	v_mov_b32_e32 v8, 0
	;; [unrolled: 1-line block ×4, first 2 shown]
	s_mul_i32 s1, s17, 3
	s_mul_i32 s2, s17, 5
.LBB245_10:                             ; =>This Inner Loop Header: Depth=1
	v_add_nc_u32_e32 v15, s16, v12
	v_add_nc_u32_e32 v19, s1, v12
	;; [unrolled: 1-line block ×4, first 2 shown]
	v_add_co_u32 v17, s0, v3, s8
	v_ashrrev_i32_e32 v16, 31, v15
	v_ashrrev_i32_e32 v20, 31, v19
	;; [unrolled: 1-line block ×4, first 2 shown]
	v_add_co_ci_u32_e64 v18, null, s9, v4, s0
	v_lshlrev_b64 v[15:16], 3, v[15:16]
	v_lshlrev_b64 v[19:20], 3, v[19:20]
	;; [unrolled: 1-line block ×4, first 2 shown]
	global_load_dword v25, v[1:2], off
	global_load_dwordx2 v[13:14], v[3:4], off offset:-4
	v_add_nc_u32_e32 v12, 0xc0, v12
	v_add_co_u32 v15, s0, s14, v15
	v_add_co_ci_u32_e64 v16, null, s15, v16, s0
	v_add_co_u32 v19, s0, s14, v19
	v_add_co_ci_u32_e64 v20, null, s15, v20, s0
	v_add_co_u32 v21, s0, s14, v21
	v_add_co_ci_u32_e64 v22, null, s15, v22, s0
	v_add_co_u32 v23, s0, s14, v23
	v_add_co_ci_u32_e64 v24, null, s15, v24, s0
	global_load_dwordx2 v[17:18], v[17:18], off offset:-4
	s_clause 0x3
	global_load_dwordx2 v[15:16], v[15:16], off
	global_load_dwordx2 v[19:20], v[19:20], off
	;; [unrolled: 1-line block ×4, first 2 shown]
	v_add_co_u32 v1, s0, 0x300, v1
	v_add_co_ci_u32_e64 v2, null, 0, v2, s0
	v_add_co_u32 v3, s0, 0x600, v3
	v_add_co_ci_u32_e64 v4, null, 0, v4, s0
	v_cmp_le_i32_e64 s0, s12, v12
	s_or_b32 s11, s0, s11
	s_waitcnt vmcnt(5)
	v_fma_mix_f32 v10, v13, v25, v10 op_sel_hi:[0,1,0]
	v_fma_mix_f32 v10, v14, v25, v10 op_sel:[0,1,0] op_sel_hi:[0,1,0]
	s_waitcnt vmcnt(4)
	v_fma_mix_f32 v11, v17, v25, v11 op_sel_hi:[0,1,0]
	s_waitcnt vmcnt(3)
	v_fma_mix_f32 v9, v15, v25, v9 op_sel_hi:[0,1,0]
	;; [unrolled: 2-line block ×5, first 2 shown]
	v_fma_mix_f32 v11, v18, v25, v11 op_sel:[0,1,0] op_sel_hi:[0,1,0]
	v_fma_mix_f32 v9, v16, v25, v9 op_sel:[0,1,0] op_sel_hi:[0,1,0]
	;; [unrolled: 1-line block ×5, first 2 shown]
	s_andn2_b32 exec_lo, exec_lo, s11
	s_cbranch_execnz .LBB245_10
; %bb.11:
	s_or_b32 exec_lo, exec_lo, s11
.LBB245_12:
	s_or_b32 exec_lo, exec_lo, s13
	v_mbcnt_lo_u32_b32 v2, -1, 0
	v_xor_b32_e32 v1, 16, v2
	v_xor_b32_e32 v3, 8, v2
	v_cmp_gt_i32_e64 s0, 32, v1
	v_cndmask_b32_e64 v1, v2, v1, s0
	v_cmp_gt_i32_e64 s0, 32, v3
	v_lshlrev_b32_e32 v1, 2, v1
	v_cndmask_b32_e64 v3, v2, v3, s0
	ds_bpermute_b32 v4, v1, v10
	v_lshlrev_b32_e32 v3, 2, v3
	s_waitcnt lgkmcnt(0)
	v_add_f32_e32 v10, v10, v4
	v_xor_b32_e32 v4, 4, v2
	ds_bpermute_b32 v12, v3, v10
	v_cmp_gt_i32_e64 s0, 32, v4
	v_cndmask_b32_e64 v4, v2, v4, s0
	v_lshlrev_b32_e32 v4, 2, v4
	s_waitcnt lgkmcnt(0)
	v_add_f32_e32 v12, v10, v12
	v_xor_b32_e32 v10, 2, v2
	ds_bpermute_b32 v13, v4, v12
	v_cmp_gt_i32_e64 s0, 32, v10
	v_cndmask_b32_e64 v10, v2, v10, s0
	v_lshlrev_b32_e32 v10, 2, v10
	s_waitcnt lgkmcnt(0)
	v_add_f32_e32 v13, v12, v13
	v_xor_b32_e32 v12, 1, v2
	ds_bpermute_b32 v14, v10, v13
	v_cmp_gt_i32_e64 s0, 32, v12
	v_cndmask_b32_e64 v2, v2, v12, s0
	v_lshlrev_b32_e32 v12, 2, v2
	s_waitcnt lgkmcnt(0)
	v_add_f32_e32 v2, v13, v14
	v_lshrrev_b32_e32 v13, 3, v0
	ds_bpermute_b32 v14, v12, v2
	v_and_b32_e32 v13, 0x7c, v13
	v_add_nc_u32_e32 v13, 0, v13
	s_waitcnt lgkmcnt(0)
	v_add_f32_e32 v2, v2, v14
	ds_write_b32 v13, v2
	s_waitcnt lgkmcnt(0)
	s_barrier
	buffer_gl0_inv
	s_and_saveexec_b32 s0, vcc_lo
	s_cbranch_execz .LBB245_14
; %bb.13:
	ds_read_b32 v2, v5
	s_waitcnt lgkmcnt(0)
	ds_bpermute_b32 v14, v1, v2
	s_waitcnt lgkmcnt(0)
	v_add_f32_e32 v2, v2, v14
	ds_bpermute_b32 v14, v3, v2
	s_waitcnt lgkmcnt(0)
	v_add_f32_e32 v2, v2, v14
	ds_bpermute_b32 v14, v4, v2
	s_waitcnt lgkmcnt(0)
	v_add_f32_e32 v2, v2, v14
	ds_bpermute_b32 v14, v10, v2
	s_waitcnt lgkmcnt(0)
	v_add_f32_e32 v2, v2, v14
	ds_bpermute_b32 v14, v12, v2
	s_waitcnt lgkmcnt(0)
	v_add_f32_e32 v2, v2, v14
.LBB245_14:
	s_or_b32 exec_lo, exec_lo, s0
	ds_bpermute_b32 v14, v1, v11
	s_waitcnt lgkmcnt(0)
	s_barrier
	buffer_gl0_inv
	v_add_f32_e32 v11, v11, v14
	ds_bpermute_b32 v14, v3, v11
	s_waitcnt lgkmcnt(0)
	v_add_f32_e32 v11, v11, v14
	ds_bpermute_b32 v14, v4, v11
	s_waitcnt lgkmcnt(0)
	v_add_f32_e32 v11, v11, v14
	ds_bpermute_b32 v14, v10, v11
	s_waitcnt lgkmcnt(0)
	v_add_f32_e32 v11, v11, v14
	ds_bpermute_b32 v14, v12, v11
	s_waitcnt lgkmcnt(0)
	v_add_f32_e32 v11, v11, v14
	ds_write_b32 v13, v11
	s_waitcnt lgkmcnt(0)
	s_barrier
	buffer_gl0_inv
	s_and_saveexec_b32 s0, vcc_lo
	s_cbranch_execz .LBB245_16
; %bb.15:
	ds_read_b32 v11, v5
	s_waitcnt lgkmcnt(0)
	ds_bpermute_b32 v14, v1, v11
	s_waitcnt lgkmcnt(0)
	v_add_f32_e32 v11, v11, v14
	ds_bpermute_b32 v14, v3, v11
	s_waitcnt lgkmcnt(0)
	v_add_f32_e32 v11, v11, v14
	ds_bpermute_b32 v14, v4, v11
	s_waitcnt lgkmcnt(0)
	v_add_f32_e32 v11, v11, v14
	ds_bpermute_b32 v14, v10, v11
	s_waitcnt lgkmcnt(0)
	v_add_f32_e32 v11, v11, v14
	ds_bpermute_b32 v14, v12, v11
	s_waitcnt lgkmcnt(0)
	v_add_f32_e32 v11, v11, v14
.LBB245_16:
	s_or_b32 exec_lo, exec_lo, s0
	ds_bpermute_b32 v14, v1, v9
	s_waitcnt lgkmcnt(0)
	s_barrier
	buffer_gl0_inv
	v_add_f32_e32 v9, v9, v14
	ds_bpermute_b32 v14, v3, v9
	s_waitcnt lgkmcnt(0)
	v_add_f32_e32 v9, v9, v14
	ds_bpermute_b32 v14, v4, v9
	s_waitcnt lgkmcnt(0)
	v_add_f32_e32 v9, v9, v14
	ds_bpermute_b32 v14, v10, v9
	s_waitcnt lgkmcnt(0)
	v_add_f32_e32 v9, v9, v14
	ds_bpermute_b32 v14, v12, v9
	;; [unrolled: 43-line block ×5, first 2 shown]
	s_waitcnt lgkmcnt(0)
	v_add_f32_e32 v6, v6, v14
	ds_write_b32 v13, v6
	s_waitcnt lgkmcnt(0)
	s_barrier
	buffer_gl0_inv
	s_and_saveexec_b32 s0, vcc_lo
	s_cbranch_execz .LBB245_24
; %bb.23:
	ds_read_b32 v5, v5
	s_waitcnt lgkmcnt(0)
	ds_bpermute_b32 v1, v1, v5
	s_waitcnt lgkmcnt(0)
	v_add_f32_e32 v1, v5, v1
	ds_bpermute_b32 v3, v3, v1
	s_waitcnt lgkmcnt(0)
	v_add_f32_e32 v1, v1, v3
	;; [unrolled: 3-line block ×5, first 2 shown]
.LBB245_24:
	s_or_b32 exec_lo, exec_lo, s0
	s_barrier
	buffer_gl0_inv
	s_mov_b32 s0, exec_lo
	v_cmpx_gt_u32_e32 6, v0
	s_cbranch_execz .LBB245_26
; %bb.25:
	s_load_dwordx2 s[0:1], s[4:5], 0x38
	v_cmp_eq_u32_e32 vcc_lo, 1, v0
	s_mul_hi_i32 s3, s22, s10
	s_mul_i32 s2, s22, s10
	s_mul_i32 s4, s26, s7
	s_lshl_b64 s[2:3], s[2:3], 2
	v_cndmask_b32_e32 v3, v2, v11, vcc_lo
	v_cmp_eq_u32_e32 vcc_lo, 2, v0
	v_mad_u64_u32 v[1:2], null, s18, v0, s[6:7]
	s_ashr_i32 s5, s4, 31
	v_cndmask_b32_e32 v3, v3, v9, vcc_lo
	v_cmp_eq_u32_e32 vcc_lo, 3, v0
	v_ashrrev_i32_e32 v2, 31, v1
	v_cndmask_b32_e32 v3, v3, v8, vcc_lo
	v_cmp_eq_u32_e32 vcc_lo, 4, v0
	s_waitcnt lgkmcnt(0)
	s_add_u32 s2, s0, s2
	v_lshlrev_b64 v[1:2], 2, v[1:2]
	s_addc_u32 s3, s1, s3
	s_lshl_b64 s[0:1], s[4:5], 2
	v_cndmask_b32_e32 v3, v3, v7, vcc_lo
	v_cmp_eq_u32_e32 vcc_lo, 5, v0
	s_add_u32 s0, s2, s0
	s_addc_u32 s1, s3, s1
	v_cndmask_b32_e32 v3, v3, v6, vcc_lo
	v_add_co_u32 v0, vcc_lo, s0, v1
	v_add_co_ci_u32_e64 v1, null, s1, v2, vcc_lo
	global_store_dword v[0:1], v3, off
.LBB245_26:
	s_endpgm
	.section	.rodata,"a",@progbits
	.p2align	6, 0x0
	.amdhsa_kernel _ZL13mul_mat_vec_fI6__halffLi6ELi192ELb0ELb0EEvPKT_PKfPKi31ggml_cuda_mm_fusion_args_devicePfi15HIP_vector_typeIjLj3EEiiiSB_iiiSB_iiii
		.amdhsa_group_segment_fixed_size 0
		.amdhsa_private_segment_fixed_size 0
		.amdhsa_kernarg_size 144
		.amdhsa_user_sgpr_count 6
		.amdhsa_user_sgpr_private_segment_buffer 1
		.amdhsa_user_sgpr_dispatch_ptr 0
		.amdhsa_user_sgpr_queue_ptr 0
		.amdhsa_user_sgpr_kernarg_segment_ptr 1
		.amdhsa_user_sgpr_dispatch_id 0
		.amdhsa_user_sgpr_flat_scratch_init 0
		.amdhsa_user_sgpr_private_segment_size 0
		.amdhsa_wavefront_size32 1
		.amdhsa_uses_dynamic_stack 0
		.amdhsa_system_sgpr_private_segment_wavefront_offset 0
		.amdhsa_system_sgpr_workgroup_id_x 1
		.amdhsa_system_sgpr_workgroup_id_y 1
		.amdhsa_system_sgpr_workgroup_id_z 1
		.amdhsa_system_sgpr_workgroup_info 0
		.amdhsa_system_vgpr_workitem_id 0
		.amdhsa_next_free_vgpr 26
		.amdhsa_next_free_sgpr 36
		.amdhsa_reserve_vcc 1
		.amdhsa_reserve_flat_scratch 0
		.amdhsa_float_round_mode_32 0
		.amdhsa_float_round_mode_16_64 0
		.amdhsa_float_denorm_mode_32 3
		.amdhsa_float_denorm_mode_16_64 3
		.amdhsa_dx10_clamp 1
		.amdhsa_ieee_mode 1
		.amdhsa_fp16_overflow 0
		.amdhsa_workgroup_processor_mode 1
		.amdhsa_memory_ordered 1
		.amdhsa_forward_progress 1
		.amdhsa_shared_vgpr_count 0
		.amdhsa_exception_fp_ieee_invalid_op 0
		.amdhsa_exception_fp_denorm_src 0
		.amdhsa_exception_fp_ieee_div_zero 0
		.amdhsa_exception_fp_ieee_overflow 0
		.amdhsa_exception_fp_ieee_underflow 0
		.amdhsa_exception_fp_ieee_inexact 0
		.amdhsa_exception_int_div_zero 0
	.end_amdhsa_kernel
	.section	.text._ZL13mul_mat_vec_fI6__halffLi6ELi192ELb0ELb0EEvPKT_PKfPKi31ggml_cuda_mm_fusion_args_devicePfi15HIP_vector_typeIjLj3EEiiiSB_iiiSB_iiii,"axG",@progbits,_ZL13mul_mat_vec_fI6__halffLi6ELi192ELb0ELb0EEvPKT_PKfPKi31ggml_cuda_mm_fusion_args_devicePfi15HIP_vector_typeIjLj3EEiiiSB_iiiSB_iiii,comdat
.Lfunc_end245:
	.size	_ZL13mul_mat_vec_fI6__halffLi6ELi192ELb0ELb0EEvPKT_PKfPKi31ggml_cuda_mm_fusion_args_devicePfi15HIP_vector_typeIjLj3EEiiiSB_iiiSB_iiii, .Lfunc_end245-_ZL13mul_mat_vec_fI6__halffLi6ELi192ELb0ELb0EEvPKT_PKfPKi31ggml_cuda_mm_fusion_args_devicePfi15HIP_vector_typeIjLj3EEiiiSB_iiiSB_iiii
                                        ; -- End function
	.set _ZL13mul_mat_vec_fI6__halffLi6ELi192ELb0ELb0EEvPKT_PKfPKi31ggml_cuda_mm_fusion_args_devicePfi15HIP_vector_typeIjLj3EEiiiSB_iiiSB_iiii.num_vgpr, 26
	.set _ZL13mul_mat_vec_fI6__halffLi6ELi192ELb0ELb0EEvPKT_PKfPKi31ggml_cuda_mm_fusion_args_devicePfi15HIP_vector_typeIjLj3EEiiiSB_iiiSB_iiii.num_agpr, 0
	.set _ZL13mul_mat_vec_fI6__halffLi6ELi192ELb0ELb0EEvPKT_PKfPKi31ggml_cuda_mm_fusion_args_devicePfi15HIP_vector_typeIjLj3EEiiiSB_iiiSB_iiii.numbered_sgpr, 36
	.set _ZL13mul_mat_vec_fI6__halffLi6ELi192ELb0ELb0EEvPKT_PKfPKi31ggml_cuda_mm_fusion_args_devicePfi15HIP_vector_typeIjLj3EEiiiSB_iiiSB_iiii.num_named_barrier, 0
	.set _ZL13mul_mat_vec_fI6__halffLi6ELi192ELb0ELb0EEvPKT_PKfPKi31ggml_cuda_mm_fusion_args_devicePfi15HIP_vector_typeIjLj3EEiiiSB_iiiSB_iiii.private_seg_size, 0
	.set _ZL13mul_mat_vec_fI6__halffLi6ELi192ELb0ELb0EEvPKT_PKfPKi31ggml_cuda_mm_fusion_args_devicePfi15HIP_vector_typeIjLj3EEiiiSB_iiiSB_iiii.uses_vcc, 1
	.set _ZL13mul_mat_vec_fI6__halffLi6ELi192ELb0ELb0EEvPKT_PKfPKi31ggml_cuda_mm_fusion_args_devicePfi15HIP_vector_typeIjLj3EEiiiSB_iiiSB_iiii.uses_flat_scratch, 0
	.set _ZL13mul_mat_vec_fI6__halffLi6ELi192ELb0ELb0EEvPKT_PKfPKi31ggml_cuda_mm_fusion_args_devicePfi15HIP_vector_typeIjLj3EEiiiSB_iiiSB_iiii.has_dyn_sized_stack, 0
	.set _ZL13mul_mat_vec_fI6__halffLi6ELi192ELb0ELb0EEvPKT_PKfPKi31ggml_cuda_mm_fusion_args_devicePfi15HIP_vector_typeIjLj3EEiiiSB_iiiSB_iiii.has_recursion, 0
	.set _ZL13mul_mat_vec_fI6__halffLi6ELi192ELb0ELb0EEvPKT_PKfPKi31ggml_cuda_mm_fusion_args_devicePfi15HIP_vector_typeIjLj3EEiiiSB_iiiSB_iiii.has_indirect_call, 0
	.section	.AMDGPU.csdata,"",@progbits
; Kernel info:
; codeLenInByte = 2536
; TotalNumSgprs: 38
; NumVgprs: 26
; ScratchSize: 0
; MemoryBound: 0
; FloatMode: 240
; IeeeMode: 1
; LDSByteSize: 0 bytes/workgroup (compile time only)
; SGPRBlocks: 0
; VGPRBlocks: 3
; NumSGPRsForWavesPerEU: 38
; NumVGPRsForWavesPerEU: 26
; Occupancy: 16
; WaveLimiterHint : 0
; COMPUTE_PGM_RSRC2:SCRATCH_EN: 0
; COMPUTE_PGM_RSRC2:USER_SGPR: 6
; COMPUTE_PGM_RSRC2:TRAP_HANDLER: 0
; COMPUTE_PGM_RSRC2:TGID_X_EN: 1
; COMPUTE_PGM_RSRC2:TGID_Y_EN: 1
; COMPUTE_PGM_RSRC2:TGID_Z_EN: 1
; COMPUTE_PGM_RSRC2:TIDIG_COMP_CNT: 0
	.section	.text._ZL13mul_mat_vec_fI6__halffLi6ELi224ELb0ELb0EEvPKT_PKfPKi31ggml_cuda_mm_fusion_args_devicePfi15HIP_vector_typeIjLj3EEiiiSB_iiiSB_iiii,"axG",@progbits,_ZL13mul_mat_vec_fI6__halffLi6ELi224ELb0ELb0EEvPKT_PKfPKi31ggml_cuda_mm_fusion_args_devicePfi15HIP_vector_typeIjLj3EEiiiSB_iiiSB_iiii,comdat
	.globl	_ZL13mul_mat_vec_fI6__halffLi6ELi224ELb0ELb0EEvPKT_PKfPKi31ggml_cuda_mm_fusion_args_devicePfi15HIP_vector_typeIjLj3EEiiiSB_iiiSB_iiii ; -- Begin function _ZL13mul_mat_vec_fI6__halffLi6ELi224ELb0ELb0EEvPKT_PKfPKi31ggml_cuda_mm_fusion_args_devicePfi15HIP_vector_typeIjLj3EEiiiSB_iiiSB_iiii
	.p2align	8
	.type	_ZL13mul_mat_vec_fI6__halffLi6ELi224ELb0ELb0EEvPKT_PKfPKi31ggml_cuda_mm_fusion_args_devicePfi15HIP_vector_typeIjLj3EEiiiSB_iiiSB_iiii,@function
_ZL13mul_mat_vec_fI6__halffLi6ELi224ELb0ELb0EEvPKT_PKfPKi31ggml_cuda_mm_fusion_args_devicePfi15HIP_vector_typeIjLj3EEiiiSB_iiiSB_iiii: ; @_ZL13mul_mat_vec_fI6__halffLi6ELi224ELb0ELb0EEvPKT_PKfPKi31ggml_cuda_mm_fusion_args_devicePfi15HIP_vector_typeIjLj3EEiiiSB_iiiSB_iiii
; %bb.0:
	s_clause 0x2
	s_load_dwordx2 s[0:1], s[4:5], 0x10
	s_load_dwordx8 s[12:19], s[4:5], 0x40
	s_load_dwordx4 s[20:23], s[4:5], 0x80
	s_waitcnt lgkmcnt(0)
	s_cmp_eq_u64 s[0:1], 0
	s_cselect_b32 s10, -1, 0
	s_cmp_lg_u64 s[0:1], 0
	s_cselect_b32 s11, -1, 0
	s_and_b32 vcc_lo, exec_lo, s10
	s_cbranch_vccnz .LBB246_2
; %bb.1:
	s_mul_i32 s2, s23, s8
	s_mov_b32 s3, 0
	s_add_i32 s2, s2, s7
	s_lshl_b64 s[24:25], s[2:3], 2
	s_add_u32 s0, s0, s24
	s_addc_u32 s1, s1, s25
	s_load_dword s9, s[0:1], 0x0
	s_cbranch_execz .LBB246_3
	s_branch .LBB246_4
.LBB246_2:
                                        ; implicit-def: $sgpr9
.LBB246_3:
	s_load_dwordx2 s[0:1], s[4:5], 0x5c
	s_waitcnt lgkmcnt(0)
	s_mul_hi_u32 s0, s0, s7
	s_add_i32 s0, s7, s0
	s_lshr_b32 s9, s0, s1
.LBB246_4:
	s_load_dwordx4 s[24:27], s[4:5], 0x68
	s_andn2_b32 vcc_lo, exec_lo, s11
	s_mov_b32 s19, s7
	s_cbranch_vccnz .LBB246_6
; %bb.5:
	s_mul_hi_u32 s0, s13, s7
	s_add_i32 s0, s7, s0
	s_lshr_b32 s0, s0, s14
	s_mul_i32 s0, s0, s15
	s_sub_i32 s19, s7, s0
.LBB246_6:
	s_load_dword s14, s[4:5], 0x78
	v_cmp_gt_u32_e32 vcc_lo, 32, v0
	v_lshl_add_u32 v5, v0, 2, 0
	s_and_saveexec_b32 s0, vcc_lo
; %bb.7:
	v_mov_b32_e32 v1, 0
	ds_write_b32 v5, v1
; %bb.8:
	s_or_b32 exec_lo, exec_lo, s0
	v_mov_b32_e32 v6, 0
	v_mov_b32_e32 v7, 0
	;; [unrolled: 1-line block ×6, first 2 shown]
	s_and_b32 s0, exec_lo, s10
	s_mov_b32 s11, 0
	s_cselect_b32 s10, s8, 0
	s_mov_b32 s13, exec_lo
	s_waitcnt lgkmcnt(0)
	s_barrier
	buffer_gl0_inv
	v_cmpx_gt_i32_e64 s12, v0
	s_cbranch_execz .LBB246_12
; %bb.9:
	s_load_dwordx4 s[0:3], s[4:5], 0x0
	s_mul_hi_u32 s15, s27, s10
	s_mul_hi_i32 s29, s21, s10
	s_mul_i32 s28, s21, s10
	s_mul_i32 s8, s9, s24
	;; [unrolled: 1-line block ×4, first 2 shown]
	s_add_i32 s15, s10, s15
	s_lshl_b64 s[28:29], s[28:29], 2
	s_ashr_i32 s9, s8, 31
	s_ashr_i32 s25, s24, 31
	s_ashr_i32 s31, s30, 31
	s_lshr_b32 s14, s15, s14
	s_mov_b32 s34, s17
	s_mul_hi_i32 s21, s14, s20
	s_mul_i32 s20, s14, s20
	v_lshlrev_b32_e32 v2, 3, v0
	v_lshlrev_b32_e32 v1, 2, v0
	v_mov_b32_e32 v10, 0
	v_mov_b32_e32 v12, v0
	s_waitcnt lgkmcnt(0)
	s_add_u32 s15, s2, s28
	s_addc_u32 s16, s3, s29
	s_lshl_b64 s[30:31], s[30:31], 2
	v_mov_b32_e32 v11, 0
	s_add_u32 s14, s15, s30
	s_addc_u32 s15, s16, s31
	s_lshl_b64 s[8:9], s[8:9], 1
	s_ashr_i32 s35, s17, 31
	s_add_i32 s16, s17, s17
	s_lshl_b32 s19, s17, 2
	s_lshl_b64 s[20:21], s[20:21], 1
	s_lshl_b64 s[24:25], s[24:25], 1
	s_add_u32 s0, s0, s8
	s_addc_u32 s1, s1, s9
	s_add_u32 s0, s0, s24
	s_addc_u32 s1, s1, s25
	;; [unrolled: 2-line block ×3, first 2 shown]
	s_lshl_b64 s[8:9], s[34:35], 3
	s_add_u32 s2, s2, s30
	s_addc_u32 s3, s3, s31
	s_add_u32 s2, s2, s28
	s_addc_u32 s3, s3, s29
	v_add_co_u32 v3, s2, s2, v2
	v_add_co_ci_u32_e64 v4, null, s3, 0, s2
	v_add_co_u32 v1, s0, s0, v1
	v_add_co_ci_u32_e64 v2, null, s1, 0, s0
	;; [unrolled: 2-line block ×3, first 2 shown]
	v_mov_b32_e32 v9, 0
	v_mov_b32_e32 v8, 0
	;; [unrolled: 1-line block ×4, first 2 shown]
	s_mul_i32 s1, s17, 3
	s_mul_i32 s2, s17, 5
.LBB246_10:                             ; =>This Inner Loop Header: Depth=1
	v_add_nc_u32_e32 v15, s16, v12
	v_add_nc_u32_e32 v19, s1, v12
	v_add_nc_u32_e32 v21, s19, v12
	v_add_nc_u32_e32 v23, s2, v12
	v_add_co_u32 v17, s0, v3, s8
	v_ashrrev_i32_e32 v16, 31, v15
	v_ashrrev_i32_e32 v20, 31, v19
	;; [unrolled: 1-line block ×4, first 2 shown]
	v_add_co_ci_u32_e64 v18, null, s9, v4, s0
	v_lshlrev_b64 v[15:16], 3, v[15:16]
	v_lshlrev_b64 v[19:20], 3, v[19:20]
	;; [unrolled: 1-line block ×4, first 2 shown]
	global_load_dword v25, v[1:2], off
	global_load_dwordx2 v[13:14], v[3:4], off offset:-4
	v_add_nc_u32_e32 v12, 0xe0, v12
	v_add_co_u32 v15, s0, s14, v15
	v_add_co_ci_u32_e64 v16, null, s15, v16, s0
	v_add_co_u32 v19, s0, s14, v19
	v_add_co_ci_u32_e64 v20, null, s15, v20, s0
	;; [unrolled: 2-line block ×4, first 2 shown]
	global_load_dwordx2 v[17:18], v[17:18], off offset:-4
	s_clause 0x3
	global_load_dwordx2 v[15:16], v[15:16], off
	global_load_dwordx2 v[19:20], v[19:20], off
	;; [unrolled: 1-line block ×4, first 2 shown]
	v_add_co_u32 v1, s0, 0x380, v1
	v_add_co_ci_u32_e64 v2, null, 0, v2, s0
	v_add_co_u32 v3, s0, 0x700, v3
	v_add_co_ci_u32_e64 v4, null, 0, v4, s0
	v_cmp_le_i32_e64 s0, s12, v12
	s_or_b32 s11, s0, s11
	s_waitcnt vmcnt(5)
	v_fma_mix_f32 v10, v13, v25, v10 op_sel_hi:[0,1,0]
	v_fma_mix_f32 v10, v14, v25, v10 op_sel:[0,1,0] op_sel_hi:[0,1,0]
	s_waitcnt vmcnt(4)
	v_fma_mix_f32 v11, v17, v25, v11 op_sel_hi:[0,1,0]
	s_waitcnt vmcnt(3)
	v_fma_mix_f32 v9, v15, v25, v9 op_sel_hi:[0,1,0]
	;; [unrolled: 2-line block ×5, first 2 shown]
	v_fma_mix_f32 v11, v18, v25, v11 op_sel:[0,1,0] op_sel_hi:[0,1,0]
	v_fma_mix_f32 v9, v16, v25, v9 op_sel:[0,1,0] op_sel_hi:[0,1,0]
	;; [unrolled: 1-line block ×5, first 2 shown]
	s_andn2_b32 exec_lo, exec_lo, s11
	s_cbranch_execnz .LBB246_10
; %bb.11:
	s_or_b32 exec_lo, exec_lo, s11
.LBB246_12:
	s_or_b32 exec_lo, exec_lo, s13
	v_mbcnt_lo_u32_b32 v2, -1, 0
	v_xor_b32_e32 v1, 16, v2
	v_xor_b32_e32 v3, 8, v2
	v_cmp_gt_i32_e64 s0, 32, v1
	v_cndmask_b32_e64 v1, v2, v1, s0
	v_cmp_gt_i32_e64 s0, 32, v3
	v_lshlrev_b32_e32 v1, 2, v1
	v_cndmask_b32_e64 v3, v2, v3, s0
	ds_bpermute_b32 v4, v1, v10
	v_lshlrev_b32_e32 v3, 2, v3
	s_waitcnt lgkmcnt(0)
	v_add_f32_e32 v10, v10, v4
	v_xor_b32_e32 v4, 4, v2
	ds_bpermute_b32 v12, v3, v10
	v_cmp_gt_i32_e64 s0, 32, v4
	v_cndmask_b32_e64 v4, v2, v4, s0
	v_lshlrev_b32_e32 v4, 2, v4
	s_waitcnt lgkmcnt(0)
	v_add_f32_e32 v12, v10, v12
	v_xor_b32_e32 v10, 2, v2
	ds_bpermute_b32 v13, v4, v12
	v_cmp_gt_i32_e64 s0, 32, v10
	v_cndmask_b32_e64 v10, v2, v10, s0
	;; [unrolled: 7-line block ×3, first 2 shown]
	v_lshlrev_b32_e32 v12, 2, v2
	s_waitcnt lgkmcnt(0)
	v_add_f32_e32 v2, v13, v14
	v_lshrrev_b32_e32 v13, 3, v0
	ds_bpermute_b32 v14, v12, v2
	v_and_b32_e32 v13, 0x7c, v13
	v_add_nc_u32_e32 v13, 0, v13
	s_waitcnt lgkmcnt(0)
	v_add_f32_e32 v2, v2, v14
	ds_write_b32 v13, v2
	s_waitcnt lgkmcnt(0)
	s_barrier
	buffer_gl0_inv
	s_and_saveexec_b32 s0, vcc_lo
	s_cbranch_execz .LBB246_14
; %bb.13:
	ds_read_b32 v2, v5
	s_waitcnt lgkmcnt(0)
	ds_bpermute_b32 v14, v1, v2
	s_waitcnt lgkmcnt(0)
	v_add_f32_e32 v2, v2, v14
	ds_bpermute_b32 v14, v3, v2
	s_waitcnt lgkmcnt(0)
	v_add_f32_e32 v2, v2, v14
	ds_bpermute_b32 v14, v4, v2
	s_waitcnt lgkmcnt(0)
	v_add_f32_e32 v2, v2, v14
	ds_bpermute_b32 v14, v10, v2
	s_waitcnt lgkmcnt(0)
	v_add_f32_e32 v2, v2, v14
	ds_bpermute_b32 v14, v12, v2
	s_waitcnt lgkmcnt(0)
	v_add_f32_e32 v2, v2, v14
.LBB246_14:
	s_or_b32 exec_lo, exec_lo, s0
	ds_bpermute_b32 v14, v1, v11
	s_waitcnt lgkmcnt(0)
	s_barrier
	buffer_gl0_inv
	v_add_f32_e32 v11, v11, v14
	ds_bpermute_b32 v14, v3, v11
	s_waitcnt lgkmcnt(0)
	v_add_f32_e32 v11, v11, v14
	ds_bpermute_b32 v14, v4, v11
	s_waitcnt lgkmcnt(0)
	v_add_f32_e32 v11, v11, v14
	ds_bpermute_b32 v14, v10, v11
	s_waitcnt lgkmcnt(0)
	v_add_f32_e32 v11, v11, v14
	ds_bpermute_b32 v14, v12, v11
	s_waitcnt lgkmcnt(0)
	v_add_f32_e32 v11, v11, v14
	ds_write_b32 v13, v11
	s_waitcnt lgkmcnt(0)
	s_barrier
	buffer_gl0_inv
	s_and_saveexec_b32 s0, vcc_lo
	s_cbranch_execz .LBB246_16
; %bb.15:
	ds_read_b32 v11, v5
	s_waitcnt lgkmcnt(0)
	ds_bpermute_b32 v14, v1, v11
	s_waitcnt lgkmcnt(0)
	v_add_f32_e32 v11, v11, v14
	ds_bpermute_b32 v14, v3, v11
	s_waitcnt lgkmcnt(0)
	v_add_f32_e32 v11, v11, v14
	ds_bpermute_b32 v14, v4, v11
	s_waitcnt lgkmcnt(0)
	v_add_f32_e32 v11, v11, v14
	ds_bpermute_b32 v14, v10, v11
	s_waitcnt lgkmcnt(0)
	v_add_f32_e32 v11, v11, v14
	ds_bpermute_b32 v14, v12, v11
	s_waitcnt lgkmcnt(0)
	v_add_f32_e32 v11, v11, v14
.LBB246_16:
	s_or_b32 exec_lo, exec_lo, s0
	ds_bpermute_b32 v14, v1, v9
	s_waitcnt lgkmcnt(0)
	s_barrier
	buffer_gl0_inv
	v_add_f32_e32 v9, v9, v14
	ds_bpermute_b32 v14, v3, v9
	s_waitcnt lgkmcnt(0)
	v_add_f32_e32 v9, v9, v14
	ds_bpermute_b32 v14, v4, v9
	s_waitcnt lgkmcnt(0)
	v_add_f32_e32 v9, v9, v14
	ds_bpermute_b32 v14, v10, v9
	s_waitcnt lgkmcnt(0)
	v_add_f32_e32 v9, v9, v14
	ds_bpermute_b32 v14, v12, v9
	s_waitcnt lgkmcnt(0)
	v_add_f32_e32 v9, v9, v14
	ds_write_b32 v13, v9
	s_waitcnt lgkmcnt(0)
	s_barrier
	buffer_gl0_inv
	s_and_saveexec_b32 s0, vcc_lo
	s_cbranch_execz .LBB246_18
; %bb.17:
	ds_read_b32 v9, v5
	s_waitcnt lgkmcnt(0)
	ds_bpermute_b32 v14, v1, v9
	s_waitcnt lgkmcnt(0)
	v_add_f32_e32 v9, v9, v14
	ds_bpermute_b32 v14, v3, v9
	s_waitcnt lgkmcnt(0)
	v_add_f32_e32 v9, v9, v14
	ds_bpermute_b32 v14, v4, v9
	s_waitcnt lgkmcnt(0)
	v_add_f32_e32 v9, v9, v14
	ds_bpermute_b32 v14, v10, v9
	s_waitcnt lgkmcnt(0)
	v_add_f32_e32 v9, v9, v14
	ds_bpermute_b32 v14, v12, v9
	s_waitcnt lgkmcnt(0)
	v_add_f32_e32 v9, v9, v14
.LBB246_18:
	s_or_b32 exec_lo, exec_lo, s0
	ds_bpermute_b32 v14, v1, v8
	s_waitcnt lgkmcnt(0)
	s_barrier
	buffer_gl0_inv
	v_add_f32_e32 v8, v8, v14
	ds_bpermute_b32 v14, v3, v8
	s_waitcnt lgkmcnt(0)
	v_add_f32_e32 v8, v8, v14
	ds_bpermute_b32 v14, v4, v8
	s_waitcnt lgkmcnt(0)
	v_add_f32_e32 v8, v8, v14
	ds_bpermute_b32 v14, v10, v8
	s_waitcnt lgkmcnt(0)
	v_add_f32_e32 v8, v8, v14
	ds_bpermute_b32 v14, v12, v8
	s_waitcnt lgkmcnt(0)
	v_add_f32_e32 v8, v8, v14
	ds_write_b32 v13, v8
	s_waitcnt lgkmcnt(0)
	s_barrier
	buffer_gl0_inv
	s_and_saveexec_b32 s0, vcc_lo
	s_cbranch_execz .LBB246_20
; %bb.19:
	ds_read_b32 v8, v5
	s_waitcnt lgkmcnt(0)
	ds_bpermute_b32 v14, v1, v8
	s_waitcnt lgkmcnt(0)
	v_add_f32_e32 v8, v8, v14
	ds_bpermute_b32 v14, v3, v8
	s_waitcnt lgkmcnt(0)
	v_add_f32_e32 v8, v8, v14
	ds_bpermute_b32 v14, v4, v8
	s_waitcnt lgkmcnt(0)
	v_add_f32_e32 v8, v8, v14
	ds_bpermute_b32 v14, v10, v8
	s_waitcnt lgkmcnt(0)
	v_add_f32_e32 v8, v8, v14
	ds_bpermute_b32 v14, v12, v8
	s_waitcnt lgkmcnt(0)
	v_add_f32_e32 v8, v8, v14
.LBB246_20:
	s_or_b32 exec_lo, exec_lo, s0
	ds_bpermute_b32 v14, v1, v7
	s_waitcnt lgkmcnt(0)
	s_barrier
	buffer_gl0_inv
	v_add_f32_e32 v7, v7, v14
	ds_bpermute_b32 v14, v3, v7
	s_waitcnt lgkmcnt(0)
	v_add_f32_e32 v7, v7, v14
	ds_bpermute_b32 v14, v4, v7
	s_waitcnt lgkmcnt(0)
	v_add_f32_e32 v7, v7, v14
	ds_bpermute_b32 v14, v10, v7
	s_waitcnt lgkmcnt(0)
	v_add_f32_e32 v7, v7, v14
	ds_bpermute_b32 v14, v12, v7
	s_waitcnt lgkmcnt(0)
	v_add_f32_e32 v7, v7, v14
	ds_write_b32 v13, v7
	s_waitcnt lgkmcnt(0)
	s_barrier
	buffer_gl0_inv
	s_and_saveexec_b32 s0, vcc_lo
	s_cbranch_execz .LBB246_22
; %bb.21:
	ds_read_b32 v7, v5
	s_waitcnt lgkmcnt(0)
	ds_bpermute_b32 v14, v1, v7
	s_waitcnt lgkmcnt(0)
	v_add_f32_e32 v7, v7, v14
	ds_bpermute_b32 v14, v3, v7
	s_waitcnt lgkmcnt(0)
	v_add_f32_e32 v7, v7, v14
	ds_bpermute_b32 v14, v4, v7
	s_waitcnt lgkmcnt(0)
	v_add_f32_e32 v7, v7, v14
	ds_bpermute_b32 v14, v10, v7
	s_waitcnt lgkmcnt(0)
	v_add_f32_e32 v7, v7, v14
	ds_bpermute_b32 v14, v12, v7
	s_waitcnt lgkmcnt(0)
	v_add_f32_e32 v7, v7, v14
.LBB246_22:
	s_or_b32 exec_lo, exec_lo, s0
	ds_bpermute_b32 v14, v1, v6
	s_waitcnt lgkmcnt(0)
	s_barrier
	buffer_gl0_inv
	v_add_f32_e32 v6, v6, v14
	ds_bpermute_b32 v14, v3, v6
	s_waitcnt lgkmcnt(0)
	v_add_f32_e32 v6, v6, v14
	ds_bpermute_b32 v14, v4, v6
	s_waitcnt lgkmcnt(0)
	v_add_f32_e32 v6, v6, v14
	ds_bpermute_b32 v14, v10, v6
	s_waitcnt lgkmcnt(0)
	v_add_f32_e32 v6, v6, v14
	ds_bpermute_b32 v14, v12, v6
	s_waitcnt lgkmcnt(0)
	v_add_f32_e32 v6, v6, v14
	ds_write_b32 v13, v6
	s_waitcnt lgkmcnt(0)
	s_barrier
	buffer_gl0_inv
	s_and_saveexec_b32 s0, vcc_lo
	s_cbranch_execz .LBB246_24
; %bb.23:
	ds_read_b32 v5, v5
	s_waitcnt lgkmcnt(0)
	ds_bpermute_b32 v1, v1, v5
	s_waitcnt lgkmcnt(0)
	v_add_f32_e32 v1, v5, v1
	ds_bpermute_b32 v3, v3, v1
	s_waitcnt lgkmcnt(0)
	v_add_f32_e32 v1, v1, v3
	;; [unrolled: 3-line block ×5, first 2 shown]
.LBB246_24:
	s_or_b32 exec_lo, exec_lo, s0
	s_barrier
	buffer_gl0_inv
	s_mov_b32 s0, exec_lo
	v_cmpx_gt_u32_e32 6, v0
	s_cbranch_execz .LBB246_26
; %bb.25:
	s_load_dwordx2 s[0:1], s[4:5], 0x38
	v_cmp_eq_u32_e32 vcc_lo, 1, v0
	s_mul_hi_i32 s3, s22, s10
	s_mul_i32 s2, s22, s10
	s_mul_i32 s4, s26, s7
	s_lshl_b64 s[2:3], s[2:3], 2
	v_cndmask_b32_e32 v3, v2, v11, vcc_lo
	v_cmp_eq_u32_e32 vcc_lo, 2, v0
	v_mad_u64_u32 v[1:2], null, s18, v0, s[6:7]
	s_ashr_i32 s5, s4, 31
	v_cndmask_b32_e32 v3, v3, v9, vcc_lo
	v_cmp_eq_u32_e32 vcc_lo, 3, v0
	v_ashrrev_i32_e32 v2, 31, v1
	v_cndmask_b32_e32 v3, v3, v8, vcc_lo
	v_cmp_eq_u32_e32 vcc_lo, 4, v0
	s_waitcnt lgkmcnt(0)
	s_add_u32 s2, s0, s2
	v_lshlrev_b64 v[1:2], 2, v[1:2]
	s_addc_u32 s3, s1, s3
	s_lshl_b64 s[0:1], s[4:5], 2
	v_cndmask_b32_e32 v3, v3, v7, vcc_lo
	v_cmp_eq_u32_e32 vcc_lo, 5, v0
	s_add_u32 s0, s2, s0
	s_addc_u32 s1, s3, s1
	v_cndmask_b32_e32 v3, v3, v6, vcc_lo
	v_add_co_u32 v0, vcc_lo, s0, v1
	v_add_co_ci_u32_e64 v1, null, s1, v2, vcc_lo
	global_store_dword v[0:1], v3, off
.LBB246_26:
	s_endpgm
	.section	.rodata,"a",@progbits
	.p2align	6, 0x0
	.amdhsa_kernel _ZL13mul_mat_vec_fI6__halffLi6ELi224ELb0ELb0EEvPKT_PKfPKi31ggml_cuda_mm_fusion_args_devicePfi15HIP_vector_typeIjLj3EEiiiSB_iiiSB_iiii
		.amdhsa_group_segment_fixed_size 0
		.amdhsa_private_segment_fixed_size 0
		.amdhsa_kernarg_size 144
		.amdhsa_user_sgpr_count 6
		.amdhsa_user_sgpr_private_segment_buffer 1
		.amdhsa_user_sgpr_dispatch_ptr 0
		.amdhsa_user_sgpr_queue_ptr 0
		.amdhsa_user_sgpr_kernarg_segment_ptr 1
		.amdhsa_user_sgpr_dispatch_id 0
		.amdhsa_user_sgpr_flat_scratch_init 0
		.amdhsa_user_sgpr_private_segment_size 0
		.amdhsa_wavefront_size32 1
		.amdhsa_uses_dynamic_stack 0
		.amdhsa_system_sgpr_private_segment_wavefront_offset 0
		.amdhsa_system_sgpr_workgroup_id_x 1
		.amdhsa_system_sgpr_workgroup_id_y 1
		.amdhsa_system_sgpr_workgroup_id_z 1
		.amdhsa_system_sgpr_workgroup_info 0
		.amdhsa_system_vgpr_workitem_id 0
		.amdhsa_next_free_vgpr 26
		.amdhsa_next_free_sgpr 36
		.amdhsa_reserve_vcc 1
		.amdhsa_reserve_flat_scratch 0
		.amdhsa_float_round_mode_32 0
		.amdhsa_float_round_mode_16_64 0
		.amdhsa_float_denorm_mode_32 3
		.amdhsa_float_denorm_mode_16_64 3
		.amdhsa_dx10_clamp 1
		.amdhsa_ieee_mode 1
		.amdhsa_fp16_overflow 0
		.amdhsa_workgroup_processor_mode 1
		.amdhsa_memory_ordered 1
		.amdhsa_forward_progress 1
		.amdhsa_shared_vgpr_count 0
		.amdhsa_exception_fp_ieee_invalid_op 0
		.amdhsa_exception_fp_denorm_src 0
		.amdhsa_exception_fp_ieee_div_zero 0
		.amdhsa_exception_fp_ieee_overflow 0
		.amdhsa_exception_fp_ieee_underflow 0
		.amdhsa_exception_fp_ieee_inexact 0
		.amdhsa_exception_int_div_zero 0
	.end_amdhsa_kernel
	.section	.text._ZL13mul_mat_vec_fI6__halffLi6ELi224ELb0ELb0EEvPKT_PKfPKi31ggml_cuda_mm_fusion_args_devicePfi15HIP_vector_typeIjLj3EEiiiSB_iiiSB_iiii,"axG",@progbits,_ZL13mul_mat_vec_fI6__halffLi6ELi224ELb0ELb0EEvPKT_PKfPKi31ggml_cuda_mm_fusion_args_devicePfi15HIP_vector_typeIjLj3EEiiiSB_iiiSB_iiii,comdat
.Lfunc_end246:
	.size	_ZL13mul_mat_vec_fI6__halffLi6ELi224ELb0ELb0EEvPKT_PKfPKi31ggml_cuda_mm_fusion_args_devicePfi15HIP_vector_typeIjLj3EEiiiSB_iiiSB_iiii, .Lfunc_end246-_ZL13mul_mat_vec_fI6__halffLi6ELi224ELb0ELb0EEvPKT_PKfPKi31ggml_cuda_mm_fusion_args_devicePfi15HIP_vector_typeIjLj3EEiiiSB_iiiSB_iiii
                                        ; -- End function
	.set _ZL13mul_mat_vec_fI6__halffLi6ELi224ELb0ELb0EEvPKT_PKfPKi31ggml_cuda_mm_fusion_args_devicePfi15HIP_vector_typeIjLj3EEiiiSB_iiiSB_iiii.num_vgpr, 26
	.set _ZL13mul_mat_vec_fI6__halffLi6ELi224ELb0ELb0EEvPKT_PKfPKi31ggml_cuda_mm_fusion_args_devicePfi15HIP_vector_typeIjLj3EEiiiSB_iiiSB_iiii.num_agpr, 0
	.set _ZL13mul_mat_vec_fI6__halffLi6ELi224ELb0ELb0EEvPKT_PKfPKi31ggml_cuda_mm_fusion_args_devicePfi15HIP_vector_typeIjLj3EEiiiSB_iiiSB_iiii.numbered_sgpr, 36
	.set _ZL13mul_mat_vec_fI6__halffLi6ELi224ELb0ELb0EEvPKT_PKfPKi31ggml_cuda_mm_fusion_args_devicePfi15HIP_vector_typeIjLj3EEiiiSB_iiiSB_iiii.num_named_barrier, 0
	.set _ZL13mul_mat_vec_fI6__halffLi6ELi224ELb0ELb0EEvPKT_PKfPKi31ggml_cuda_mm_fusion_args_devicePfi15HIP_vector_typeIjLj3EEiiiSB_iiiSB_iiii.private_seg_size, 0
	.set _ZL13mul_mat_vec_fI6__halffLi6ELi224ELb0ELb0EEvPKT_PKfPKi31ggml_cuda_mm_fusion_args_devicePfi15HIP_vector_typeIjLj3EEiiiSB_iiiSB_iiii.uses_vcc, 1
	.set _ZL13mul_mat_vec_fI6__halffLi6ELi224ELb0ELb0EEvPKT_PKfPKi31ggml_cuda_mm_fusion_args_devicePfi15HIP_vector_typeIjLj3EEiiiSB_iiiSB_iiii.uses_flat_scratch, 0
	.set _ZL13mul_mat_vec_fI6__halffLi6ELi224ELb0ELb0EEvPKT_PKfPKi31ggml_cuda_mm_fusion_args_devicePfi15HIP_vector_typeIjLj3EEiiiSB_iiiSB_iiii.has_dyn_sized_stack, 0
	.set _ZL13mul_mat_vec_fI6__halffLi6ELi224ELb0ELb0EEvPKT_PKfPKi31ggml_cuda_mm_fusion_args_devicePfi15HIP_vector_typeIjLj3EEiiiSB_iiiSB_iiii.has_recursion, 0
	.set _ZL13mul_mat_vec_fI6__halffLi6ELi224ELb0ELb0EEvPKT_PKfPKi31ggml_cuda_mm_fusion_args_devicePfi15HIP_vector_typeIjLj3EEiiiSB_iiiSB_iiii.has_indirect_call, 0
	.section	.AMDGPU.csdata,"",@progbits
; Kernel info:
; codeLenInByte = 2536
; TotalNumSgprs: 38
; NumVgprs: 26
; ScratchSize: 0
; MemoryBound: 0
; FloatMode: 240
; IeeeMode: 1
; LDSByteSize: 0 bytes/workgroup (compile time only)
; SGPRBlocks: 0
; VGPRBlocks: 3
; NumSGPRsForWavesPerEU: 38
; NumVGPRsForWavesPerEU: 26
; Occupancy: 16
; WaveLimiterHint : 0
; COMPUTE_PGM_RSRC2:SCRATCH_EN: 0
; COMPUTE_PGM_RSRC2:USER_SGPR: 6
; COMPUTE_PGM_RSRC2:TRAP_HANDLER: 0
; COMPUTE_PGM_RSRC2:TGID_X_EN: 1
; COMPUTE_PGM_RSRC2:TGID_Y_EN: 1
; COMPUTE_PGM_RSRC2:TGID_Z_EN: 1
; COMPUTE_PGM_RSRC2:TIDIG_COMP_CNT: 0
	.section	.text._ZL13mul_mat_vec_fI6__halffLi6ELi256ELb0ELb0EEvPKT_PKfPKi31ggml_cuda_mm_fusion_args_devicePfi15HIP_vector_typeIjLj3EEiiiSB_iiiSB_iiii,"axG",@progbits,_ZL13mul_mat_vec_fI6__halffLi6ELi256ELb0ELb0EEvPKT_PKfPKi31ggml_cuda_mm_fusion_args_devicePfi15HIP_vector_typeIjLj3EEiiiSB_iiiSB_iiii,comdat
	.globl	_ZL13mul_mat_vec_fI6__halffLi6ELi256ELb0ELb0EEvPKT_PKfPKi31ggml_cuda_mm_fusion_args_devicePfi15HIP_vector_typeIjLj3EEiiiSB_iiiSB_iiii ; -- Begin function _ZL13mul_mat_vec_fI6__halffLi6ELi256ELb0ELb0EEvPKT_PKfPKi31ggml_cuda_mm_fusion_args_devicePfi15HIP_vector_typeIjLj3EEiiiSB_iiiSB_iiii
	.p2align	8
	.type	_ZL13mul_mat_vec_fI6__halffLi6ELi256ELb0ELb0EEvPKT_PKfPKi31ggml_cuda_mm_fusion_args_devicePfi15HIP_vector_typeIjLj3EEiiiSB_iiiSB_iiii,@function
_ZL13mul_mat_vec_fI6__halffLi6ELi256ELb0ELb0EEvPKT_PKfPKi31ggml_cuda_mm_fusion_args_devicePfi15HIP_vector_typeIjLj3EEiiiSB_iiiSB_iiii: ; @_ZL13mul_mat_vec_fI6__halffLi6ELi256ELb0ELb0EEvPKT_PKfPKi31ggml_cuda_mm_fusion_args_devicePfi15HIP_vector_typeIjLj3EEiiiSB_iiiSB_iiii
; %bb.0:
	s_clause 0x2
	s_load_dwordx2 s[0:1], s[4:5], 0x10
	s_load_dwordx8 s[12:19], s[4:5], 0x40
	s_load_dwordx4 s[20:23], s[4:5], 0x80
	s_waitcnt lgkmcnt(0)
	s_cmp_eq_u64 s[0:1], 0
	s_cselect_b32 s10, -1, 0
	s_cmp_lg_u64 s[0:1], 0
	s_cselect_b32 s11, -1, 0
	s_and_b32 vcc_lo, exec_lo, s10
	s_cbranch_vccnz .LBB247_2
; %bb.1:
	s_mul_i32 s2, s23, s8
	s_mov_b32 s3, 0
	s_add_i32 s2, s2, s7
	s_lshl_b64 s[24:25], s[2:3], 2
	s_add_u32 s0, s0, s24
	s_addc_u32 s1, s1, s25
	s_load_dword s9, s[0:1], 0x0
	s_cbranch_execz .LBB247_3
	s_branch .LBB247_4
.LBB247_2:
                                        ; implicit-def: $sgpr9
.LBB247_3:
	s_load_dwordx2 s[0:1], s[4:5], 0x5c
	s_waitcnt lgkmcnt(0)
	s_mul_hi_u32 s0, s0, s7
	s_add_i32 s0, s7, s0
	s_lshr_b32 s9, s0, s1
.LBB247_4:
	s_load_dwordx4 s[24:27], s[4:5], 0x68
	s_andn2_b32 vcc_lo, exec_lo, s11
	s_mov_b32 s19, s7
	s_cbranch_vccnz .LBB247_6
; %bb.5:
	s_mul_hi_u32 s0, s13, s7
	s_add_i32 s0, s7, s0
	s_lshr_b32 s0, s0, s14
	s_mul_i32 s0, s0, s15
	s_sub_i32 s19, s7, s0
.LBB247_6:
	s_load_dword s14, s[4:5], 0x78
	v_cmp_gt_u32_e32 vcc_lo, 32, v0
	v_lshl_add_u32 v5, v0, 2, 0
	s_and_saveexec_b32 s0, vcc_lo
; %bb.7:
	v_mov_b32_e32 v1, 0
	ds_write_b32 v5, v1
; %bb.8:
	s_or_b32 exec_lo, exec_lo, s0
	v_mov_b32_e32 v6, 0
	v_mov_b32_e32 v7, 0
	;; [unrolled: 1-line block ×6, first 2 shown]
	s_and_b32 s0, exec_lo, s10
	s_mov_b32 s11, 0
	s_cselect_b32 s10, s8, 0
	s_mov_b32 s13, exec_lo
	s_waitcnt lgkmcnt(0)
	s_barrier
	buffer_gl0_inv
	v_cmpx_gt_i32_e64 s12, v0
	s_cbranch_execz .LBB247_12
; %bb.9:
	s_load_dwordx4 s[0:3], s[4:5], 0x0
	s_mul_hi_u32 s15, s27, s10
	s_mul_hi_i32 s29, s21, s10
	s_mul_i32 s28, s21, s10
	s_mul_i32 s8, s9, s24
	;; [unrolled: 1-line block ×4, first 2 shown]
	s_add_i32 s15, s10, s15
	s_lshl_b64 s[28:29], s[28:29], 2
	s_ashr_i32 s9, s8, 31
	s_ashr_i32 s25, s24, 31
	s_ashr_i32 s31, s30, 31
	s_lshr_b32 s14, s15, s14
	s_mov_b32 s34, s17
	s_mul_hi_i32 s21, s14, s20
	s_mul_i32 s20, s14, s20
	v_lshlrev_b32_e32 v2, 3, v0
	v_lshlrev_b32_e32 v1, 2, v0
	v_mov_b32_e32 v10, 0
	v_mov_b32_e32 v12, v0
	s_waitcnt lgkmcnt(0)
	s_add_u32 s15, s2, s28
	s_addc_u32 s16, s3, s29
	s_lshl_b64 s[30:31], s[30:31], 2
	v_mov_b32_e32 v11, 0
	s_add_u32 s14, s15, s30
	s_addc_u32 s15, s16, s31
	s_lshl_b64 s[8:9], s[8:9], 1
	s_ashr_i32 s35, s17, 31
	s_add_i32 s16, s17, s17
	s_lshl_b32 s19, s17, 2
	s_lshl_b64 s[20:21], s[20:21], 1
	s_lshl_b64 s[24:25], s[24:25], 1
	s_add_u32 s0, s0, s8
	s_addc_u32 s1, s1, s9
	s_add_u32 s0, s0, s24
	s_addc_u32 s1, s1, s25
	;; [unrolled: 2-line block ×3, first 2 shown]
	s_lshl_b64 s[8:9], s[34:35], 3
	s_add_u32 s2, s2, s30
	s_addc_u32 s3, s3, s31
	s_add_u32 s2, s2, s28
	s_addc_u32 s3, s3, s29
	v_add_co_u32 v3, s2, s2, v2
	v_add_co_ci_u32_e64 v4, null, s3, 0, s2
	v_add_co_u32 v1, s0, s0, v1
	v_add_co_ci_u32_e64 v2, null, s1, 0, s0
	;; [unrolled: 2-line block ×3, first 2 shown]
	v_mov_b32_e32 v9, 0
	v_mov_b32_e32 v8, 0
	;; [unrolled: 1-line block ×4, first 2 shown]
	s_mul_i32 s1, s17, 3
	s_mul_i32 s2, s17, 5
.LBB247_10:                             ; =>This Inner Loop Header: Depth=1
	v_add_nc_u32_e32 v15, s16, v12
	v_add_nc_u32_e32 v19, s1, v12
	;; [unrolled: 1-line block ×4, first 2 shown]
	v_add_co_u32 v17, s0, v3, s8
	v_ashrrev_i32_e32 v16, 31, v15
	v_ashrrev_i32_e32 v20, 31, v19
	;; [unrolled: 1-line block ×4, first 2 shown]
	v_add_co_ci_u32_e64 v18, null, s9, v4, s0
	v_lshlrev_b64 v[15:16], 3, v[15:16]
	v_lshlrev_b64 v[19:20], 3, v[19:20]
	;; [unrolled: 1-line block ×4, first 2 shown]
	global_load_dword v25, v[1:2], off
	global_load_dwordx2 v[13:14], v[3:4], off offset:-4
	v_add_nc_u32_e32 v12, 0x100, v12
	v_add_co_u32 v15, s0, s14, v15
	v_add_co_ci_u32_e64 v16, null, s15, v16, s0
	v_add_co_u32 v19, s0, s14, v19
	v_add_co_ci_u32_e64 v20, null, s15, v20, s0
	;; [unrolled: 2-line block ×4, first 2 shown]
	global_load_dwordx2 v[17:18], v[17:18], off offset:-4
	s_clause 0x3
	global_load_dwordx2 v[15:16], v[15:16], off
	global_load_dwordx2 v[19:20], v[19:20], off
	;; [unrolled: 1-line block ×4, first 2 shown]
	v_add_co_u32 v1, s0, 0x400, v1
	v_add_co_ci_u32_e64 v2, null, 0, v2, s0
	v_add_co_u32 v3, s0, 0x800, v3
	v_add_co_ci_u32_e64 v4, null, 0, v4, s0
	v_cmp_le_i32_e64 s0, s12, v12
	s_or_b32 s11, s0, s11
	s_waitcnt vmcnt(5)
	v_fma_mix_f32 v10, v13, v25, v10 op_sel_hi:[0,1,0]
	v_fma_mix_f32 v10, v14, v25, v10 op_sel:[0,1,0] op_sel_hi:[0,1,0]
	s_waitcnt vmcnt(4)
	v_fma_mix_f32 v11, v17, v25, v11 op_sel_hi:[0,1,0]
	s_waitcnt vmcnt(3)
	v_fma_mix_f32 v9, v15, v25, v9 op_sel_hi:[0,1,0]
	;; [unrolled: 2-line block ×5, first 2 shown]
	v_fma_mix_f32 v11, v18, v25, v11 op_sel:[0,1,0] op_sel_hi:[0,1,0]
	v_fma_mix_f32 v9, v16, v25, v9 op_sel:[0,1,0] op_sel_hi:[0,1,0]
	;; [unrolled: 1-line block ×5, first 2 shown]
	s_andn2_b32 exec_lo, exec_lo, s11
	s_cbranch_execnz .LBB247_10
; %bb.11:
	s_or_b32 exec_lo, exec_lo, s11
.LBB247_12:
	s_or_b32 exec_lo, exec_lo, s13
	v_mbcnt_lo_u32_b32 v2, -1, 0
	v_xor_b32_e32 v1, 16, v2
	v_xor_b32_e32 v3, 8, v2
	v_cmp_gt_i32_e64 s0, 32, v1
	v_cndmask_b32_e64 v1, v2, v1, s0
	v_cmp_gt_i32_e64 s0, 32, v3
	v_lshlrev_b32_e32 v1, 2, v1
	v_cndmask_b32_e64 v3, v2, v3, s0
	ds_bpermute_b32 v4, v1, v10
	v_lshlrev_b32_e32 v3, 2, v3
	s_waitcnt lgkmcnt(0)
	v_add_f32_e32 v10, v10, v4
	v_xor_b32_e32 v4, 4, v2
	ds_bpermute_b32 v12, v3, v10
	v_cmp_gt_i32_e64 s0, 32, v4
	v_cndmask_b32_e64 v4, v2, v4, s0
	v_lshlrev_b32_e32 v4, 2, v4
	s_waitcnt lgkmcnt(0)
	v_add_f32_e32 v12, v10, v12
	v_xor_b32_e32 v10, 2, v2
	ds_bpermute_b32 v13, v4, v12
	v_cmp_gt_i32_e64 s0, 32, v10
	v_cndmask_b32_e64 v10, v2, v10, s0
	;; [unrolled: 7-line block ×3, first 2 shown]
	v_lshlrev_b32_e32 v12, 2, v2
	s_waitcnt lgkmcnt(0)
	v_add_f32_e32 v2, v13, v14
	v_lshrrev_b32_e32 v13, 3, v0
	ds_bpermute_b32 v14, v12, v2
	v_and_b32_e32 v13, 0x7c, v13
	v_add_nc_u32_e32 v13, 0, v13
	s_waitcnt lgkmcnt(0)
	v_add_f32_e32 v2, v2, v14
	ds_write_b32 v13, v2
	s_waitcnt lgkmcnt(0)
	s_barrier
	buffer_gl0_inv
	s_and_saveexec_b32 s0, vcc_lo
	s_cbranch_execz .LBB247_14
; %bb.13:
	ds_read_b32 v2, v5
	s_waitcnt lgkmcnt(0)
	ds_bpermute_b32 v14, v1, v2
	s_waitcnt lgkmcnt(0)
	v_add_f32_e32 v2, v2, v14
	ds_bpermute_b32 v14, v3, v2
	s_waitcnt lgkmcnt(0)
	v_add_f32_e32 v2, v2, v14
	ds_bpermute_b32 v14, v4, v2
	s_waitcnt lgkmcnt(0)
	v_add_f32_e32 v2, v2, v14
	ds_bpermute_b32 v14, v10, v2
	s_waitcnt lgkmcnt(0)
	v_add_f32_e32 v2, v2, v14
	ds_bpermute_b32 v14, v12, v2
	s_waitcnt lgkmcnt(0)
	v_add_f32_e32 v2, v2, v14
.LBB247_14:
	s_or_b32 exec_lo, exec_lo, s0
	ds_bpermute_b32 v14, v1, v11
	s_waitcnt lgkmcnt(0)
	s_barrier
	buffer_gl0_inv
	v_add_f32_e32 v11, v11, v14
	ds_bpermute_b32 v14, v3, v11
	s_waitcnt lgkmcnt(0)
	v_add_f32_e32 v11, v11, v14
	ds_bpermute_b32 v14, v4, v11
	s_waitcnt lgkmcnt(0)
	v_add_f32_e32 v11, v11, v14
	ds_bpermute_b32 v14, v10, v11
	s_waitcnt lgkmcnt(0)
	v_add_f32_e32 v11, v11, v14
	ds_bpermute_b32 v14, v12, v11
	s_waitcnt lgkmcnt(0)
	v_add_f32_e32 v11, v11, v14
	ds_write_b32 v13, v11
	s_waitcnt lgkmcnt(0)
	s_barrier
	buffer_gl0_inv
	s_and_saveexec_b32 s0, vcc_lo
	s_cbranch_execz .LBB247_16
; %bb.15:
	ds_read_b32 v11, v5
	s_waitcnt lgkmcnt(0)
	ds_bpermute_b32 v14, v1, v11
	s_waitcnt lgkmcnt(0)
	v_add_f32_e32 v11, v11, v14
	ds_bpermute_b32 v14, v3, v11
	s_waitcnt lgkmcnt(0)
	v_add_f32_e32 v11, v11, v14
	ds_bpermute_b32 v14, v4, v11
	s_waitcnt lgkmcnt(0)
	v_add_f32_e32 v11, v11, v14
	ds_bpermute_b32 v14, v10, v11
	s_waitcnt lgkmcnt(0)
	v_add_f32_e32 v11, v11, v14
	ds_bpermute_b32 v14, v12, v11
	s_waitcnt lgkmcnt(0)
	v_add_f32_e32 v11, v11, v14
.LBB247_16:
	s_or_b32 exec_lo, exec_lo, s0
	ds_bpermute_b32 v14, v1, v9
	s_waitcnt lgkmcnt(0)
	s_barrier
	buffer_gl0_inv
	v_add_f32_e32 v9, v9, v14
	ds_bpermute_b32 v14, v3, v9
	s_waitcnt lgkmcnt(0)
	v_add_f32_e32 v9, v9, v14
	ds_bpermute_b32 v14, v4, v9
	s_waitcnt lgkmcnt(0)
	v_add_f32_e32 v9, v9, v14
	ds_bpermute_b32 v14, v10, v9
	s_waitcnt lgkmcnt(0)
	v_add_f32_e32 v9, v9, v14
	ds_bpermute_b32 v14, v12, v9
	;; [unrolled: 43-line block ×5, first 2 shown]
	s_waitcnt lgkmcnt(0)
	v_add_f32_e32 v6, v6, v14
	ds_write_b32 v13, v6
	s_waitcnt lgkmcnt(0)
	s_barrier
	buffer_gl0_inv
	s_and_saveexec_b32 s0, vcc_lo
	s_cbranch_execz .LBB247_24
; %bb.23:
	ds_read_b32 v5, v5
	s_waitcnt lgkmcnt(0)
	ds_bpermute_b32 v1, v1, v5
	s_waitcnt lgkmcnt(0)
	v_add_f32_e32 v1, v5, v1
	ds_bpermute_b32 v3, v3, v1
	s_waitcnt lgkmcnt(0)
	v_add_f32_e32 v1, v1, v3
	;; [unrolled: 3-line block ×5, first 2 shown]
.LBB247_24:
	s_or_b32 exec_lo, exec_lo, s0
	s_barrier
	buffer_gl0_inv
	s_mov_b32 s0, exec_lo
	v_cmpx_gt_u32_e32 6, v0
	s_cbranch_execz .LBB247_26
; %bb.25:
	s_load_dwordx2 s[0:1], s[4:5], 0x38
	v_cmp_eq_u32_e32 vcc_lo, 1, v0
	s_mul_hi_i32 s3, s22, s10
	s_mul_i32 s2, s22, s10
	s_mul_i32 s4, s26, s7
	s_lshl_b64 s[2:3], s[2:3], 2
	v_cndmask_b32_e32 v3, v2, v11, vcc_lo
	v_cmp_eq_u32_e32 vcc_lo, 2, v0
	v_mad_u64_u32 v[1:2], null, s18, v0, s[6:7]
	s_ashr_i32 s5, s4, 31
	v_cndmask_b32_e32 v3, v3, v9, vcc_lo
	v_cmp_eq_u32_e32 vcc_lo, 3, v0
	v_ashrrev_i32_e32 v2, 31, v1
	v_cndmask_b32_e32 v3, v3, v8, vcc_lo
	v_cmp_eq_u32_e32 vcc_lo, 4, v0
	s_waitcnt lgkmcnt(0)
	s_add_u32 s2, s0, s2
	v_lshlrev_b64 v[1:2], 2, v[1:2]
	s_addc_u32 s3, s1, s3
	s_lshl_b64 s[0:1], s[4:5], 2
	v_cndmask_b32_e32 v3, v3, v7, vcc_lo
	v_cmp_eq_u32_e32 vcc_lo, 5, v0
	s_add_u32 s0, s2, s0
	s_addc_u32 s1, s3, s1
	v_cndmask_b32_e32 v3, v3, v6, vcc_lo
	v_add_co_u32 v0, vcc_lo, s0, v1
	v_add_co_ci_u32_e64 v1, null, s1, v2, vcc_lo
	global_store_dword v[0:1], v3, off
.LBB247_26:
	s_endpgm
	.section	.rodata,"a",@progbits
	.p2align	6, 0x0
	.amdhsa_kernel _ZL13mul_mat_vec_fI6__halffLi6ELi256ELb0ELb0EEvPKT_PKfPKi31ggml_cuda_mm_fusion_args_devicePfi15HIP_vector_typeIjLj3EEiiiSB_iiiSB_iiii
		.amdhsa_group_segment_fixed_size 0
		.amdhsa_private_segment_fixed_size 0
		.amdhsa_kernarg_size 144
		.amdhsa_user_sgpr_count 6
		.amdhsa_user_sgpr_private_segment_buffer 1
		.amdhsa_user_sgpr_dispatch_ptr 0
		.amdhsa_user_sgpr_queue_ptr 0
		.amdhsa_user_sgpr_kernarg_segment_ptr 1
		.amdhsa_user_sgpr_dispatch_id 0
		.amdhsa_user_sgpr_flat_scratch_init 0
		.amdhsa_user_sgpr_private_segment_size 0
		.amdhsa_wavefront_size32 1
		.amdhsa_uses_dynamic_stack 0
		.amdhsa_system_sgpr_private_segment_wavefront_offset 0
		.amdhsa_system_sgpr_workgroup_id_x 1
		.amdhsa_system_sgpr_workgroup_id_y 1
		.amdhsa_system_sgpr_workgroup_id_z 1
		.amdhsa_system_sgpr_workgroup_info 0
		.amdhsa_system_vgpr_workitem_id 0
		.amdhsa_next_free_vgpr 26
		.amdhsa_next_free_sgpr 36
		.amdhsa_reserve_vcc 1
		.amdhsa_reserve_flat_scratch 0
		.amdhsa_float_round_mode_32 0
		.amdhsa_float_round_mode_16_64 0
		.amdhsa_float_denorm_mode_32 3
		.amdhsa_float_denorm_mode_16_64 3
		.amdhsa_dx10_clamp 1
		.amdhsa_ieee_mode 1
		.amdhsa_fp16_overflow 0
		.amdhsa_workgroup_processor_mode 1
		.amdhsa_memory_ordered 1
		.amdhsa_forward_progress 1
		.amdhsa_shared_vgpr_count 0
		.amdhsa_exception_fp_ieee_invalid_op 0
		.amdhsa_exception_fp_denorm_src 0
		.amdhsa_exception_fp_ieee_div_zero 0
		.amdhsa_exception_fp_ieee_overflow 0
		.amdhsa_exception_fp_ieee_underflow 0
		.amdhsa_exception_fp_ieee_inexact 0
		.amdhsa_exception_int_div_zero 0
	.end_amdhsa_kernel
	.section	.text._ZL13mul_mat_vec_fI6__halffLi6ELi256ELb0ELb0EEvPKT_PKfPKi31ggml_cuda_mm_fusion_args_devicePfi15HIP_vector_typeIjLj3EEiiiSB_iiiSB_iiii,"axG",@progbits,_ZL13mul_mat_vec_fI6__halffLi6ELi256ELb0ELb0EEvPKT_PKfPKi31ggml_cuda_mm_fusion_args_devicePfi15HIP_vector_typeIjLj3EEiiiSB_iiiSB_iiii,comdat
.Lfunc_end247:
	.size	_ZL13mul_mat_vec_fI6__halffLi6ELi256ELb0ELb0EEvPKT_PKfPKi31ggml_cuda_mm_fusion_args_devicePfi15HIP_vector_typeIjLj3EEiiiSB_iiiSB_iiii, .Lfunc_end247-_ZL13mul_mat_vec_fI6__halffLi6ELi256ELb0ELb0EEvPKT_PKfPKi31ggml_cuda_mm_fusion_args_devicePfi15HIP_vector_typeIjLj3EEiiiSB_iiiSB_iiii
                                        ; -- End function
	.set _ZL13mul_mat_vec_fI6__halffLi6ELi256ELb0ELb0EEvPKT_PKfPKi31ggml_cuda_mm_fusion_args_devicePfi15HIP_vector_typeIjLj3EEiiiSB_iiiSB_iiii.num_vgpr, 26
	.set _ZL13mul_mat_vec_fI6__halffLi6ELi256ELb0ELb0EEvPKT_PKfPKi31ggml_cuda_mm_fusion_args_devicePfi15HIP_vector_typeIjLj3EEiiiSB_iiiSB_iiii.num_agpr, 0
	.set _ZL13mul_mat_vec_fI6__halffLi6ELi256ELb0ELb0EEvPKT_PKfPKi31ggml_cuda_mm_fusion_args_devicePfi15HIP_vector_typeIjLj3EEiiiSB_iiiSB_iiii.numbered_sgpr, 36
	.set _ZL13mul_mat_vec_fI6__halffLi6ELi256ELb0ELb0EEvPKT_PKfPKi31ggml_cuda_mm_fusion_args_devicePfi15HIP_vector_typeIjLj3EEiiiSB_iiiSB_iiii.num_named_barrier, 0
	.set _ZL13mul_mat_vec_fI6__halffLi6ELi256ELb0ELb0EEvPKT_PKfPKi31ggml_cuda_mm_fusion_args_devicePfi15HIP_vector_typeIjLj3EEiiiSB_iiiSB_iiii.private_seg_size, 0
	.set _ZL13mul_mat_vec_fI6__halffLi6ELi256ELb0ELb0EEvPKT_PKfPKi31ggml_cuda_mm_fusion_args_devicePfi15HIP_vector_typeIjLj3EEiiiSB_iiiSB_iiii.uses_vcc, 1
	.set _ZL13mul_mat_vec_fI6__halffLi6ELi256ELb0ELb0EEvPKT_PKfPKi31ggml_cuda_mm_fusion_args_devicePfi15HIP_vector_typeIjLj3EEiiiSB_iiiSB_iiii.uses_flat_scratch, 0
	.set _ZL13mul_mat_vec_fI6__halffLi6ELi256ELb0ELb0EEvPKT_PKfPKi31ggml_cuda_mm_fusion_args_devicePfi15HIP_vector_typeIjLj3EEiiiSB_iiiSB_iiii.has_dyn_sized_stack, 0
	.set _ZL13mul_mat_vec_fI6__halffLi6ELi256ELb0ELb0EEvPKT_PKfPKi31ggml_cuda_mm_fusion_args_devicePfi15HIP_vector_typeIjLj3EEiiiSB_iiiSB_iiii.has_recursion, 0
	.set _ZL13mul_mat_vec_fI6__halffLi6ELi256ELb0ELb0EEvPKT_PKfPKi31ggml_cuda_mm_fusion_args_devicePfi15HIP_vector_typeIjLj3EEiiiSB_iiiSB_iiii.has_indirect_call, 0
	.section	.AMDGPU.csdata,"",@progbits
; Kernel info:
; codeLenInByte = 2536
; TotalNumSgprs: 38
; NumVgprs: 26
; ScratchSize: 0
; MemoryBound: 0
; FloatMode: 240
; IeeeMode: 1
; LDSByteSize: 0 bytes/workgroup (compile time only)
; SGPRBlocks: 0
; VGPRBlocks: 3
; NumSGPRsForWavesPerEU: 38
; NumVGPRsForWavesPerEU: 26
; Occupancy: 16
; WaveLimiterHint : 0
; COMPUTE_PGM_RSRC2:SCRATCH_EN: 0
; COMPUTE_PGM_RSRC2:USER_SGPR: 6
; COMPUTE_PGM_RSRC2:TRAP_HANDLER: 0
; COMPUTE_PGM_RSRC2:TGID_X_EN: 1
; COMPUTE_PGM_RSRC2:TGID_Y_EN: 1
; COMPUTE_PGM_RSRC2:TGID_Z_EN: 1
; COMPUTE_PGM_RSRC2:TIDIG_COMP_CNT: 0
	.section	.text._ZL13mul_mat_vec_fI6__halffLi7ELi32ELb0ELb0EEvPKT_PKfPKi31ggml_cuda_mm_fusion_args_devicePfi15HIP_vector_typeIjLj3EEiiiSB_iiiSB_iiii,"axG",@progbits,_ZL13mul_mat_vec_fI6__halffLi7ELi32ELb0ELb0EEvPKT_PKfPKi31ggml_cuda_mm_fusion_args_devicePfi15HIP_vector_typeIjLj3EEiiiSB_iiiSB_iiii,comdat
	.globl	_ZL13mul_mat_vec_fI6__halffLi7ELi32ELb0ELb0EEvPKT_PKfPKi31ggml_cuda_mm_fusion_args_devicePfi15HIP_vector_typeIjLj3EEiiiSB_iiiSB_iiii ; -- Begin function _ZL13mul_mat_vec_fI6__halffLi7ELi32ELb0ELb0EEvPKT_PKfPKi31ggml_cuda_mm_fusion_args_devicePfi15HIP_vector_typeIjLj3EEiiiSB_iiiSB_iiii
	.p2align	8
	.type	_ZL13mul_mat_vec_fI6__halffLi7ELi32ELb0ELb0EEvPKT_PKfPKi31ggml_cuda_mm_fusion_args_devicePfi15HIP_vector_typeIjLj3EEiiiSB_iiiSB_iiii,@function
_ZL13mul_mat_vec_fI6__halffLi7ELi32ELb0ELb0EEvPKT_PKfPKi31ggml_cuda_mm_fusion_args_devicePfi15HIP_vector_typeIjLj3EEiiiSB_iiiSB_iiii: ; @_ZL13mul_mat_vec_fI6__halffLi7ELi32ELb0ELb0EEvPKT_PKfPKi31ggml_cuda_mm_fusion_args_devicePfi15HIP_vector_typeIjLj3EEiiiSB_iiiSB_iiii
; %bb.0:
	s_clause 0x2
	s_load_dwordx2 s[20:21], s[4:5], 0x10
	s_load_dwordx8 s[12:19], s[4:5], 0x40
	s_load_dwordx4 s[0:3], s[4:5], 0x80
	s_waitcnt lgkmcnt(0)
	s_cmp_eq_u64 s[20:21], 0
	s_cselect_b32 s9, -1, 0
	s_cmp_lg_u64 s[20:21], 0
	s_cselect_b32 s25, -1, 0
	s_and_b32 vcc_lo, exec_lo, s9
	s_cbranch_vccnz .LBB248_2
; %bb.1:
	s_mul_i32 s3, s3, s8
	s_mov_b32 s11, 0
	s_add_i32 s10, s3, s7
	s_lshl_b64 s[22:23], s[10:11], 2
	s_add_u32 s20, s20, s22
	s_addc_u32 s21, s21, s23
	s_load_dword s24, s[20:21], 0x0
	s_load_dwordx4 s[20:23], s[4:5], 0x68
	s_cbranch_execz .LBB248_3
	s_branch .LBB248_4
.LBB248_2:
                                        ; implicit-def: $sgpr24
	s_load_dwordx4 s[20:23], s[4:5], 0x68
.LBB248_3:
	s_load_dwordx2 s[10:11], s[4:5], 0x5c
	s_waitcnt lgkmcnt(0)
	s_mul_hi_u32 s3, s10, s7
	s_add_i32 s3, s7, s3
	s_lshr_b32 s24, s3, s11
.LBB248_4:
	s_load_dword s19, s[4:5], 0x78
	s_andn2_b32 vcc_lo, exec_lo, s25
	s_mov_b32 s25, s7
	s_cbranch_vccnz .LBB248_6
; %bb.5:
	s_mul_hi_u32 s3, s13, s7
	s_add_i32 s3, s7, s3
	s_lshr_b32 s3, s3, s14
	s_mul_i32 s3, s3, s15
	s_sub_i32 s25, s7, s3
.LBB248_6:
	v_mov_b32_e32 v6, 0
	v_mov_b32_e32 v7, 0
	;; [unrolled: 1-line block ×7, first 2 shown]
	s_and_b32 s3, exec_lo, s9
	s_mov_b32 s14, 0
	s_cselect_b32 s3, s8, 0
	s_mov_b32 s13, exec_lo
	v_cmpx_gt_i32_e64 s12, v0
	s_cbranch_execz .LBB248_10
; %bb.7:
	s_load_dwordx4 s[8:11], s[4:5], 0x0
	s_waitcnt lgkmcnt(0)
	s_mul_hi_u32 s15, s23, s3
	s_mul_hi_i32 s29, s1, s3
	s_mul_i32 s28, s1, s3
	s_mul_i32 s24, s24, s20
	;; [unrolled: 1-line block ×4, first 2 shown]
	s_add_i32 s1, s3, s15
	s_lshl_b64 s[28:29], s[28:29], 2
	s_ashr_i32 s25, s24, 31
	s_ashr_i32 s27, s26, 31
	s_ashr_i32 s21, s20, 31
	s_lshr_b32 s15, s1, s19
	s_mov_b32 s30, s17
	s_mul_hi_i32 s1, s15, s0
	s_mul_i32 s0, s15, s0
	v_lshlrev_b32_e32 v2, 3, v0
	v_lshlrev_b32_e32 v1, 2, v0
	v_mov_b32_e32 v5, 0
	v_mov_b32_e32 v12, v0
	s_add_u32 s16, s10, s28
	s_addc_u32 s19, s11, s29
	s_lshl_b64 s[34:35], s[20:21], 2
	v_mov_b32_e32 v9, 0
	s_add_u32 s15, s16, s34
	s_addc_u32 s16, s19, s35
	s_lshl_b64 s[24:25], s[24:25], 1
	s_ashr_i32 s31, s17, 31
	s_add_i32 s19, s17, s17
	s_lshl_b32 s20, s17, 2
	s_lshl_b64 s[0:1], s[0:1], 1
	s_lshl_b64 s[26:27], s[26:27], 1
	s_add_u32 s8, s8, s24
	s_addc_u32 s9, s9, s25
	s_add_u32 s8, s8, s26
	s_addc_u32 s9, s9, s27
	;; [unrolled: 2-line block ×3, first 2 shown]
	s_lshl_b64 s[0:1], s[30:31], 3
	s_add_u32 s10, s10, s34
	s_addc_u32 s11, s11, s35
	s_add_u32 s10, s10, s28
	s_addc_u32 s11, s11, s29
	v_add_co_u32 v3, s10, s10, v2
	v_add_co_ci_u32_e64 v4, null, s11, 0, s10
	v_add_co_u32 v1, s8, s8, v1
	v_add_co_u32 v3, vcc_lo, v3, 4
	v_add_co_ci_u32_e64 v2, null, s9, 0, s8
	v_add_co_ci_u32_e64 v4, null, 0, v4, vcc_lo
	v_mov_b32_e32 v11, 0
	v_mov_b32_e32 v10, 0
	;; [unrolled: 1-line block ×5, first 2 shown]
	s_mul_i32 s8, s17, 3
	s_mul_i32 s9, s17, 5
	s_mul_i32 s10, s17, 6
.LBB248_8:                              ; =>This Inner Loop Header: Depth=1
	v_add_nc_u32_e32 v17, s19, v12
	v_add_nc_u32_e32 v19, s8, v12
	;; [unrolled: 1-line block ×5, first 2 shown]
	v_ashrrev_i32_e32 v18, 31, v17
	v_ashrrev_i32_e32 v20, 31, v19
	;; [unrolled: 1-line block ×5, first 2 shown]
	v_lshlrev_b64 v[17:18], 3, v[17:18]
	v_lshlrev_b64 v[19:20], 3, v[19:20]
	v_add_co_u32 v15, vcc_lo, v3, s0
	v_lshlrev_b64 v[21:22], 3, v[21:22]
	v_add_co_ci_u32_e64 v16, null, s1, v4, vcc_lo
	v_lshlrev_b64 v[23:24], 3, v[23:24]
	v_add_co_u32 v17, vcc_lo, s15, v17
	v_lshlrev_b64 v[25:26], 3, v[25:26]
	v_add_co_ci_u32_e64 v18, null, s16, v18, vcc_lo
	v_add_co_u32 v19, vcc_lo, s15, v19
	v_add_co_ci_u32_e64 v20, null, s16, v20, vcc_lo
	v_add_co_u32 v21, vcc_lo, s15, v21
	v_add_co_ci_u32_e64 v22, null, s16, v22, vcc_lo
	v_add_co_u32 v23, vcc_lo, s15, v23
	v_add_co_ci_u32_e64 v24, null, s16, v24, vcc_lo
	v_add_co_u32 v25, vcc_lo, s15, v25
	v_add_co_ci_u32_e64 v26, null, s16, v26, vcc_lo
	global_load_dword v27, v[1:2], off
	s_clause 0x1
	global_load_dwordx2 v[13:14], v[3:4], off offset:-4
	global_load_dwordx2 v[15:16], v[15:16], off offset:-4
	s_clause 0x4
	global_load_dwordx2 v[17:18], v[17:18], off
	global_load_dwordx2 v[19:20], v[19:20], off
	;; [unrolled: 1-line block ×5, first 2 shown]
	v_add_nc_u32_e32 v12, 32, v12
	v_add_co_u32 v1, vcc_lo, 0x80, v1
	v_add_co_ci_u32_e64 v2, null, 0, v2, vcc_lo
	v_add_co_u32 v3, vcc_lo, 0x100, v3
	v_add_co_ci_u32_e64 v4, null, 0, v4, vcc_lo
	v_cmp_le_i32_e32 vcc_lo, s12, v12
	s_or_b32 s14, vcc_lo, s14
	s_waitcnt vmcnt(4)
	v_fma_mix_f32 v11, v17, v27, v11 op_sel_hi:[0,1,0]
	v_fma_mix_f32 v5, v13, v27, v5 op_sel_hi:[0,1,0]
	;; [unrolled: 1-line block ×3, first 2 shown]
	s_waitcnt vmcnt(3)
	v_fma_mix_f32 v10, v19, v27, v10 op_sel_hi:[0,1,0]
	s_waitcnt vmcnt(2)
	v_fma_mix_f32 v8, v21, v27, v8 op_sel_hi:[0,1,0]
	;; [unrolled: 2-line block ×4, first 2 shown]
	v_fma_mix_f32 v5, v14, v27, v5 op_sel:[0,1,0] op_sel_hi:[0,1,0]
	v_fma_mix_f32 v9, v16, v27, v9 op_sel:[0,1,0] op_sel_hi:[0,1,0]
	v_fma_mix_f32 v11, v18, v27, v11 op_sel:[0,1,0] op_sel_hi:[0,1,0]
	v_fma_mix_f32 v10, v20, v27, v10 op_sel:[0,1,0] op_sel_hi:[0,1,0]
	v_fma_mix_f32 v8, v22, v27, v8 op_sel:[0,1,0] op_sel_hi:[0,1,0]
	v_fma_mix_f32 v7, v24, v27, v7 op_sel:[0,1,0] op_sel_hi:[0,1,0]
	v_fma_mix_f32 v6, v26, v27, v6 op_sel:[0,1,0] op_sel_hi:[0,1,0]
	s_andn2_b32 exec_lo, exec_lo, s14
	s_cbranch_execnz .LBB248_8
; %bb.9:
	s_or_b32 exec_lo, exec_lo, s14
.LBB248_10:
	s_or_b32 exec_lo, exec_lo, s13
	v_mbcnt_lo_u32_b32 v1, -1, 0
	s_mov_b32 s0, exec_lo
	v_xor_b32_e32 v2, 16, v1
	v_xor_b32_e32 v16, 8, v1
	v_cmp_gt_i32_e32 vcc_lo, 32, v2
	v_cndmask_b32_e32 v2, v1, v2, vcc_lo
	v_cmp_gt_i32_e32 vcc_lo, 32, v16
	v_lshlrev_b32_e32 v2, 2, v2
	v_cndmask_b32_e32 v16, v1, v16, vcc_lo
	ds_bpermute_b32 v3, v2, v5
	ds_bpermute_b32 v4, v2, v9
	;; [unrolled: 1-line block ×7, first 2 shown]
	v_lshlrev_b32_e32 v16, 2, v16
	s_waitcnt lgkmcnt(0)
	v_add_f32_e32 v3, v5, v3
	v_add_f32_e32 v4, v9, v4
	;; [unrolled: 1-line block ×7, first 2 shown]
	ds_bpermute_b32 v6, v16, v3
	ds_bpermute_b32 v10, v16, v4
	ds_bpermute_b32 v11, v16, v5
	ds_bpermute_b32 v12, v16, v9
	ds_bpermute_b32 v13, v16, v8
	ds_bpermute_b32 v14, v16, v7
	ds_bpermute_b32 v15, v16, v2
	v_xor_b32_e32 v16, 4, v1
	v_cmp_gt_i32_e32 vcc_lo, 32, v16
	v_cndmask_b32_e32 v16, v1, v16, vcc_lo
	s_waitcnt lgkmcnt(6)
	v_add_f32_e32 v3, v3, v6
	s_waitcnt lgkmcnt(5)
	v_add_f32_e32 v4, v4, v10
	v_lshlrev_b32_e32 v16, 2, v16
	s_waitcnt lgkmcnt(4)
	v_add_f32_e32 v5, v5, v11
	s_waitcnt lgkmcnt(3)
	v_add_f32_e32 v6, v9, v12
	s_waitcnt lgkmcnt(2)
	v_add_f32_e32 v8, v8, v13
	s_waitcnt lgkmcnt(1)
	v_add_f32_e32 v7, v7, v14
	s_waitcnt lgkmcnt(0)
	v_add_f32_e32 v2, v2, v15
	ds_bpermute_b32 v9, v16, v3
	ds_bpermute_b32 v10, v16, v4
	ds_bpermute_b32 v11, v16, v5
	ds_bpermute_b32 v12, v16, v6
	ds_bpermute_b32 v13, v16, v8
	ds_bpermute_b32 v14, v16, v7
	ds_bpermute_b32 v15, v16, v2
	v_xor_b32_e32 v16, 2, v1
	v_cmp_gt_i32_e32 vcc_lo, 32, v16
	v_cndmask_b32_e32 v16, v1, v16, vcc_lo
	s_waitcnt lgkmcnt(6)
	v_add_f32_e32 v3, v3, v9
	s_waitcnt lgkmcnt(5)
	v_add_f32_e32 v4, v4, v10
	v_lshlrev_b32_e32 v16, 2, v16
	s_waitcnt lgkmcnt(4)
	v_add_f32_e32 v5, v5, v11
	s_waitcnt lgkmcnt(3)
	v_add_f32_e32 v9, v6, v12
	s_waitcnt lgkmcnt(2)
	v_add_f32_e32 v8, v8, v13
	s_waitcnt lgkmcnt(1)
	v_add_f32_e32 v7, v7, v14
	s_waitcnt lgkmcnt(0)
	v_add_f32_e32 v2, v2, v15
	;; [unrolled: 25-line block ×3, first 2 shown]
	ds_bpermute_b32 v13, v17, v10
	ds_bpermute_b32 v14, v17, v11
	;; [unrolled: 1-line block ×7, first 2 shown]
	v_cmpx_gt_u32_e32 7, v0
	s_cbranch_execz .LBB248_12
; %bb.11:
	s_waitcnt lgkmcnt(6)
	v_add_f32_e32 v10, v10, v13
	s_waitcnt lgkmcnt(5)
	v_add_f32_e32 v11, v11, v14
	v_cmp_eq_u32_e32 vcc_lo, 1, v0
	s_waitcnt lgkmcnt(4)
	v_add_f32_e32 v6, v6, v12
	s_load_dwordx2 s[0:1], s[4:5], 0x38
	s_waitcnt lgkmcnt(0)
	v_add_f32_e32 v7, v3, v7
	v_add_f32_e32 v8, v4, v8
	v_cndmask_b32_e32 v10, v10, v11, vcc_lo
	v_cmp_eq_u32_e32 vcc_lo, 2, v0
	v_mad_u64_u32 v[3:4], null, s18, v0, s[6:7]
	v_add_f32_e32 v5, v5, v9
	s_mul_hi_i32 s5, s2, s3
	v_cndmask_b32_e32 v6, v10, v6, vcc_lo
	v_cmp_eq_u32_e32 vcc_lo, 3, v0
	s_mul_i32 s4, s2, s3
	s_mul_i32 s2, s22, s7
	s_lshl_b64 s[4:5], s[4:5], 2
	s_ashr_i32 s3, s2, 31
	v_cndmask_b32_e32 v4, v6, v7, vcc_lo
	v_cmp_eq_u32_e32 vcc_lo, 4, v0
	v_add_f32_e32 v7, v1, v2
	s_add_u32 s4, s0, s4
	v_cndmask_b32_e32 v6, v4, v8, vcc_lo
	v_ashrrev_i32_e32 v4, 31, v3
	v_cmp_eq_u32_e32 vcc_lo, 5, v0
	s_addc_u32 s5, s1, s5
	s_lshl_b64 s[0:1], s[2:3], 2
	v_lshlrev_b64 v[1:2], 2, v[3:4]
	v_cndmask_b32_e32 v5, v6, v5, vcc_lo
	v_cmp_eq_u32_e32 vcc_lo, 6, v0
	s_add_u32 s0, s4, s0
	s_addc_u32 s1, s5, s1
	v_cndmask_b32_e32 v3, v5, v7, vcc_lo
	v_add_co_u32 v0, vcc_lo, s0, v1
	v_add_co_ci_u32_e64 v1, null, s1, v2, vcc_lo
	global_store_dword v[0:1], v3, off
.LBB248_12:
	s_endpgm
	.section	.rodata,"a",@progbits
	.p2align	6, 0x0
	.amdhsa_kernel _ZL13mul_mat_vec_fI6__halffLi7ELi32ELb0ELb0EEvPKT_PKfPKi31ggml_cuda_mm_fusion_args_devicePfi15HIP_vector_typeIjLj3EEiiiSB_iiiSB_iiii
		.amdhsa_group_segment_fixed_size 0
		.amdhsa_private_segment_fixed_size 0
		.amdhsa_kernarg_size 144
		.amdhsa_user_sgpr_count 6
		.amdhsa_user_sgpr_private_segment_buffer 1
		.amdhsa_user_sgpr_dispatch_ptr 0
		.amdhsa_user_sgpr_queue_ptr 0
		.amdhsa_user_sgpr_kernarg_segment_ptr 1
		.amdhsa_user_sgpr_dispatch_id 0
		.amdhsa_user_sgpr_flat_scratch_init 0
		.amdhsa_user_sgpr_private_segment_size 0
		.amdhsa_wavefront_size32 1
		.amdhsa_uses_dynamic_stack 0
		.amdhsa_system_sgpr_private_segment_wavefront_offset 0
		.amdhsa_system_sgpr_workgroup_id_x 1
		.amdhsa_system_sgpr_workgroup_id_y 1
		.amdhsa_system_sgpr_workgroup_id_z 1
		.amdhsa_system_sgpr_workgroup_info 0
		.amdhsa_system_vgpr_workitem_id 0
		.amdhsa_next_free_vgpr 28
		.amdhsa_next_free_sgpr 36
		.amdhsa_reserve_vcc 1
		.amdhsa_reserve_flat_scratch 0
		.amdhsa_float_round_mode_32 0
		.amdhsa_float_round_mode_16_64 0
		.amdhsa_float_denorm_mode_32 3
		.amdhsa_float_denorm_mode_16_64 3
		.amdhsa_dx10_clamp 1
		.amdhsa_ieee_mode 1
		.amdhsa_fp16_overflow 0
		.amdhsa_workgroup_processor_mode 1
		.amdhsa_memory_ordered 1
		.amdhsa_forward_progress 1
		.amdhsa_shared_vgpr_count 0
		.amdhsa_exception_fp_ieee_invalid_op 0
		.amdhsa_exception_fp_denorm_src 0
		.amdhsa_exception_fp_ieee_div_zero 0
		.amdhsa_exception_fp_ieee_overflow 0
		.amdhsa_exception_fp_ieee_underflow 0
		.amdhsa_exception_fp_ieee_inexact 0
		.amdhsa_exception_int_div_zero 0
	.end_amdhsa_kernel
	.section	.text._ZL13mul_mat_vec_fI6__halffLi7ELi32ELb0ELb0EEvPKT_PKfPKi31ggml_cuda_mm_fusion_args_devicePfi15HIP_vector_typeIjLj3EEiiiSB_iiiSB_iiii,"axG",@progbits,_ZL13mul_mat_vec_fI6__halffLi7ELi32ELb0ELb0EEvPKT_PKfPKi31ggml_cuda_mm_fusion_args_devicePfi15HIP_vector_typeIjLj3EEiiiSB_iiiSB_iiii,comdat
.Lfunc_end248:
	.size	_ZL13mul_mat_vec_fI6__halffLi7ELi32ELb0ELb0EEvPKT_PKfPKi31ggml_cuda_mm_fusion_args_devicePfi15HIP_vector_typeIjLj3EEiiiSB_iiiSB_iiii, .Lfunc_end248-_ZL13mul_mat_vec_fI6__halffLi7ELi32ELb0ELb0EEvPKT_PKfPKi31ggml_cuda_mm_fusion_args_devicePfi15HIP_vector_typeIjLj3EEiiiSB_iiiSB_iiii
                                        ; -- End function
	.set _ZL13mul_mat_vec_fI6__halffLi7ELi32ELb0ELb0EEvPKT_PKfPKi31ggml_cuda_mm_fusion_args_devicePfi15HIP_vector_typeIjLj3EEiiiSB_iiiSB_iiii.num_vgpr, 28
	.set _ZL13mul_mat_vec_fI6__halffLi7ELi32ELb0ELb0EEvPKT_PKfPKi31ggml_cuda_mm_fusion_args_devicePfi15HIP_vector_typeIjLj3EEiiiSB_iiiSB_iiii.num_agpr, 0
	.set _ZL13mul_mat_vec_fI6__halffLi7ELi32ELb0ELb0EEvPKT_PKfPKi31ggml_cuda_mm_fusion_args_devicePfi15HIP_vector_typeIjLj3EEiiiSB_iiiSB_iiii.numbered_sgpr, 36
	.set _ZL13mul_mat_vec_fI6__halffLi7ELi32ELb0ELb0EEvPKT_PKfPKi31ggml_cuda_mm_fusion_args_devicePfi15HIP_vector_typeIjLj3EEiiiSB_iiiSB_iiii.num_named_barrier, 0
	.set _ZL13mul_mat_vec_fI6__halffLi7ELi32ELb0ELb0EEvPKT_PKfPKi31ggml_cuda_mm_fusion_args_devicePfi15HIP_vector_typeIjLj3EEiiiSB_iiiSB_iiii.private_seg_size, 0
	.set _ZL13mul_mat_vec_fI6__halffLi7ELi32ELb0ELb0EEvPKT_PKfPKi31ggml_cuda_mm_fusion_args_devicePfi15HIP_vector_typeIjLj3EEiiiSB_iiiSB_iiii.uses_vcc, 1
	.set _ZL13mul_mat_vec_fI6__halffLi7ELi32ELb0ELb0EEvPKT_PKfPKi31ggml_cuda_mm_fusion_args_devicePfi15HIP_vector_typeIjLj3EEiiiSB_iiiSB_iiii.uses_flat_scratch, 0
	.set _ZL13mul_mat_vec_fI6__halffLi7ELi32ELb0ELb0EEvPKT_PKfPKi31ggml_cuda_mm_fusion_args_devicePfi15HIP_vector_typeIjLj3EEiiiSB_iiiSB_iiii.has_dyn_sized_stack, 0
	.set _ZL13mul_mat_vec_fI6__halffLi7ELi32ELb0ELb0EEvPKT_PKfPKi31ggml_cuda_mm_fusion_args_devicePfi15HIP_vector_typeIjLj3EEiiiSB_iiiSB_iiii.has_recursion, 0
	.set _ZL13mul_mat_vec_fI6__halffLi7ELi32ELb0ELb0EEvPKT_PKfPKi31ggml_cuda_mm_fusion_args_devicePfi15HIP_vector_typeIjLj3EEiiiSB_iiiSB_iiii.has_indirect_call, 0
	.section	.AMDGPU.csdata,"",@progbits
; Kernel info:
; codeLenInByte = 1708
; TotalNumSgprs: 38
; NumVgprs: 28
; ScratchSize: 0
; MemoryBound: 0
; FloatMode: 240
; IeeeMode: 1
; LDSByteSize: 0 bytes/workgroup (compile time only)
; SGPRBlocks: 0
; VGPRBlocks: 3
; NumSGPRsForWavesPerEU: 38
; NumVGPRsForWavesPerEU: 28
; Occupancy: 16
; WaveLimiterHint : 0
; COMPUTE_PGM_RSRC2:SCRATCH_EN: 0
; COMPUTE_PGM_RSRC2:USER_SGPR: 6
; COMPUTE_PGM_RSRC2:TRAP_HANDLER: 0
; COMPUTE_PGM_RSRC2:TGID_X_EN: 1
; COMPUTE_PGM_RSRC2:TGID_Y_EN: 1
; COMPUTE_PGM_RSRC2:TGID_Z_EN: 1
; COMPUTE_PGM_RSRC2:TIDIG_COMP_CNT: 0
	.section	.text._ZL13mul_mat_vec_fI6__halffLi7ELi64ELb0ELb0EEvPKT_PKfPKi31ggml_cuda_mm_fusion_args_devicePfi15HIP_vector_typeIjLj3EEiiiSB_iiiSB_iiii,"axG",@progbits,_ZL13mul_mat_vec_fI6__halffLi7ELi64ELb0ELb0EEvPKT_PKfPKi31ggml_cuda_mm_fusion_args_devicePfi15HIP_vector_typeIjLj3EEiiiSB_iiiSB_iiii,comdat
	.globl	_ZL13mul_mat_vec_fI6__halffLi7ELi64ELb0ELb0EEvPKT_PKfPKi31ggml_cuda_mm_fusion_args_devicePfi15HIP_vector_typeIjLj3EEiiiSB_iiiSB_iiii ; -- Begin function _ZL13mul_mat_vec_fI6__halffLi7ELi64ELb0ELb0EEvPKT_PKfPKi31ggml_cuda_mm_fusion_args_devicePfi15HIP_vector_typeIjLj3EEiiiSB_iiiSB_iiii
	.p2align	8
	.type	_ZL13mul_mat_vec_fI6__halffLi7ELi64ELb0ELb0EEvPKT_PKfPKi31ggml_cuda_mm_fusion_args_devicePfi15HIP_vector_typeIjLj3EEiiiSB_iiiSB_iiii,@function
_ZL13mul_mat_vec_fI6__halffLi7ELi64ELb0ELb0EEvPKT_PKfPKi31ggml_cuda_mm_fusion_args_devicePfi15HIP_vector_typeIjLj3EEiiiSB_iiiSB_iiii: ; @_ZL13mul_mat_vec_fI6__halffLi7ELi64ELb0ELb0EEvPKT_PKfPKi31ggml_cuda_mm_fusion_args_devicePfi15HIP_vector_typeIjLj3EEiiiSB_iiiSB_iiii
; %bb.0:
	s_clause 0x2
	s_load_dwordx2 s[0:1], s[4:5], 0x10
	s_load_dwordx8 s[12:19], s[4:5], 0x40
	s_load_dwordx4 s[20:23], s[4:5], 0x80
	s_waitcnt lgkmcnt(0)
	s_cmp_eq_u64 s[0:1], 0
	s_cselect_b32 s10, -1, 0
	s_cmp_lg_u64 s[0:1], 0
	s_cselect_b32 s11, -1, 0
	s_and_b32 vcc_lo, exec_lo, s10
	s_cbranch_vccnz .LBB249_2
; %bb.1:
	s_mul_i32 s2, s23, s8
	s_mov_b32 s3, 0
	s_add_i32 s2, s2, s7
	s_lshl_b64 s[24:25], s[2:3], 2
	s_add_u32 s0, s0, s24
	s_addc_u32 s1, s1, s25
	s_load_dword s9, s[0:1], 0x0
	s_cbranch_execz .LBB249_3
	s_branch .LBB249_4
.LBB249_2:
                                        ; implicit-def: $sgpr9
.LBB249_3:
	s_load_dwordx2 s[0:1], s[4:5], 0x5c
	s_waitcnt lgkmcnt(0)
	s_mul_hi_u32 s0, s0, s7
	s_add_i32 s0, s7, s0
	s_lshr_b32 s9, s0, s1
.LBB249_4:
	s_load_dwordx4 s[24:27], s[4:5], 0x68
	s_andn2_b32 vcc_lo, exec_lo, s11
	s_mov_b32 s19, s7
	s_cbranch_vccnz .LBB249_6
; %bb.5:
	s_mul_hi_u32 s0, s13, s7
	s_add_i32 s0, s7, s0
	s_lshr_b32 s0, s0, s14
	s_mul_i32 s0, s0, s15
	s_sub_i32 s19, s7, s0
.LBB249_6:
	s_load_dword s14, s[4:5], 0x78
	v_cmp_gt_u32_e32 vcc_lo, 32, v0
	v_lshl_add_u32 v5, v0, 2, 0
	s_and_saveexec_b32 s0, vcc_lo
; %bb.7:
	v_mov_b32_e32 v1, 0
	ds_write_b32 v5, v1
; %bb.8:
	s_or_b32 exec_lo, exec_lo, s0
	v_mov_b32_e32 v6, 0
	v_mov_b32_e32 v7, 0
	;; [unrolled: 1-line block ×7, first 2 shown]
	s_and_b32 s0, exec_lo, s10
	s_mov_b32 s11, 0
	s_cselect_b32 s10, s8, 0
	s_mov_b32 s13, exec_lo
	s_waitcnt lgkmcnt(0)
	s_barrier
	buffer_gl0_inv
	v_cmpx_gt_i32_e64 s12, v0
	s_cbranch_execz .LBB249_12
; %bb.9:
	s_load_dwordx4 s[0:3], s[4:5], 0x0
	s_mul_hi_u32 s15, s27, s10
	s_mul_hi_i32 s29, s21, s10
	s_mul_i32 s28, s21, s10
	s_mul_i32 s8, s9, s24
	;; [unrolled: 1-line block ×4, first 2 shown]
	s_add_i32 s15, s10, s15
	s_lshl_b64 s[28:29], s[28:29], 2
	s_ashr_i32 s9, s8, 31
	s_ashr_i32 s25, s24, 31
	;; [unrolled: 1-line block ×3, first 2 shown]
	s_lshr_b32 s14, s15, s14
	s_mov_b32 s34, s17
	s_mul_hi_i32 s21, s14, s20
	s_mul_i32 s20, s14, s20
	v_lshlrev_b32_e32 v2, 3, v0
	v_lshlrev_b32_e32 v1, 2, v0
	v_mov_b32_e32 v11, 0
	v_mov_b32_e32 v12, v0
	s_waitcnt lgkmcnt(0)
	s_add_u32 s15, s2, s28
	s_addc_u32 s16, s3, s29
	s_lshl_b64 s[30:31], s[30:31], 2
	v_mov_b32_e32 v13, 0
	s_add_u32 s14, s15, s30
	s_addc_u32 s15, s16, s31
	s_lshl_b64 s[8:9], s[8:9], 1
	s_ashr_i32 s35, s17, 31
	s_add_i32 s16, s17, s17
	s_lshl_b32 s19, s17, 2
	s_lshl_b64 s[20:21], s[20:21], 1
	s_lshl_b64 s[24:25], s[24:25], 1
	s_add_u32 s0, s0, s8
	s_addc_u32 s1, s1, s9
	s_add_u32 s0, s0, s24
	s_addc_u32 s1, s1, s25
	;; [unrolled: 2-line block ×3, first 2 shown]
	s_lshl_b64 s[8:9], s[34:35], 3
	s_add_u32 s2, s2, s30
	s_addc_u32 s3, s3, s31
	s_add_u32 s2, s2, s28
	s_addc_u32 s3, s3, s29
	v_add_co_u32 v3, s2, s2, v2
	v_add_co_ci_u32_e64 v4, null, s3, 0, s2
	v_add_co_u32 v1, s0, s0, v1
	v_add_co_ci_u32_e64 v2, null, s1, 0, s0
	;; [unrolled: 2-line block ×3, first 2 shown]
	v_mov_b32_e32 v10, 0
	v_mov_b32_e32 v9, 0
	;; [unrolled: 1-line block ×5, first 2 shown]
	s_mul_i32 s1, s17, 3
	s_mul_i32 s2, s17, 5
	;; [unrolled: 1-line block ×3, first 2 shown]
.LBB249_10:                             ; =>This Inner Loop Header: Depth=1
	v_add_nc_u32_e32 v18, s16, v12
	v_add_nc_u32_e32 v20, s1, v12
	;; [unrolled: 1-line block ×5, first 2 shown]
	v_ashrrev_i32_e32 v19, 31, v18
	v_ashrrev_i32_e32 v21, 31, v20
	;; [unrolled: 1-line block ×5, first 2 shown]
	v_lshlrev_b64 v[18:19], 3, v[18:19]
	v_lshlrev_b64 v[20:21], 3, v[20:21]
	v_add_co_u32 v16, s0, v3, s8
	v_lshlrev_b64 v[22:23], 3, v[22:23]
	v_add_co_ci_u32_e64 v17, null, s9, v4, s0
	v_lshlrev_b64 v[24:25], 3, v[24:25]
	v_add_co_u32 v18, s0, s14, v18
	v_lshlrev_b64 v[26:27], 3, v[26:27]
	v_add_co_ci_u32_e64 v19, null, s15, v19, s0
	v_add_co_u32 v20, s0, s14, v20
	v_add_co_ci_u32_e64 v21, null, s15, v21, s0
	v_add_co_u32 v22, s0, s14, v22
	;; [unrolled: 2-line block ×4, first 2 shown]
	v_add_co_ci_u32_e64 v27, null, s15, v27, s0
	global_load_dword v28, v[1:2], off
	s_clause 0x1
	global_load_dwordx2 v[14:15], v[3:4], off offset:-4
	global_load_dwordx2 v[16:17], v[16:17], off offset:-4
	s_clause 0x4
	global_load_dwordx2 v[18:19], v[18:19], off
	global_load_dwordx2 v[20:21], v[20:21], off
	;; [unrolled: 1-line block ×5, first 2 shown]
	v_add_nc_u32_e32 v12, 64, v12
	v_add_co_u32 v1, s0, 0x100, v1
	v_add_co_ci_u32_e64 v2, null, 0, v2, s0
	v_add_co_u32 v3, s0, 0x200, v3
	v_add_co_ci_u32_e64 v4, null, 0, v4, s0
	v_cmp_le_i32_e64 s0, s12, v12
	s_or_b32 s11, s0, s11
	s_waitcnt vmcnt(4)
	v_fma_mix_f32 v10, v18, v28, v10 op_sel_hi:[0,1,0]
	v_fma_mix_f32 v11, v14, v28, v11 op_sel_hi:[0,1,0]
	;; [unrolled: 1-line block ×3, first 2 shown]
	s_waitcnt vmcnt(3)
	v_fma_mix_f32 v9, v20, v28, v9 op_sel_hi:[0,1,0]
	s_waitcnt vmcnt(2)
	v_fma_mix_f32 v8, v22, v28, v8 op_sel_hi:[0,1,0]
	;; [unrolled: 2-line block ×4, first 2 shown]
	v_fma_mix_f32 v11, v15, v28, v11 op_sel:[0,1,0] op_sel_hi:[0,1,0]
	v_fma_mix_f32 v13, v17, v28, v13 op_sel:[0,1,0] op_sel_hi:[0,1,0]
	;; [unrolled: 1-line block ×7, first 2 shown]
	s_andn2_b32 exec_lo, exec_lo, s11
	s_cbranch_execnz .LBB249_10
; %bb.11:
	s_or_b32 exec_lo, exec_lo, s11
.LBB249_12:
	s_or_b32 exec_lo, exec_lo, s13
	v_mbcnt_lo_u32_b32 v2, -1, 0
	v_xor_b32_e32 v1, 16, v2
	v_xor_b32_e32 v3, 8, v2
	v_cmp_gt_i32_e64 s0, 32, v1
	v_cndmask_b32_e64 v1, v2, v1, s0
	v_cmp_gt_i32_e64 s0, 32, v3
	v_lshlrev_b32_e32 v1, 2, v1
	v_cndmask_b32_e64 v3, v2, v3, s0
	ds_bpermute_b32 v4, v1, v11
	v_lshlrev_b32_e32 v3, 2, v3
	s_waitcnt lgkmcnt(0)
	v_add_f32_e32 v11, v11, v4
	v_xor_b32_e32 v4, 4, v2
	ds_bpermute_b32 v12, v3, v11
	v_cmp_gt_i32_e64 s0, 32, v4
	v_cndmask_b32_e64 v4, v2, v4, s0
	v_lshlrev_b32_e32 v4, 2, v4
	s_waitcnt lgkmcnt(0)
	v_add_f32_e32 v12, v11, v12
	v_xor_b32_e32 v11, 2, v2
	ds_bpermute_b32 v14, v4, v12
	v_cmp_gt_i32_e64 s0, 32, v11
	v_cndmask_b32_e64 v11, v2, v11, s0
	;; [unrolled: 7-line block ×3, first 2 shown]
	v_lshlrev_b32_e32 v12, 2, v2
	s_waitcnt lgkmcnt(0)
	v_add_f32_e32 v2, v14, v15
	v_lshrrev_b32_e32 v14, 3, v0
	ds_bpermute_b32 v15, v12, v2
	v_and_b32_e32 v14, 0x7c, v14
	v_add_nc_u32_e32 v14, 0, v14
	s_waitcnt lgkmcnt(0)
	v_add_f32_e32 v2, v2, v15
	ds_write_b32 v14, v2
	s_waitcnt lgkmcnt(0)
	s_barrier
	buffer_gl0_inv
	s_and_saveexec_b32 s0, vcc_lo
	s_cbranch_execz .LBB249_14
; %bb.13:
	ds_read_b32 v2, v5
	s_waitcnt lgkmcnt(0)
	ds_bpermute_b32 v15, v1, v2
	s_waitcnt lgkmcnt(0)
	v_add_f32_e32 v2, v2, v15
	ds_bpermute_b32 v15, v3, v2
	s_waitcnt lgkmcnt(0)
	v_add_f32_e32 v2, v2, v15
	ds_bpermute_b32 v15, v4, v2
	s_waitcnt lgkmcnt(0)
	v_add_f32_e32 v2, v2, v15
	ds_bpermute_b32 v15, v11, v2
	s_waitcnt lgkmcnt(0)
	v_add_f32_e32 v2, v2, v15
	ds_bpermute_b32 v15, v12, v2
	s_waitcnt lgkmcnt(0)
	v_add_f32_e32 v2, v2, v15
.LBB249_14:
	s_or_b32 exec_lo, exec_lo, s0
	ds_bpermute_b32 v15, v1, v13
	s_waitcnt lgkmcnt(0)
	s_barrier
	buffer_gl0_inv
	v_add_f32_e32 v13, v13, v15
	ds_bpermute_b32 v15, v3, v13
	s_waitcnt lgkmcnt(0)
	v_add_f32_e32 v13, v13, v15
	ds_bpermute_b32 v15, v4, v13
	s_waitcnt lgkmcnt(0)
	v_add_f32_e32 v13, v13, v15
	ds_bpermute_b32 v15, v11, v13
	s_waitcnt lgkmcnt(0)
	v_add_f32_e32 v13, v13, v15
	ds_bpermute_b32 v15, v12, v13
	s_waitcnt lgkmcnt(0)
	v_add_f32_e32 v13, v13, v15
	ds_write_b32 v14, v13
	s_waitcnt lgkmcnt(0)
	s_barrier
	buffer_gl0_inv
	s_and_saveexec_b32 s0, vcc_lo
	s_cbranch_execz .LBB249_16
; %bb.15:
	ds_read_b32 v13, v5
	s_waitcnt lgkmcnt(0)
	ds_bpermute_b32 v15, v1, v13
	s_waitcnt lgkmcnt(0)
	v_add_f32_e32 v13, v13, v15
	ds_bpermute_b32 v15, v3, v13
	s_waitcnt lgkmcnt(0)
	v_add_f32_e32 v13, v13, v15
	ds_bpermute_b32 v15, v4, v13
	s_waitcnt lgkmcnt(0)
	v_add_f32_e32 v13, v13, v15
	ds_bpermute_b32 v15, v11, v13
	s_waitcnt lgkmcnt(0)
	v_add_f32_e32 v13, v13, v15
	ds_bpermute_b32 v15, v12, v13
	s_waitcnt lgkmcnt(0)
	v_add_f32_e32 v13, v13, v15
.LBB249_16:
	s_or_b32 exec_lo, exec_lo, s0
	ds_bpermute_b32 v15, v1, v10
	s_waitcnt lgkmcnt(0)
	s_barrier
	buffer_gl0_inv
	v_add_f32_e32 v10, v10, v15
	ds_bpermute_b32 v15, v3, v10
	s_waitcnt lgkmcnt(0)
	v_add_f32_e32 v10, v10, v15
	ds_bpermute_b32 v15, v4, v10
	s_waitcnt lgkmcnt(0)
	v_add_f32_e32 v10, v10, v15
	ds_bpermute_b32 v15, v11, v10
	s_waitcnt lgkmcnt(0)
	v_add_f32_e32 v10, v10, v15
	ds_bpermute_b32 v15, v12, v10
	;; [unrolled: 43-line block ×6, first 2 shown]
	s_waitcnt lgkmcnt(0)
	v_add_f32_e32 v6, v6, v15
	ds_write_b32 v14, v6
	s_waitcnt lgkmcnt(0)
	s_barrier
	buffer_gl0_inv
	s_and_saveexec_b32 s0, vcc_lo
	s_cbranch_execz .LBB249_26
; %bb.25:
	ds_read_b32 v5, v5
	s_waitcnt lgkmcnt(0)
	ds_bpermute_b32 v1, v1, v5
	s_waitcnt lgkmcnt(0)
	v_add_f32_e32 v1, v5, v1
	ds_bpermute_b32 v3, v3, v1
	s_waitcnt lgkmcnt(0)
	v_add_f32_e32 v1, v1, v3
	;; [unrolled: 3-line block ×5, first 2 shown]
.LBB249_26:
	s_or_b32 exec_lo, exec_lo, s0
	s_barrier
	buffer_gl0_inv
	s_mov_b32 s0, exec_lo
	v_cmpx_gt_u32_e32 7, v0
	s_cbranch_execz .LBB249_28
; %bb.27:
	v_cmp_eq_u32_e32 vcc_lo, 1, v0
	s_load_dwordx2 s[0:1], s[4:5], 0x38
	s_mul_hi_i32 s3, s22, s10
	s_mul_i32 s2, s22, s10
	s_mul_i32 s4, s26, s7
	v_cndmask_b32_e32 v1, v2, v13, vcc_lo
	v_cmp_eq_u32_e32 vcc_lo, 2, v0
	s_lshl_b64 s[2:3], s[2:3], 2
	s_ashr_i32 s5, s4, 31
	v_cndmask_b32_e32 v3, v1, v10, vcc_lo
	v_cmp_eq_u32_e32 vcc_lo, 3, v0
	v_mad_u64_u32 v[1:2], null, s18, v0, s[6:7]
	v_cndmask_b32_e32 v2, v3, v9, vcc_lo
	v_cmp_eq_u32_e32 vcc_lo, 4, v0
	s_waitcnt lgkmcnt(0)
	s_add_u32 s2, s0, s2
	s_addc_u32 s3, s1, s3
	v_cndmask_b32_e32 v3, v2, v8, vcc_lo
	v_ashrrev_i32_e32 v2, 31, v1
	v_cmp_eq_u32_e32 vcc_lo, 5, v0
	s_lshl_b64 s[0:1], s[4:5], 2
	s_add_u32 s0, s2, s0
	v_lshlrev_b64 v[1:2], 2, v[1:2]
	v_cndmask_b32_e32 v3, v3, v7, vcc_lo
	v_cmp_eq_u32_e32 vcc_lo, 6, v0
	s_addc_u32 s1, s3, s1
	v_cndmask_b32_e32 v3, v3, v6, vcc_lo
	v_add_co_u32 v0, vcc_lo, s0, v1
	v_add_co_ci_u32_e64 v1, null, s1, v2, vcc_lo
	global_store_dword v[0:1], v3, off
.LBB249_28:
	s_endpgm
	.section	.rodata,"a",@progbits
	.p2align	6, 0x0
	.amdhsa_kernel _ZL13mul_mat_vec_fI6__halffLi7ELi64ELb0ELb0EEvPKT_PKfPKi31ggml_cuda_mm_fusion_args_devicePfi15HIP_vector_typeIjLj3EEiiiSB_iiiSB_iiii
		.amdhsa_group_segment_fixed_size 0
		.amdhsa_private_segment_fixed_size 0
		.amdhsa_kernarg_size 144
		.amdhsa_user_sgpr_count 6
		.amdhsa_user_sgpr_private_segment_buffer 1
		.amdhsa_user_sgpr_dispatch_ptr 0
		.amdhsa_user_sgpr_queue_ptr 0
		.amdhsa_user_sgpr_kernarg_segment_ptr 1
		.amdhsa_user_sgpr_dispatch_id 0
		.amdhsa_user_sgpr_flat_scratch_init 0
		.amdhsa_user_sgpr_private_segment_size 0
		.amdhsa_wavefront_size32 1
		.amdhsa_uses_dynamic_stack 0
		.amdhsa_system_sgpr_private_segment_wavefront_offset 0
		.amdhsa_system_sgpr_workgroup_id_x 1
		.amdhsa_system_sgpr_workgroup_id_y 1
		.amdhsa_system_sgpr_workgroup_id_z 1
		.amdhsa_system_sgpr_workgroup_info 0
		.amdhsa_system_vgpr_workitem_id 0
		.amdhsa_next_free_vgpr 29
		.amdhsa_next_free_sgpr 36
		.amdhsa_reserve_vcc 1
		.amdhsa_reserve_flat_scratch 0
		.amdhsa_float_round_mode_32 0
		.amdhsa_float_round_mode_16_64 0
		.amdhsa_float_denorm_mode_32 3
		.amdhsa_float_denorm_mode_16_64 3
		.amdhsa_dx10_clamp 1
		.amdhsa_ieee_mode 1
		.amdhsa_fp16_overflow 0
		.amdhsa_workgroup_processor_mode 1
		.amdhsa_memory_ordered 1
		.amdhsa_forward_progress 1
		.amdhsa_shared_vgpr_count 0
		.amdhsa_exception_fp_ieee_invalid_op 0
		.amdhsa_exception_fp_denorm_src 0
		.amdhsa_exception_fp_ieee_div_zero 0
		.amdhsa_exception_fp_ieee_overflow 0
		.amdhsa_exception_fp_ieee_underflow 0
		.amdhsa_exception_fp_ieee_inexact 0
		.amdhsa_exception_int_div_zero 0
	.end_amdhsa_kernel
	.section	.text._ZL13mul_mat_vec_fI6__halffLi7ELi64ELb0ELb0EEvPKT_PKfPKi31ggml_cuda_mm_fusion_args_devicePfi15HIP_vector_typeIjLj3EEiiiSB_iiiSB_iiii,"axG",@progbits,_ZL13mul_mat_vec_fI6__halffLi7ELi64ELb0ELb0EEvPKT_PKfPKi31ggml_cuda_mm_fusion_args_devicePfi15HIP_vector_typeIjLj3EEiiiSB_iiiSB_iiii,comdat
.Lfunc_end249:
	.size	_ZL13mul_mat_vec_fI6__halffLi7ELi64ELb0ELb0EEvPKT_PKfPKi31ggml_cuda_mm_fusion_args_devicePfi15HIP_vector_typeIjLj3EEiiiSB_iiiSB_iiii, .Lfunc_end249-_ZL13mul_mat_vec_fI6__halffLi7ELi64ELb0ELb0EEvPKT_PKfPKi31ggml_cuda_mm_fusion_args_devicePfi15HIP_vector_typeIjLj3EEiiiSB_iiiSB_iiii
                                        ; -- End function
	.set _ZL13mul_mat_vec_fI6__halffLi7ELi64ELb0ELb0EEvPKT_PKfPKi31ggml_cuda_mm_fusion_args_devicePfi15HIP_vector_typeIjLj3EEiiiSB_iiiSB_iiii.num_vgpr, 29
	.set _ZL13mul_mat_vec_fI6__halffLi7ELi64ELb0ELb0EEvPKT_PKfPKi31ggml_cuda_mm_fusion_args_devicePfi15HIP_vector_typeIjLj3EEiiiSB_iiiSB_iiii.num_agpr, 0
	.set _ZL13mul_mat_vec_fI6__halffLi7ELi64ELb0ELb0EEvPKT_PKfPKi31ggml_cuda_mm_fusion_args_devicePfi15HIP_vector_typeIjLj3EEiiiSB_iiiSB_iiii.numbered_sgpr, 36
	.set _ZL13mul_mat_vec_fI6__halffLi7ELi64ELb0ELb0EEvPKT_PKfPKi31ggml_cuda_mm_fusion_args_devicePfi15HIP_vector_typeIjLj3EEiiiSB_iiiSB_iiii.num_named_barrier, 0
	.set _ZL13mul_mat_vec_fI6__halffLi7ELi64ELb0ELb0EEvPKT_PKfPKi31ggml_cuda_mm_fusion_args_devicePfi15HIP_vector_typeIjLj3EEiiiSB_iiiSB_iiii.private_seg_size, 0
	.set _ZL13mul_mat_vec_fI6__halffLi7ELi64ELb0ELb0EEvPKT_PKfPKi31ggml_cuda_mm_fusion_args_devicePfi15HIP_vector_typeIjLj3EEiiiSB_iiiSB_iiii.uses_vcc, 1
	.set _ZL13mul_mat_vec_fI6__halffLi7ELi64ELb0ELb0EEvPKT_PKfPKi31ggml_cuda_mm_fusion_args_devicePfi15HIP_vector_typeIjLj3EEiiiSB_iiiSB_iiii.uses_flat_scratch, 0
	.set _ZL13mul_mat_vec_fI6__halffLi7ELi64ELb0ELb0EEvPKT_PKfPKi31ggml_cuda_mm_fusion_args_devicePfi15HIP_vector_typeIjLj3EEiiiSB_iiiSB_iiii.has_dyn_sized_stack, 0
	.set _ZL13mul_mat_vec_fI6__halffLi7ELi64ELb0ELb0EEvPKT_PKfPKi31ggml_cuda_mm_fusion_args_devicePfi15HIP_vector_typeIjLj3EEiiiSB_iiiSB_iiii.has_recursion, 0
	.set _ZL13mul_mat_vec_fI6__halffLi7ELi64ELb0ELb0EEvPKT_PKfPKi31ggml_cuda_mm_fusion_args_devicePfi15HIP_vector_typeIjLj3EEiiiSB_iiiSB_iiii.has_indirect_call, 0
	.section	.AMDGPU.csdata,"",@progbits
; Kernel info:
; codeLenInByte = 2828
; TotalNumSgprs: 38
; NumVgprs: 29
; ScratchSize: 0
; MemoryBound: 0
; FloatMode: 240
; IeeeMode: 1
; LDSByteSize: 0 bytes/workgroup (compile time only)
; SGPRBlocks: 0
; VGPRBlocks: 3
; NumSGPRsForWavesPerEU: 38
; NumVGPRsForWavesPerEU: 29
; Occupancy: 16
; WaveLimiterHint : 0
; COMPUTE_PGM_RSRC2:SCRATCH_EN: 0
; COMPUTE_PGM_RSRC2:USER_SGPR: 6
; COMPUTE_PGM_RSRC2:TRAP_HANDLER: 0
; COMPUTE_PGM_RSRC2:TGID_X_EN: 1
; COMPUTE_PGM_RSRC2:TGID_Y_EN: 1
; COMPUTE_PGM_RSRC2:TGID_Z_EN: 1
; COMPUTE_PGM_RSRC2:TIDIG_COMP_CNT: 0
	.section	.text._ZL13mul_mat_vec_fI6__halffLi7ELi96ELb0ELb0EEvPKT_PKfPKi31ggml_cuda_mm_fusion_args_devicePfi15HIP_vector_typeIjLj3EEiiiSB_iiiSB_iiii,"axG",@progbits,_ZL13mul_mat_vec_fI6__halffLi7ELi96ELb0ELb0EEvPKT_PKfPKi31ggml_cuda_mm_fusion_args_devicePfi15HIP_vector_typeIjLj3EEiiiSB_iiiSB_iiii,comdat
	.globl	_ZL13mul_mat_vec_fI6__halffLi7ELi96ELb0ELb0EEvPKT_PKfPKi31ggml_cuda_mm_fusion_args_devicePfi15HIP_vector_typeIjLj3EEiiiSB_iiiSB_iiii ; -- Begin function _ZL13mul_mat_vec_fI6__halffLi7ELi96ELb0ELb0EEvPKT_PKfPKi31ggml_cuda_mm_fusion_args_devicePfi15HIP_vector_typeIjLj3EEiiiSB_iiiSB_iiii
	.p2align	8
	.type	_ZL13mul_mat_vec_fI6__halffLi7ELi96ELb0ELb0EEvPKT_PKfPKi31ggml_cuda_mm_fusion_args_devicePfi15HIP_vector_typeIjLj3EEiiiSB_iiiSB_iiii,@function
_ZL13mul_mat_vec_fI6__halffLi7ELi96ELb0ELb0EEvPKT_PKfPKi31ggml_cuda_mm_fusion_args_devicePfi15HIP_vector_typeIjLj3EEiiiSB_iiiSB_iiii: ; @_ZL13mul_mat_vec_fI6__halffLi7ELi96ELb0ELb0EEvPKT_PKfPKi31ggml_cuda_mm_fusion_args_devicePfi15HIP_vector_typeIjLj3EEiiiSB_iiiSB_iiii
; %bb.0:
	s_clause 0x2
	s_load_dwordx2 s[0:1], s[4:5], 0x10
	s_load_dwordx8 s[12:19], s[4:5], 0x40
	s_load_dwordx4 s[20:23], s[4:5], 0x80
	s_waitcnt lgkmcnt(0)
	s_cmp_eq_u64 s[0:1], 0
	s_cselect_b32 s10, -1, 0
	s_cmp_lg_u64 s[0:1], 0
	s_cselect_b32 s11, -1, 0
	s_and_b32 vcc_lo, exec_lo, s10
	s_cbranch_vccnz .LBB250_2
; %bb.1:
	s_mul_i32 s2, s23, s8
	s_mov_b32 s3, 0
	s_add_i32 s2, s2, s7
	s_lshl_b64 s[24:25], s[2:3], 2
	s_add_u32 s0, s0, s24
	s_addc_u32 s1, s1, s25
	s_load_dword s9, s[0:1], 0x0
	s_cbranch_execz .LBB250_3
	s_branch .LBB250_4
.LBB250_2:
                                        ; implicit-def: $sgpr9
.LBB250_3:
	s_load_dwordx2 s[0:1], s[4:5], 0x5c
	s_waitcnt lgkmcnt(0)
	s_mul_hi_u32 s0, s0, s7
	s_add_i32 s0, s7, s0
	s_lshr_b32 s9, s0, s1
.LBB250_4:
	s_load_dwordx4 s[24:27], s[4:5], 0x68
	s_andn2_b32 vcc_lo, exec_lo, s11
	s_mov_b32 s19, s7
	s_cbranch_vccnz .LBB250_6
; %bb.5:
	s_mul_hi_u32 s0, s13, s7
	s_add_i32 s0, s7, s0
	s_lshr_b32 s0, s0, s14
	s_mul_i32 s0, s0, s15
	s_sub_i32 s19, s7, s0
.LBB250_6:
	s_load_dword s14, s[4:5], 0x78
	v_cmp_gt_u32_e32 vcc_lo, 32, v0
	v_lshl_add_u32 v5, v0, 2, 0
	s_and_saveexec_b32 s0, vcc_lo
; %bb.7:
	v_mov_b32_e32 v1, 0
	ds_write_b32 v5, v1
; %bb.8:
	s_or_b32 exec_lo, exec_lo, s0
	v_mov_b32_e32 v6, 0
	v_mov_b32_e32 v7, 0
	;; [unrolled: 1-line block ×7, first 2 shown]
	s_and_b32 s0, exec_lo, s10
	s_mov_b32 s11, 0
	s_cselect_b32 s10, s8, 0
	s_mov_b32 s13, exec_lo
	s_waitcnt lgkmcnt(0)
	s_barrier
	buffer_gl0_inv
	v_cmpx_gt_i32_e64 s12, v0
	s_cbranch_execz .LBB250_12
; %bb.9:
	s_load_dwordx4 s[0:3], s[4:5], 0x0
	s_mul_hi_u32 s15, s27, s10
	s_mul_hi_i32 s29, s21, s10
	s_mul_i32 s28, s21, s10
	s_mul_i32 s8, s9, s24
	;; [unrolled: 1-line block ×4, first 2 shown]
	s_add_i32 s15, s10, s15
	s_lshl_b64 s[28:29], s[28:29], 2
	s_ashr_i32 s9, s8, 31
	s_ashr_i32 s25, s24, 31
	;; [unrolled: 1-line block ×3, first 2 shown]
	s_lshr_b32 s14, s15, s14
	s_mov_b32 s34, s17
	s_mul_hi_i32 s21, s14, s20
	s_mul_i32 s20, s14, s20
	v_lshlrev_b32_e32 v2, 3, v0
	v_lshlrev_b32_e32 v1, 2, v0
	v_mov_b32_e32 v11, 0
	v_mov_b32_e32 v12, v0
	s_waitcnt lgkmcnt(0)
	s_add_u32 s15, s2, s28
	s_addc_u32 s16, s3, s29
	s_lshl_b64 s[30:31], s[30:31], 2
	v_mov_b32_e32 v13, 0
	s_add_u32 s14, s15, s30
	s_addc_u32 s15, s16, s31
	s_lshl_b64 s[8:9], s[8:9], 1
	s_ashr_i32 s35, s17, 31
	s_add_i32 s16, s17, s17
	s_lshl_b32 s19, s17, 2
	s_lshl_b64 s[20:21], s[20:21], 1
	s_lshl_b64 s[24:25], s[24:25], 1
	s_add_u32 s0, s0, s8
	s_addc_u32 s1, s1, s9
	s_add_u32 s0, s0, s24
	s_addc_u32 s1, s1, s25
	;; [unrolled: 2-line block ×3, first 2 shown]
	s_lshl_b64 s[8:9], s[34:35], 3
	s_add_u32 s2, s2, s30
	s_addc_u32 s3, s3, s31
	s_add_u32 s2, s2, s28
	s_addc_u32 s3, s3, s29
	v_add_co_u32 v3, s2, s2, v2
	v_add_co_ci_u32_e64 v4, null, s3, 0, s2
	v_add_co_u32 v1, s0, s0, v1
	v_add_co_ci_u32_e64 v2, null, s1, 0, s0
	;; [unrolled: 2-line block ×3, first 2 shown]
	v_mov_b32_e32 v10, 0
	v_mov_b32_e32 v9, 0
	;; [unrolled: 1-line block ×5, first 2 shown]
	s_mul_i32 s1, s17, 3
	s_mul_i32 s2, s17, 5
	;; [unrolled: 1-line block ×3, first 2 shown]
.LBB250_10:                             ; =>This Inner Loop Header: Depth=1
	v_add_nc_u32_e32 v18, s16, v12
	v_add_nc_u32_e32 v20, s1, v12
	;; [unrolled: 1-line block ×5, first 2 shown]
	v_ashrrev_i32_e32 v19, 31, v18
	v_ashrrev_i32_e32 v21, 31, v20
	;; [unrolled: 1-line block ×5, first 2 shown]
	v_lshlrev_b64 v[18:19], 3, v[18:19]
	v_lshlrev_b64 v[20:21], 3, v[20:21]
	v_add_co_u32 v16, s0, v3, s8
	v_lshlrev_b64 v[22:23], 3, v[22:23]
	v_add_co_ci_u32_e64 v17, null, s9, v4, s0
	v_lshlrev_b64 v[24:25], 3, v[24:25]
	v_add_co_u32 v18, s0, s14, v18
	v_lshlrev_b64 v[26:27], 3, v[26:27]
	v_add_co_ci_u32_e64 v19, null, s15, v19, s0
	v_add_co_u32 v20, s0, s14, v20
	v_add_co_ci_u32_e64 v21, null, s15, v21, s0
	v_add_co_u32 v22, s0, s14, v22
	;; [unrolled: 2-line block ×4, first 2 shown]
	v_add_co_ci_u32_e64 v27, null, s15, v27, s0
	global_load_dword v28, v[1:2], off
	s_clause 0x1
	global_load_dwordx2 v[14:15], v[3:4], off offset:-4
	global_load_dwordx2 v[16:17], v[16:17], off offset:-4
	s_clause 0x4
	global_load_dwordx2 v[18:19], v[18:19], off
	global_load_dwordx2 v[20:21], v[20:21], off
	;; [unrolled: 1-line block ×5, first 2 shown]
	v_add_nc_u32_e32 v12, 0x60, v12
	v_add_co_u32 v1, s0, 0x180, v1
	v_add_co_ci_u32_e64 v2, null, 0, v2, s0
	v_add_co_u32 v3, s0, 0x300, v3
	v_add_co_ci_u32_e64 v4, null, 0, v4, s0
	v_cmp_le_i32_e64 s0, s12, v12
	s_or_b32 s11, s0, s11
	s_waitcnt vmcnt(4)
	v_fma_mix_f32 v10, v18, v28, v10 op_sel_hi:[0,1,0]
	v_fma_mix_f32 v11, v14, v28, v11 op_sel_hi:[0,1,0]
	;; [unrolled: 1-line block ×3, first 2 shown]
	s_waitcnt vmcnt(3)
	v_fma_mix_f32 v9, v20, v28, v9 op_sel_hi:[0,1,0]
	s_waitcnt vmcnt(2)
	v_fma_mix_f32 v8, v22, v28, v8 op_sel_hi:[0,1,0]
	;; [unrolled: 2-line block ×4, first 2 shown]
	v_fma_mix_f32 v11, v15, v28, v11 op_sel:[0,1,0] op_sel_hi:[0,1,0]
	v_fma_mix_f32 v13, v17, v28, v13 op_sel:[0,1,0] op_sel_hi:[0,1,0]
	v_fma_mix_f32 v10, v19, v28, v10 op_sel:[0,1,0] op_sel_hi:[0,1,0]
	v_fma_mix_f32 v9, v21, v28, v9 op_sel:[0,1,0] op_sel_hi:[0,1,0]
	v_fma_mix_f32 v8, v23, v28, v8 op_sel:[0,1,0] op_sel_hi:[0,1,0]
	v_fma_mix_f32 v7, v25, v28, v7 op_sel:[0,1,0] op_sel_hi:[0,1,0]
	v_fma_mix_f32 v6, v27, v28, v6 op_sel:[0,1,0] op_sel_hi:[0,1,0]
	s_andn2_b32 exec_lo, exec_lo, s11
	s_cbranch_execnz .LBB250_10
; %bb.11:
	s_or_b32 exec_lo, exec_lo, s11
.LBB250_12:
	s_or_b32 exec_lo, exec_lo, s13
	v_mbcnt_lo_u32_b32 v2, -1, 0
	v_xor_b32_e32 v1, 16, v2
	v_xor_b32_e32 v3, 8, v2
	v_cmp_gt_i32_e64 s0, 32, v1
	v_cndmask_b32_e64 v1, v2, v1, s0
	v_cmp_gt_i32_e64 s0, 32, v3
	v_lshlrev_b32_e32 v1, 2, v1
	v_cndmask_b32_e64 v3, v2, v3, s0
	ds_bpermute_b32 v4, v1, v11
	v_lshlrev_b32_e32 v3, 2, v3
	s_waitcnt lgkmcnt(0)
	v_add_f32_e32 v11, v11, v4
	v_xor_b32_e32 v4, 4, v2
	ds_bpermute_b32 v12, v3, v11
	v_cmp_gt_i32_e64 s0, 32, v4
	v_cndmask_b32_e64 v4, v2, v4, s0
	v_lshlrev_b32_e32 v4, 2, v4
	s_waitcnt lgkmcnt(0)
	v_add_f32_e32 v12, v11, v12
	v_xor_b32_e32 v11, 2, v2
	ds_bpermute_b32 v14, v4, v12
	v_cmp_gt_i32_e64 s0, 32, v11
	v_cndmask_b32_e64 v11, v2, v11, s0
	;; [unrolled: 7-line block ×3, first 2 shown]
	v_lshlrev_b32_e32 v12, 2, v2
	s_waitcnt lgkmcnt(0)
	v_add_f32_e32 v2, v14, v15
	v_lshrrev_b32_e32 v14, 3, v0
	ds_bpermute_b32 v15, v12, v2
	v_and_b32_e32 v14, 0x7c, v14
	v_add_nc_u32_e32 v14, 0, v14
	s_waitcnt lgkmcnt(0)
	v_add_f32_e32 v2, v2, v15
	ds_write_b32 v14, v2
	s_waitcnt lgkmcnt(0)
	s_barrier
	buffer_gl0_inv
	s_and_saveexec_b32 s0, vcc_lo
	s_cbranch_execz .LBB250_14
; %bb.13:
	ds_read_b32 v2, v5
	s_waitcnt lgkmcnt(0)
	ds_bpermute_b32 v15, v1, v2
	s_waitcnt lgkmcnt(0)
	v_add_f32_e32 v2, v2, v15
	ds_bpermute_b32 v15, v3, v2
	s_waitcnt lgkmcnt(0)
	v_add_f32_e32 v2, v2, v15
	ds_bpermute_b32 v15, v4, v2
	s_waitcnt lgkmcnt(0)
	v_add_f32_e32 v2, v2, v15
	ds_bpermute_b32 v15, v11, v2
	s_waitcnt lgkmcnt(0)
	v_add_f32_e32 v2, v2, v15
	ds_bpermute_b32 v15, v12, v2
	s_waitcnt lgkmcnt(0)
	v_add_f32_e32 v2, v2, v15
.LBB250_14:
	s_or_b32 exec_lo, exec_lo, s0
	ds_bpermute_b32 v15, v1, v13
	s_waitcnt lgkmcnt(0)
	s_barrier
	buffer_gl0_inv
	v_add_f32_e32 v13, v13, v15
	ds_bpermute_b32 v15, v3, v13
	s_waitcnt lgkmcnt(0)
	v_add_f32_e32 v13, v13, v15
	ds_bpermute_b32 v15, v4, v13
	s_waitcnt lgkmcnt(0)
	v_add_f32_e32 v13, v13, v15
	ds_bpermute_b32 v15, v11, v13
	s_waitcnt lgkmcnt(0)
	v_add_f32_e32 v13, v13, v15
	ds_bpermute_b32 v15, v12, v13
	s_waitcnt lgkmcnt(0)
	v_add_f32_e32 v13, v13, v15
	ds_write_b32 v14, v13
	s_waitcnt lgkmcnt(0)
	s_barrier
	buffer_gl0_inv
	s_and_saveexec_b32 s0, vcc_lo
	s_cbranch_execz .LBB250_16
; %bb.15:
	ds_read_b32 v13, v5
	s_waitcnt lgkmcnt(0)
	ds_bpermute_b32 v15, v1, v13
	s_waitcnt lgkmcnt(0)
	v_add_f32_e32 v13, v13, v15
	ds_bpermute_b32 v15, v3, v13
	s_waitcnt lgkmcnt(0)
	v_add_f32_e32 v13, v13, v15
	ds_bpermute_b32 v15, v4, v13
	s_waitcnt lgkmcnt(0)
	v_add_f32_e32 v13, v13, v15
	ds_bpermute_b32 v15, v11, v13
	s_waitcnt lgkmcnt(0)
	v_add_f32_e32 v13, v13, v15
	ds_bpermute_b32 v15, v12, v13
	s_waitcnt lgkmcnt(0)
	v_add_f32_e32 v13, v13, v15
.LBB250_16:
	s_or_b32 exec_lo, exec_lo, s0
	ds_bpermute_b32 v15, v1, v10
	s_waitcnt lgkmcnt(0)
	s_barrier
	buffer_gl0_inv
	v_add_f32_e32 v10, v10, v15
	ds_bpermute_b32 v15, v3, v10
	s_waitcnt lgkmcnt(0)
	v_add_f32_e32 v10, v10, v15
	ds_bpermute_b32 v15, v4, v10
	s_waitcnt lgkmcnt(0)
	v_add_f32_e32 v10, v10, v15
	ds_bpermute_b32 v15, v11, v10
	s_waitcnt lgkmcnt(0)
	v_add_f32_e32 v10, v10, v15
	ds_bpermute_b32 v15, v12, v10
	;; [unrolled: 43-line block ×6, first 2 shown]
	s_waitcnt lgkmcnt(0)
	v_add_f32_e32 v6, v6, v15
	ds_write_b32 v14, v6
	s_waitcnt lgkmcnt(0)
	s_barrier
	buffer_gl0_inv
	s_and_saveexec_b32 s0, vcc_lo
	s_cbranch_execz .LBB250_26
; %bb.25:
	ds_read_b32 v5, v5
	s_waitcnt lgkmcnt(0)
	ds_bpermute_b32 v1, v1, v5
	s_waitcnt lgkmcnt(0)
	v_add_f32_e32 v1, v5, v1
	ds_bpermute_b32 v3, v3, v1
	s_waitcnt lgkmcnt(0)
	v_add_f32_e32 v1, v1, v3
	;; [unrolled: 3-line block ×5, first 2 shown]
.LBB250_26:
	s_or_b32 exec_lo, exec_lo, s0
	s_barrier
	buffer_gl0_inv
	s_mov_b32 s0, exec_lo
	v_cmpx_gt_u32_e32 7, v0
	s_cbranch_execz .LBB250_28
; %bb.27:
	v_cmp_eq_u32_e32 vcc_lo, 1, v0
	s_load_dwordx2 s[0:1], s[4:5], 0x38
	s_mul_hi_i32 s3, s22, s10
	s_mul_i32 s2, s22, s10
	s_mul_i32 s4, s26, s7
	v_cndmask_b32_e32 v1, v2, v13, vcc_lo
	v_cmp_eq_u32_e32 vcc_lo, 2, v0
	s_lshl_b64 s[2:3], s[2:3], 2
	s_ashr_i32 s5, s4, 31
	v_cndmask_b32_e32 v3, v1, v10, vcc_lo
	v_cmp_eq_u32_e32 vcc_lo, 3, v0
	v_mad_u64_u32 v[1:2], null, s18, v0, s[6:7]
	v_cndmask_b32_e32 v2, v3, v9, vcc_lo
	v_cmp_eq_u32_e32 vcc_lo, 4, v0
	s_waitcnt lgkmcnt(0)
	s_add_u32 s2, s0, s2
	s_addc_u32 s3, s1, s3
	v_cndmask_b32_e32 v3, v2, v8, vcc_lo
	v_ashrrev_i32_e32 v2, 31, v1
	v_cmp_eq_u32_e32 vcc_lo, 5, v0
	s_lshl_b64 s[0:1], s[4:5], 2
	s_add_u32 s0, s2, s0
	v_lshlrev_b64 v[1:2], 2, v[1:2]
	v_cndmask_b32_e32 v3, v3, v7, vcc_lo
	v_cmp_eq_u32_e32 vcc_lo, 6, v0
	s_addc_u32 s1, s3, s1
	v_cndmask_b32_e32 v3, v3, v6, vcc_lo
	v_add_co_u32 v0, vcc_lo, s0, v1
	v_add_co_ci_u32_e64 v1, null, s1, v2, vcc_lo
	global_store_dword v[0:1], v3, off
.LBB250_28:
	s_endpgm
	.section	.rodata,"a",@progbits
	.p2align	6, 0x0
	.amdhsa_kernel _ZL13mul_mat_vec_fI6__halffLi7ELi96ELb0ELb0EEvPKT_PKfPKi31ggml_cuda_mm_fusion_args_devicePfi15HIP_vector_typeIjLj3EEiiiSB_iiiSB_iiii
		.amdhsa_group_segment_fixed_size 0
		.amdhsa_private_segment_fixed_size 0
		.amdhsa_kernarg_size 144
		.amdhsa_user_sgpr_count 6
		.amdhsa_user_sgpr_private_segment_buffer 1
		.amdhsa_user_sgpr_dispatch_ptr 0
		.amdhsa_user_sgpr_queue_ptr 0
		.amdhsa_user_sgpr_kernarg_segment_ptr 1
		.amdhsa_user_sgpr_dispatch_id 0
		.amdhsa_user_sgpr_flat_scratch_init 0
		.amdhsa_user_sgpr_private_segment_size 0
		.amdhsa_wavefront_size32 1
		.amdhsa_uses_dynamic_stack 0
		.amdhsa_system_sgpr_private_segment_wavefront_offset 0
		.amdhsa_system_sgpr_workgroup_id_x 1
		.amdhsa_system_sgpr_workgroup_id_y 1
		.amdhsa_system_sgpr_workgroup_id_z 1
		.amdhsa_system_sgpr_workgroup_info 0
		.amdhsa_system_vgpr_workitem_id 0
		.amdhsa_next_free_vgpr 29
		.amdhsa_next_free_sgpr 36
		.amdhsa_reserve_vcc 1
		.amdhsa_reserve_flat_scratch 0
		.amdhsa_float_round_mode_32 0
		.amdhsa_float_round_mode_16_64 0
		.amdhsa_float_denorm_mode_32 3
		.amdhsa_float_denorm_mode_16_64 3
		.amdhsa_dx10_clamp 1
		.amdhsa_ieee_mode 1
		.amdhsa_fp16_overflow 0
		.amdhsa_workgroup_processor_mode 1
		.amdhsa_memory_ordered 1
		.amdhsa_forward_progress 1
		.amdhsa_shared_vgpr_count 0
		.amdhsa_exception_fp_ieee_invalid_op 0
		.amdhsa_exception_fp_denorm_src 0
		.amdhsa_exception_fp_ieee_div_zero 0
		.amdhsa_exception_fp_ieee_overflow 0
		.amdhsa_exception_fp_ieee_underflow 0
		.amdhsa_exception_fp_ieee_inexact 0
		.amdhsa_exception_int_div_zero 0
	.end_amdhsa_kernel
	.section	.text._ZL13mul_mat_vec_fI6__halffLi7ELi96ELb0ELb0EEvPKT_PKfPKi31ggml_cuda_mm_fusion_args_devicePfi15HIP_vector_typeIjLj3EEiiiSB_iiiSB_iiii,"axG",@progbits,_ZL13mul_mat_vec_fI6__halffLi7ELi96ELb0ELb0EEvPKT_PKfPKi31ggml_cuda_mm_fusion_args_devicePfi15HIP_vector_typeIjLj3EEiiiSB_iiiSB_iiii,comdat
.Lfunc_end250:
	.size	_ZL13mul_mat_vec_fI6__halffLi7ELi96ELb0ELb0EEvPKT_PKfPKi31ggml_cuda_mm_fusion_args_devicePfi15HIP_vector_typeIjLj3EEiiiSB_iiiSB_iiii, .Lfunc_end250-_ZL13mul_mat_vec_fI6__halffLi7ELi96ELb0ELb0EEvPKT_PKfPKi31ggml_cuda_mm_fusion_args_devicePfi15HIP_vector_typeIjLj3EEiiiSB_iiiSB_iiii
                                        ; -- End function
	.set _ZL13mul_mat_vec_fI6__halffLi7ELi96ELb0ELb0EEvPKT_PKfPKi31ggml_cuda_mm_fusion_args_devicePfi15HIP_vector_typeIjLj3EEiiiSB_iiiSB_iiii.num_vgpr, 29
	.set _ZL13mul_mat_vec_fI6__halffLi7ELi96ELb0ELb0EEvPKT_PKfPKi31ggml_cuda_mm_fusion_args_devicePfi15HIP_vector_typeIjLj3EEiiiSB_iiiSB_iiii.num_agpr, 0
	.set _ZL13mul_mat_vec_fI6__halffLi7ELi96ELb0ELb0EEvPKT_PKfPKi31ggml_cuda_mm_fusion_args_devicePfi15HIP_vector_typeIjLj3EEiiiSB_iiiSB_iiii.numbered_sgpr, 36
	.set _ZL13mul_mat_vec_fI6__halffLi7ELi96ELb0ELb0EEvPKT_PKfPKi31ggml_cuda_mm_fusion_args_devicePfi15HIP_vector_typeIjLj3EEiiiSB_iiiSB_iiii.num_named_barrier, 0
	.set _ZL13mul_mat_vec_fI6__halffLi7ELi96ELb0ELb0EEvPKT_PKfPKi31ggml_cuda_mm_fusion_args_devicePfi15HIP_vector_typeIjLj3EEiiiSB_iiiSB_iiii.private_seg_size, 0
	.set _ZL13mul_mat_vec_fI6__halffLi7ELi96ELb0ELb0EEvPKT_PKfPKi31ggml_cuda_mm_fusion_args_devicePfi15HIP_vector_typeIjLj3EEiiiSB_iiiSB_iiii.uses_vcc, 1
	.set _ZL13mul_mat_vec_fI6__halffLi7ELi96ELb0ELb0EEvPKT_PKfPKi31ggml_cuda_mm_fusion_args_devicePfi15HIP_vector_typeIjLj3EEiiiSB_iiiSB_iiii.uses_flat_scratch, 0
	.set _ZL13mul_mat_vec_fI6__halffLi7ELi96ELb0ELb0EEvPKT_PKfPKi31ggml_cuda_mm_fusion_args_devicePfi15HIP_vector_typeIjLj3EEiiiSB_iiiSB_iiii.has_dyn_sized_stack, 0
	.set _ZL13mul_mat_vec_fI6__halffLi7ELi96ELb0ELb0EEvPKT_PKfPKi31ggml_cuda_mm_fusion_args_devicePfi15HIP_vector_typeIjLj3EEiiiSB_iiiSB_iiii.has_recursion, 0
	.set _ZL13mul_mat_vec_fI6__halffLi7ELi96ELb0ELb0EEvPKT_PKfPKi31ggml_cuda_mm_fusion_args_devicePfi15HIP_vector_typeIjLj3EEiiiSB_iiiSB_iiii.has_indirect_call, 0
	.section	.AMDGPU.csdata,"",@progbits
; Kernel info:
; codeLenInByte = 2832
; TotalNumSgprs: 38
; NumVgprs: 29
; ScratchSize: 0
; MemoryBound: 0
; FloatMode: 240
; IeeeMode: 1
; LDSByteSize: 0 bytes/workgroup (compile time only)
; SGPRBlocks: 0
; VGPRBlocks: 3
; NumSGPRsForWavesPerEU: 38
; NumVGPRsForWavesPerEU: 29
; Occupancy: 16
; WaveLimiterHint : 0
; COMPUTE_PGM_RSRC2:SCRATCH_EN: 0
; COMPUTE_PGM_RSRC2:USER_SGPR: 6
; COMPUTE_PGM_RSRC2:TRAP_HANDLER: 0
; COMPUTE_PGM_RSRC2:TGID_X_EN: 1
; COMPUTE_PGM_RSRC2:TGID_Y_EN: 1
; COMPUTE_PGM_RSRC2:TGID_Z_EN: 1
; COMPUTE_PGM_RSRC2:TIDIG_COMP_CNT: 0
	.section	.text._ZL13mul_mat_vec_fI6__halffLi7ELi128ELb0ELb0EEvPKT_PKfPKi31ggml_cuda_mm_fusion_args_devicePfi15HIP_vector_typeIjLj3EEiiiSB_iiiSB_iiii,"axG",@progbits,_ZL13mul_mat_vec_fI6__halffLi7ELi128ELb0ELb0EEvPKT_PKfPKi31ggml_cuda_mm_fusion_args_devicePfi15HIP_vector_typeIjLj3EEiiiSB_iiiSB_iiii,comdat
	.globl	_ZL13mul_mat_vec_fI6__halffLi7ELi128ELb0ELb0EEvPKT_PKfPKi31ggml_cuda_mm_fusion_args_devicePfi15HIP_vector_typeIjLj3EEiiiSB_iiiSB_iiii ; -- Begin function _ZL13mul_mat_vec_fI6__halffLi7ELi128ELb0ELb0EEvPKT_PKfPKi31ggml_cuda_mm_fusion_args_devicePfi15HIP_vector_typeIjLj3EEiiiSB_iiiSB_iiii
	.p2align	8
	.type	_ZL13mul_mat_vec_fI6__halffLi7ELi128ELb0ELb0EEvPKT_PKfPKi31ggml_cuda_mm_fusion_args_devicePfi15HIP_vector_typeIjLj3EEiiiSB_iiiSB_iiii,@function
_ZL13mul_mat_vec_fI6__halffLi7ELi128ELb0ELb0EEvPKT_PKfPKi31ggml_cuda_mm_fusion_args_devicePfi15HIP_vector_typeIjLj3EEiiiSB_iiiSB_iiii: ; @_ZL13mul_mat_vec_fI6__halffLi7ELi128ELb0ELb0EEvPKT_PKfPKi31ggml_cuda_mm_fusion_args_devicePfi15HIP_vector_typeIjLj3EEiiiSB_iiiSB_iiii
; %bb.0:
	s_clause 0x2
	s_load_dwordx2 s[0:1], s[4:5], 0x10
	s_load_dwordx8 s[12:19], s[4:5], 0x40
	s_load_dwordx4 s[20:23], s[4:5], 0x80
	s_waitcnt lgkmcnt(0)
	s_cmp_eq_u64 s[0:1], 0
	s_cselect_b32 s10, -1, 0
	s_cmp_lg_u64 s[0:1], 0
	s_cselect_b32 s11, -1, 0
	s_and_b32 vcc_lo, exec_lo, s10
	s_cbranch_vccnz .LBB251_2
; %bb.1:
	s_mul_i32 s2, s23, s8
	s_mov_b32 s3, 0
	s_add_i32 s2, s2, s7
	s_lshl_b64 s[24:25], s[2:3], 2
	s_add_u32 s0, s0, s24
	s_addc_u32 s1, s1, s25
	s_load_dword s9, s[0:1], 0x0
	s_cbranch_execz .LBB251_3
	s_branch .LBB251_4
.LBB251_2:
                                        ; implicit-def: $sgpr9
.LBB251_3:
	s_load_dwordx2 s[0:1], s[4:5], 0x5c
	s_waitcnt lgkmcnt(0)
	s_mul_hi_u32 s0, s0, s7
	s_add_i32 s0, s7, s0
	s_lshr_b32 s9, s0, s1
.LBB251_4:
	s_load_dwordx4 s[24:27], s[4:5], 0x68
	s_andn2_b32 vcc_lo, exec_lo, s11
	s_mov_b32 s19, s7
	s_cbranch_vccnz .LBB251_6
; %bb.5:
	s_mul_hi_u32 s0, s13, s7
	s_add_i32 s0, s7, s0
	s_lshr_b32 s0, s0, s14
	s_mul_i32 s0, s0, s15
	s_sub_i32 s19, s7, s0
.LBB251_6:
	s_load_dword s14, s[4:5], 0x78
	v_cmp_gt_u32_e32 vcc_lo, 32, v0
	v_lshl_add_u32 v5, v0, 2, 0
	s_and_saveexec_b32 s0, vcc_lo
; %bb.7:
	v_mov_b32_e32 v1, 0
	ds_write_b32 v5, v1
; %bb.8:
	s_or_b32 exec_lo, exec_lo, s0
	v_mov_b32_e32 v6, 0
	v_mov_b32_e32 v7, 0
	;; [unrolled: 1-line block ×7, first 2 shown]
	s_and_b32 s0, exec_lo, s10
	s_mov_b32 s11, 0
	s_cselect_b32 s10, s8, 0
	s_mov_b32 s13, exec_lo
	s_waitcnt lgkmcnt(0)
	s_barrier
	buffer_gl0_inv
	v_cmpx_gt_i32_e64 s12, v0
	s_cbranch_execz .LBB251_12
; %bb.9:
	s_load_dwordx4 s[0:3], s[4:5], 0x0
	s_mul_hi_u32 s15, s27, s10
	s_mul_hi_i32 s29, s21, s10
	s_mul_i32 s28, s21, s10
	s_mul_i32 s8, s9, s24
	;; [unrolled: 1-line block ×4, first 2 shown]
	s_add_i32 s15, s10, s15
	s_lshl_b64 s[28:29], s[28:29], 2
	s_ashr_i32 s9, s8, 31
	s_ashr_i32 s25, s24, 31
	s_ashr_i32 s31, s30, 31
	s_lshr_b32 s14, s15, s14
	s_mov_b32 s34, s17
	s_mul_hi_i32 s21, s14, s20
	s_mul_i32 s20, s14, s20
	v_lshlrev_b32_e32 v2, 3, v0
	v_lshlrev_b32_e32 v1, 2, v0
	v_mov_b32_e32 v11, 0
	v_mov_b32_e32 v12, v0
	s_waitcnt lgkmcnt(0)
	s_add_u32 s15, s2, s28
	s_addc_u32 s16, s3, s29
	s_lshl_b64 s[30:31], s[30:31], 2
	v_mov_b32_e32 v13, 0
	s_add_u32 s14, s15, s30
	s_addc_u32 s15, s16, s31
	s_lshl_b64 s[8:9], s[8:9], 1
	s_ashr_i32 s35, s17, 31
	s_add_i32 s16, s17, s17
	s_lshl_b32 s19, s17, 2
	s_lshl_b64 s[20:21], s[20:21], 1
	s_lshl_b64 s[24:25], s[24:25], 1
	s_add_u32 s0, s0, s8
	s_addc_u32 s1, s1, s9
	s_add_u32 s0, s0, s24
	s_addc_u32 s1, s1, s25
	;; [unrolled: 2-line block ×3, first 2 shown]
	s_lshl_b64 s[8:9], s[34:35], 3
	s_add_u32 s2, s2, s30
	s_addc_u32 s3, s3, s31
	s_add_u32 s2, s2, s28
	s_addc_u32 s3, s3, s29
	v_add_co_u32 v3, s2, s2, v2
	v_add_co_ci_u32_e64 v4, null, s3, 0, s2
	v_add_co_u32 v1, s0, s0, v1
	v_add_co_ci_u32_e64 v2, null, s1, 0, s0
	;; [unrolled: 2-line block ×3, first 2 shown]
	v_mov_b32_e32 v10, 0
	v_mov_b32_e32 v9, 0
	;; [unrolled: 1-line block ×5, first 2 shown]
	s_mul_i32 s1, s17, 3
	s_mul_i32 s2, s17, 5
	;; [unrolled: 1-line block ×3, first 2 shown]
.LBB251_10:                             ; =>This Inner Loop Header: Depth=1
	v_add_nc_u32_e32 v18, s16, v12
	v_add_nc_u32_e32 v20, s1, v12
	;; [unrolled: 1-line block ×5, first 2 shown]
	v_ashrrev_i32_e32 v19, 31, v18
	v_ashrrev_i32_e32 v21, 31, v20
	;; [unrolled: 1-line block ×5, first 2 shown]
	v_lshlrev_b64 v[18:19], 3, v[18:19]
	v_lshlrev_b64 v[20:21], 3, v[20:21]
	v_add_co_u32 v16, s0, v3, s8
	v_lshlrev_b64 v[22:23], 3, v[22:23]
	v_add_co_ci_u32_e64 v17, null, s9, v4, s0
	v_lshlrev_b64 v[24:25], 3, v[24:25]
	v_add_co_u32 v18, s0, s14, v18
	v_lshlrev_b64 v[26:27], 3, v[26:27]
	v_add_co_ci_u32_e64 v19, null, s15, v19, s0
	v_add_co_u32 v20, s0, s14, v20
	v_add_co_ci_u32_e64 v21, null, s15, v21, s0
	v_add_co_u32 v22, s0, s14, v22
	;; [unrolled: 2-line block ×4, first 2 shown]
	v_add_co_ci_u32_e64 v27, null, s15, v27, s0
	global_load_dword v28, v[1:2], off
	s_clause 0x1
	global_load_dwordx2 v[14:15], v[3:4], off offset:-4
	global_load_dwordx2 v[16:17], v[16:17], off offset:-4
	s_clause 0x4
	global_load_dwordx2 v[18:19], v[18:19], off
	global_load_dwordx2 v[20:21], v[20:21], off
	;; [unrolled: 1-line block ×5, first 2 shown]
	v_add_nc_u32_e32 v12, 0x80, v12
	v_add_co_u32 v1, s0, 0x200, v1
	v_add_co_ci_u32_e64 v2, null, 0, v2, s0
	v_add_co_u32 v3, s0, 0x400, v3
	v_add_co_ci_u32_e64 v4, null, 0, v4, s0
	v_cmp_le_i32_e64 s0, s12, v12
	s_or_b32 s11, s0, s11
	s_waitcnt vmcnt(4)
	v_fma_mix_f32 v10, v18, v28, v10 op_sel_hi:[0,1,0]
	v_fma_mix_f32 v11, v14, v28, v11 op_sel_hi:[0,1,0]
	;; [unrolled: 1-line block ×3, first 2 shown]
	s_waitcnt vmcnt(3)
	v_fma_mix_f32 v9, v20, v28, v9 op_sel_hi:[0,1,0]
	s_waitcnt vmcnt(2)
	v_fma_mix_f32 v8, v22, v28, v8 op_sel_hi:[0,1,0]
	;; [unrolled: 2-line block ×4, first 2 shown]
	v_fma_mix_f32 v11, v15, v28, v11 op_sel:[0,1,0] op_sel_hi:[0,1,0]
	v_fma_mix_f32 v13, v17, v28, v13 op_sel:[0,1,0] op_sel_hi:[0,1,0]
	;; [unrolled: 1-line block ×7, first 2 shown]
	s_andn2_b32 exec_lo, exec_lo, s11
	s_cbranch_execnz .LBB251_10
; %bb.11:
	s_or_b32 exec_lo, exec_lo, s11
.LBB251_12:
	s_or_b32 exec_lo, exec_lo, s13
	v_mbcnt_lo_u32_b32 v2, -1, 0
	v_xor_b32_e32 v1, 16, v2
	v_xor_b32_e32 v3, 8, v2
	v_cmp_gt_i32_e64 s0, 32, v1
	v_cndmask_b32_e64 v1, v2, v1, s0
	v_cmp_gt_i32_e64 s0, 32, v3
	v_lshlrev_b32_e32 v1, 2, v1
	v_cndmask_b32_e64 v3, v2, v3, s0
	ds_bpermute_b32 v4, v1, v11
	v_lshlrev_b32_e32 v3, 2, v3
	s_waitcnt lgkmcnt(0)
	v_add_f32_e32 v11, v11, v4
	v_xor_b32_e32 v4, 4, v2
	ds_bpermute_b32 v12, v3, v11
	v_cmp_gt_i32_e64 s0, 32, v4
	v_cndmask_b32_e64 v4, v2, v4, s0
	v_lshlrev_b32_e32 v4, 2, v4
	s_waitcnt lgkmcnt(0)
	v_add_f32_e32 v12, v11, v12
	v_xor_b32_e32 v11, 2, v2
	ds_bpermute_b32 v14, v4, v12
	v_cmp_gt_i32_e64 s0, 32, v11
	v_cndmask_b32_e64 v11, v2, v11, s0
	;; [unrolled: 7-line block ×3, first 2 shown]
	v_lshlrev_b32_e32 v12, 2, v2
	s_waitcnt lgkmcnt(0)
	v_add_f32_e32 v2, v14, v15
	v_lshrrev_b32_e32 v14, 3, v0
	ds_bpermute_b32 v15, v12, v2
	v_and_b32_e32 v14, 0x7c, v14
	v_add_nc_u32_e32 v14, 0, v14
	s_waitcnt lgkmcnt(0)
	v_add_f32_e32 v2, v2, v15
	ds_write_b32 v14, v2
	s_waitcnt lgkmcnt(0)
	s_barrier
	buffer_gl0_inv
	s_and_saveexec_b32 s0, vcc_lo
	s_cbranch_execz .LBB251_14
; %bb.13:
	ds_read_b32 v2, v5
	s_waitcnt lgkmcnt(0)
	ds_bpermute_b32 v15, v1, v2
	s_waitcnt lgkmcnt(0)
	v_add_f32_e32 v2, v2, v15
	ds_bpermute_b32 v15, v3, v2
	s_waitcnt lgkmcnt(0)
	v_add_f32_e32 v2, v2, v15
	ds_bpermute_b32 v15, v4, v2
	s_waitcnt lgkmcnt(0)
	v_add_f32_e32 v2, v2, v15
	ds_bpermute_b32 v15, v11, v2
	s_waitcnt lgkmcnt(0)
	v_add_f32_e32 v2, v2, v15
	ds_bpermute_b32 v15, v12, v2
	s_waitcnt lgkmcnt(0)
	v_add_f32_e32 v2, v2, v15
.LBB251_14:
	s_or_b32 exec_lo, exec_lo, s0
	ds_bpermute_b32 v15, v1, v13
	s_waitcnt lgkmcnt(0)
	s_barrier
	buffer_gl0_inv
	v_add_f32_e32 v13, v13, v15
	ds_bpermute_b32 v15, v3, v13
	s_waitcnt lgkmcnt(0)
	v_add_f32_e32 v13, v13, v15
	ds_bpermute_b32 v15, v4, v13
	s_waitcnt lgkmcnt(0)
	v_add_f32_e32 v13, v13, v15
	ds_bpermute_b32 v15, v11, v13
	s_waitcnt lgkmcnt(0)
	v_add_f32_e32 v13, v13, v15
	ds_bpermute_b32 v15, v12, v13
	s_waitcnt lgkmcnt(0)
	v_add_f32_e32 v13, v13, v15
	ds_write_b32 v14, v13
	s_waitcnt lgkmcnt(0)
	s_barrier
	buffer_gl0_inv
	s_and_saveexec_b32 s0, vcc_lo
	s_cbranch_execz .LBB251_16
; %bb.15:
	ds_read_b32 v13, v5
	s_waitcnt lgkmcnt(0)
	ds_bpermute_b32 v15, v1, v13
	s_waitcnt lgkmcnt(0)
	v_add_f32_e32 v13, v13, v15
	ds_bpermute_b32 v15, v3, v13
	s_waitcnt lgkmcnt(0)
	v_add_f32_e32 v13, v13, v15
	ds_bpermute_b32 v15, v4, v13
	s_waitcnt lgkmcnt(0)
	v_add_f32_e32 v13, v13, v15
	ds_bpermute_b32 v15, v11, v13
	s_waitcnt lgkmcnt(0)
	v_add_f32_e32 v13, v13, v15
	ds_bpermute_b32 v15, v12, v13
	s_waitcnt lgkmcnt(0)
	v_add_f32_e32 v13, v13, v15
.LBB251_16:
	s_or_b32 exec_lo, exec_lo, s0
	ds_bpermute_b32 v15, v1, v10
	s_waitcnt lgkmcnt(0)
	s_barrier
	buffer_gl0_inv
	v_add_f32_e32 v10, v10, v15
	ds_bpermute_b32 v15, v3, v10
	s_waitcnt lgkmcnt(0)
	v_add_f32_e32 v10, v10, v15
	ds_bpermute_b32 v15, v4, v10
	s_waitcnt lgkmcnt(0)
	v_add_f32_e32 v10, v10, v15
	ds_bpermute_b32 v15, v11, v10
	s_waitcnt lgkmcnt(0)
	v_add_f32_e32 v10, v10, v15
	ds_bpermute_b32 v15, v12, v10
	;; [unrolled: 43-line block ×6, first 2 shown]
	s_waitcnt lgkmcnt(0)
	v_add_f32_e32 v6, v6, v15
	ds_write_b32 v14, v6
	s_waitcnt lgkmcnt(0)
	s_barrier
	buffer_gl0_inv
	s_and_saveexec_b32 s0, vcc_lo
	s_cbranch_execz .LBB251_26
; %bb.25:
	ds_read_b32 v5, v5
	s_waitcnt lgkmcnt(0)
	ds_bpermute_b32 v1, v1, v5
	s_waitcnt lgkmcnt(0)
	v_add_f32_e32 v1, v5, v1
	ds_bpermute_b32 v3, v3, v1
	s_waitcnt lgkmcnt(0)
	v_add_f32_e32 v1, v1, v3
	;; [unrolled: 3-line block ×5, first 2 shown]
.LBB251_26:
	s_or_b32 exec_lo, exec_lo, s0
	s_barrier
	buffer_gl0_inv
	s_mov_b32 s0, exec_lo
	v_cmpx_gt_u32_e32 7, v0
	s_cbranch_execz .LBB251_28
; %bb.27:
	v_cmp_eq_u32_e32 vcc_lo, 1, v0
	s_load_dwordx2 s[0:1], s[4:5], 0x38
	s_mul_hi_i32 s3, s22, s10
	s_mul_i32 s2, s22, s10
	s_mul_i32 s4, s26, s7
	v_cndmask_b32_e32 v1, v2, v13, vcc_lo
	v_cmp_eq_u32_e32 vcc_lo, 2, v0
	s_lshl_b64 s[2:3], s[2:3], 2
	s_ashr_i32 s5, s4, 31
	v_cndmask_b32_e32 v3, v1, v10, vcc_lo
	v_cmp_eq_u32_e32 vcc_lo, 3, v0
	v_mad_u64_u32 v[1:2], null, s18, v0, s[6:7]
	v_cndmask_b32_e32 v2, v3, v9, vcc_lo
	v_cmp_eq_u32_e32 vcc_lo, 4, v0
	s_waitcnt lgkmcnt(0)
	s_add_u32 s2, s0, s2
	s_addc_u32 s3, s1, s3
	v_cndmask_b32_e32 v3, v2, v8, vcc_lo
	v_ashrrev_i32_e32 v2, 31, v1
	v_cmp_eq_u32_e32 vcc_lo, 5, v0
	s_lshl_b64 s[0:1], s[4:5], 2
	s_add_u32 s0, s2, s0
	v_lshlrev_b64 v[1:2], 2, v[1:2]
	v_cndmask_b32_e32 v3, v3, v7, vcc_lo
	v_cmp_eq_u32_e32 vcc_lo, 6, v0
	s_addc_u32 s1, s3, s1
	v_cndmask_b32_e32 v3, v3, v6, vcc_lo
	v_add_co_u32 v0, vcc_lo, s0, v1
	v_add_co_ci_u32_e64 v1, null, s1, v2, vcc_lo
	global_store_dword v[0:1], v3, off
.LBB251_28:
	s_endpgm
	.section	.rodata,"a",@progbits
	.p2align	6, 0x0
	.amdhsa_kernel _ZL13mul_mat_vec_fI6__halffLi7ELi128ELb0ELb0EEvPKT_PKfPKi31ggml_cuda_mm_fusion_args_devicePfi15HIP_vector_typeIjLj3EEiiiSB_iiiSB_iiii
		.amdhsa_group_segment_fixed_size 0
		.amdhsa_private_segment_fixed_size 0
		.amdhsa_kernarg_size 144
		.amdhsa_user_sgpr_count 6
		.amdhsa_user_sgpr_private_segment_buffer 1
		.amdhsa_user_sgpr_dispatch_ptr 0
		.amdhsa_user_sgpr_queue_ptr 0
		.amdhsa_user_sgpr_kernarg_segment_ptr 1
		.amdhsa_user_sgpr_dispatch_id 0
		.amdhsa_user_sgpr_flat_scratch_init 0
		.amdhsa_user_sgpr_private_segment_size 0
		.amdhsa_wavefront_size32 1
		.amdhsa_uses_dynamic_stack 0
		.amdhsa_system_sgpr_private_segment_wavefront_offset 0
		.amdhsa_system_sgpr_workgroup_id_x 1
		.amdhsa_system_sgpr_workgroup_id_y 1
		.amdhsa_system_sgpr_workgroup_id_z 1
		.amdhsa_system_sgpr_workgroup_info 0
		.amdhsa_system_vgpr_workitem_id 0
		.amdhsa_next_free_vgpr 29
		.amdhsa_next_free_sgpr 36
		.amdhsa_reserve_vcc 1
		.amdhsa_reserve_flat_scratch 0
		.amdhsa_float_round_mode_32 0
		.amdhsa_float_round_mode_16_64 0
		.amdhsa_float_denorm_mode_32 3
		.amdhsa_float_denorm_mode_16_64 3
		.amdhsa_dx10_clamp 1
		.amdhsa_ieee_mode 1
		.amdhsa_fp16_overflow 0
		.amdhsa_workgroup_processor_mode 1
		.amdhsa_memory_ordered 1
		.amdhsa_forward_progress 1
		.amdhsa_shared_vgpr_count 0
		.amdhsa_exception_fp_ieee_invalid_op 0
		.amdhsa_exception_fp_denorm_src 0
		.amdhsa_exception_fp_ieee_div_zero 0
		.amdhsa_exception_fp_ieee_overflow 0
		.amdhsa_exception_fp_ieee_underflow 0
		.amdhsa_exception_fp_ieee_inexact 0
		.amdhsa_exception_int_div_zero 0
	.end_amdhsa_kernel
	.section	.text._ZL13mul_mat_vec_fI6__halffLi7ELi128ELb0ELb0EEvPKT_PKfPKi31ggml_cuda_mm_fusion_args_devicePfi15HIP_vector_typeIjLj3EEiiiSB_iiiSB_iiii,"axG",@progbits,_ZL13mul_mat_vec_fI6__halffLi7ELi128ELb0ELb0EEvPKT_PKfPKi31ggml_cuda_mm_fusion_args_devicePfi15HIP_vector_typeIjLj3EEiiiSB_iiiSB_iiii,comdat
.Lfunc_end251:
	.size	_ZL13mul_mat_vec_fI6__halffLi7ELi128ELb0ELb0EEvPKT_PKfPKi31ggml_cuda_mm_fusion_args_devicePfi15HIP_vector_typeIjLj3EEiiiSB_iiiSB_iiii, .Lfunc_end251-_ZL13mul_mat_vec_fI6__halffLi7ELi128ELb0ELb0EEvPKT_PKfPKi31ggml_cuda_mm_fusion_args_devicePfi15HIP_vector_typeIjLj3EEiiiSB_iiiSB_iiii
                                        ; -- End function
	.set _ZL13mul_mat_vec_fI6__halffLi7ELi128ELb0ELb0EEvPKT_PKfPKi31ggml_cuda_mm_fusion_args_devicePfi15HIP_vector_typeIjLj3EEiiiSB_iiiSB_iiii.num_vgpr, 29
	.set _ZL13mul_mat_vec_fI6__halffLi7ELi128ELb0ELb0EEvPKT_PKfPKi31ggml_cuda_mm_fusion_args_devicePfi15HIP_vector_typeIjLj3EEiiiSB_iiiSB_iiii.num_agpr, 0
	.set _ZL13mul_mat_vec_fI6__halffLi7ELi128ELb0ELb0EEvPKT_PKfPKi31ggml_cuda_mm_fusion_args_devicePfi15HIP_vector_typeIjLj3EEiiiSB_iiiSB_iiii.numbered_sgpr, 36
	.set _ZL13mul_mat_vec_fI6__halffLi7ELi128ELb0ELb0EEvPKT_PKfPKi31ggml_cuda_mm_fusion_args_devicePfi15HIP_vector_typeIjLj3EEiiiSB_iiiSB_iiii.num_named_barrier, 0
	.set _ZL13mul_mat_vec_fI6__halffLi7ELi128ELb0ELb0EEvPKT_PKfPKi31ggml_cuda_mm_fusion_args_devicePfi15HIP_vector_typeIjLj3EEiiiSB_iiiSB_iiii.private_seg_size, 0
	.set _ZL13mul_mat_vec_fI6__halffLi7ELi128ELb0ELb0EEvPKT_PKfPKi31ggml_cuda_mm_fusion_args_devicePfi15HIP_vector_typeIjLj3EEiiiSB_iiiSB_iiii.uses_vcc, 1
	.set _ZL13mul_mat_vec_fI6__halffLi7ELi128ELb0ELb0EEvPKT_PKfPKi31ggml_cuda_mm_fusion_args_devicePfi15HIP_vector_typeIjLj3EEiiiSB_iiiSB_iiii.uses_flat_scratch, 0
	.set _ZL13mul_mat_vec_fI6__halffLi7ELi128ELb0ELb0EEvPKT_PKfPKi31ggml_cuda_mm_fusion_args_devicePfi15HIP_vector_typeIjLj3EEiiiSB_iiiSB_iiii.has_dyn_sized_stack, 0
	.set _ZL13mul_mat_vec_fI6__halffLi7ELi128ELb0ELb0EEvPKT_PKfPKi31ggml_cuda_mm_fusion_args_devicePfi15HIP_vector_typeIjLj3EEiiiSB_iiiSB_iiii.has_recursion, 0
	.set _ZL13mul_mat_vec_fI6__halffLi7ELi128ELb0ELb0EEvPKT_PKfPKi31ggml_cuda_mm_fusion_args_devicePfi15HIP_vector_typeIjLj3EEiiiSB_iiiSB_iiii.has_indirect_call, 0
	.section	.AMDGPU.csdata,"",@progbits
; Kernel info:
; codeLenInByte = 2832
; TotalNumSgprs: 38
; NumVgprs: 29
; ScratchSize: 0
; MemoryBound: 0
; FloatMode: 240
; IeeeMode: 1
; LDSByteSize: 0 bytes/workgroup (compile time only)
; SGPRBlocks: 0
; VGPRBlocks: 3
; NumSGPRsForWavesPerEU: 38
; NumVGPRsForWavesPerEU: 29
; Occupancy: 16
; WaveLimiterHint : 0
; COMPUTE_PGM_RSRC2:SCRATCH_EN: 0
; COMPUTE_PGM_RSRC2:USER_SGPR: 6
; COMPUTE_PGM_RSRC2:TRAP_HANDLER: 0
; COMPUTE_PGM_RSRC2:TGID_X_EN: 1
; COMPUTE_PGM_RSRC2:TGID_Y_EN: 1
; COMPUTE_PGM_RSRC2:TGID_Z_EN: 1
; COMPUTE_PGM_RSRC2:TIDIG_COMP_CNT: 0
	.section	.text._ZL13mul_mat_vec_fI6__halffLi7ELi160ELb0ELb0EEvPKT_PKfPKi31ggml_cuda_mm_fusion_args_devicePfi15HIP_vector_typeIjLj3EEiiiSB_iiiSB_iiii,"axG",@progbits,_ZL13mul_mat_vec_fI6__halffLi7ELi160ELb0ELb0EEvPKT_PKfPKi31ggml_cuda_mm_fusion_args_devicePfi15HIP_vector_typeIjLj3EEiiiSB_iiiSB_iiii,comdat
	.globl	_ZL13mul_mat_vec_fI6__halffLi7ELi160ELb0ELb0EEvPKT_PKfPKi31ggml_cuda_mm_fusion_args_devicePfi15HIP_vector_typeIjLj3EEiiiSB_iiiSB_iiii ; -- Begin function _ZL13mul_mat_vec_fI6__halffLi7ELi160ELb0ELb0EEvPKT_PKfPKi31ggml_cuda_mm_fusion_args_devicePfi15HIP_vector_typeIjLj3EEiiiSB_iiiSB_iiii
	.p2align	8
	.type	_ZL13mul_mat_vec_fI6__halffLi7ELi160ELb0ELb0EEvPKT_PKfPKi31ggml_cuda_mm_fusion_args_devicePfi15HIP_vector_typeIjLj3EEiiiSB_iiiSB_iiii,@function
_ZL13mul_mat_vec_fI6__halffLi7ELi160ELb0ELb0EEvPKT_PKfPKi31ggml_cuda_mm_fusion_args_devicePfi15HIP_vector_typeIjLj3EEiiiSB_iiiSB_iiii: ; @_ZL13mul_mat_vec_fI6__halffLi7ELi160ELb0ELb0EEvPKT_PKfPKi31ggml_cuda_mm_fusion_args_devicePfi15HIP_vector_typeIjLj3EEiiiSB_iiiSB_iiii
; %bb.0:
	s_clause 0x2
	s_load_dwordx2 s[0:1], s[4:5], 0x10
	s_load_dwordx8 s[12:19], s[4:5], 0x40
	s_load_dwordx4 s[20:23], s[4:5], 0x80
	s_waitcnt lgkmcnt(0)
	s_cmp_eq_u64 s[0:1], 0
	s_cselect_b32 s10, -1, 0
	s_cmp_lg_u64 s[0:1], 0
	s_cselect_b32 s11, -1, 0
	s_and_b32 vcc_lo, exec_lo, s10
	s_cbranch_vccnz .LBB252_2
; %bb.1:
	s_mul_i32 s2, s23, s8
	s_mov_b32 s3, 0
	s_add_i32 s2, s2, s7
	s_lshl_b64 s[24:25], s[2:3], 2
	s_add_u32 s0, s0, s24
	s_addc_u32 s1, s1, s25
	s_load_dword s9, s[0:1], 0x0
	s_cbranch_execz .LBB252_3
	s_branch .LBB252_4
.LBB252_2:
                                        ; implicit-def: $sgpr9
.LBB252_3:
	s_load_dwordx2 s[0:1], s[4:5], 0x5c
	s_waitcnt lgkmcnt(0)
	s_mul_hi_u32 s0, s0, s7
	s_add_i32 s0, s7, s0
	s_lshr_b32 s9, s0, s1
.LBB252_4:
	s_load_dwordx4 s[24:27], s[4:5], 0x68
	s_andn2_b32 vcc_lo, exec_lo, s11
	s_mov_b32 s19, s7
	s_cbranch_vccnz .LBB252_6
; %bb.5:
	s_mul_hi_u32 s0, s13, s7
	s_add_i32 s0, s7, s0
	s_lshr_b32 s0, s0, s14
	s_mul_i32 s0, s0, s15
	s_sub_i32 s19, s7, s0
.LBB252_6:
	s_load_dword s14, s[4:5], 0x78
	v_cmp_gt_u32_e32 vcc_lo, 32, v0
	v_lshl_add_u32 v5, v0, 2, 0
	s_and_saveexec_b32 s0, vcc_lo
; %bb.7:
	v_mov_b32_e32 v1, 0
	ds_write_b32 v5, v1
; %bb.8:
	s_or_b32 exec_lo, exec_lo, s0
	v_mov_b32_e32 v6, 0
	v_mov_b32_e32 v7, 0
	;; [unrolled: 1-line block ×7, first 2 shown]
	s_and_b32 s0, exec_lo, s10
	s_mov_b32 s11, 0
	s_cselect_b32 s10, s8, 0
	s_mov_b32 s13, exec_lo
	s_waitcnt lgkmcnt(0)
	s_barrier
	buffer_gl0_inv
	v_cmpx_gt_i32_e64 s12, v0
	s_cbranch_execz .LBB252_12
; %bb.9:
	s_load_dwordx4 s[0:3], s[4:5], 0x0
	s_mul_hi_u32 s15, s27, s10
	s_mul_hi_i32 s29, s21, s10
	s_mul_i32 s28, s21, s10
	s_mul_i32 s8, s9, s24
	s_mul_i32 s24, s16, s6
	s_mul_i32 s30, s19, s25
	s_add_i32 s15, s10, s15
	s_lshl_b64 s[28:29], s[28:29], 2
	s_ashr_i32 s9, s8, 31
	s_ashr_i32 s25, s24, 31
	;; [unrolled: 1-line block ×3, first 2 shown]
	s_lshr_b32 s14, s15, s14
	s_mov_b32 s34, s17
	s_mul_hi_i32 s21, s14, s20
	s_mul_i32 s20, s14, s20
	v_lshlrev_b32_e32 v2, 3, v0
	v_lshlrev_b32_e32 v1, 2, v0
	v_mov_b32_e32 v11, 0
	v_mov_b32_e32 v12, v0
	s_waitcnt lgkmcnt(0)
	s_add_u32 s15, s2, s28
	s_addc_u32 s16, s3, s29
	s_lshl_b64 s[30:31], s[30:31], 2
	v_mov_b32_e32 v13, 0
	s_add_u32 s14, s15, s30
	s_addc_u32 s15, s16, s31
	s_lshl_b64 s[8:9], s[8:9], 1
	s_ashr_i32 s35, s17, 31
	s_add_i32 s16, s17, s17
	s_lshl_b32 s19, s17, 2
	s_lshl_b64 s[20:21], s[20:21], 1
	s_lshl_b64 s[24:25], s[24:25], 1
	s_add_u32 s0, s0, s8
	s_addc_u32 s1, s1, s9
	s_add_u32 s0, s0, s24
	s_addc_u32 s1, s1, s25
	;; [unrolled: 2-line block ×3, first 2 shown]
	s_lshl_b64 s[8:9], s[34:35], 3
	s_add_u32 s2, s2, s30
	s_addc_u32 s3, s3, s31
	s_add_u32 s2, s2, s28
	s_addc_u32 s3, s3, s29
	v_add_co_u32 v3, s2, s2, v2
	v_add_co_ci_u32_e64 v4, null, s3, 0, s2
	v_add_co_u32 v1, s0, s0, v1
	v_add_co_ci_u32_e64 v2, null, s1, 0, s0
	;; [unrolled: 2-line block ×3, first 2 shown]
	v_mov_b32_e32 v10, 0
	v_mov_b32_e32 v9, 0
	v_mov_b32_e32 v8, 0
	v_mov_b32_e32 v7, 0
	v_mov_b32_e32 v6, 0
	s_mul_i32 s1, s17, 3
	s_mul_i32 s2, s17, 5
	s_mul_i32 s3, s17, 6
.LBB252_10:                             ; =>This Inner Loop Header: Depth=1
	v_add_nc_u32_e32 v18, s16, v12
	v_add_nc_u32_e32 v20, s1, v12
	;; [unrolled: 1-line block ×5, first 2 shown]
	v_ashrrev_i32_e32 v19, 31, v18
	v_ashrrev_i32_e32 v21, 31, v20
	;; [unrolled: 1-line block ×5, first 2 shown]
	v_lshlrev_b64 v[18:19], 3, v[18:19]
	v_lshlrev_b64 v[20:21], 3, v[20:21]
	v_add_co_u32 v16, s0, v3, s8
	v_lshlrev_b64 v[22:23], 3, v[22:23]
	v_add_co_ci_u32_e64 v17, null, s9, v4, s0
	v_lshlrev_b64 v[24:25], 3, v[24:25]
	v_add_co_u32 v18, s0, s14, v18
	v_lshlrev_b64 v[26:27], 3, v[26:27]
	v_add_co_ci_u32_e64 v19, null, s15, v19, s0
	v_add_co_u32 v20, s0, s14, v20
	v_add_co_ci_u32_e64 v21, null, s15, v21, s0
	v_add_co_u32 v22, s0, s14, v22
	;; [unrolled: 2-line block ×4, first 2 shown]
	v_add_co_ci_u32_e64 v27, null, s15, v27, s0
	global_load_dword v28, v[1:2], off
	s_clause 0x1
	global_load_dwordx2 v[14:15], v[3:4], off offset:-4
	global_load_dwordx2 v[16:17], v[16:17], off offset:-4
	s_clause 0x4
	global_load_dwordx2 v[18:19], v[18:19], off
	global_load_dwordx2 v[20:21], v[20:21], off
	;; [unrolled: 1-line block ×5, first 2 shown]
	v_add_nc_u32_e32 v12, 0xa0, v12
	v_add_co_u32 v1, s0, 0x280, v1
	v_add_co_ci_u32_e64 v2, null, 0, v2, s0
	v_add_co_u32 v3, s0, 0x500, v3
	v_add_co_ci_u32_e64 v4, null, 0, v4, s0
	v_cmp_le_i32_e64 s0, s12, v12
	s_or_b32 s11, s0, s11
	s_waitcnt vmcnt(4)
	v_fma_mix_f32 v10, v18, v28, v10 op_sel_hi:[0,1,0]
	v_fma_mix_f32 v11, v14, v28, v11 op_sel_hi:[0,1,0]
	;; [unrolled: 1-line block ×3, first 2 shown]
	s_waitcnt vmcnt(3)
	v_fma_mix_f32 v9, v20, v28, v9 op_sel_hi:[0,1,0]
	s_waitcnt vmcnt(2)
	v_fma_mix_f32 v8, v22, v28, v8 op_sel_hi:[0,1,0]
	;; [unrolled: 2-line block ×4, first 2 shown]
	v_fma_mix_f32 v11, v15, v28, v11 op_sel:[0,1,0] op_sel_hi:[0,1,0]
	v_fma_mix_f32 v13, v17, v28, v13 op_sel:[0,1,0] op_sel_hi:[0,1,0]
	;; [unrolled: 1-line block ×7, first 2 shown]
	s_andn2_b32 exec_lo, exec_lo, s11
	s_cbranch_execnz .LBB252_10
; %bb.11:
	s_or_b32 exec_lo, exec_lo, s11
.LBB252_12:
	s_or_b32 exec_lo, exec_lo, s13
	v_mbcnt_lo_u32_b32 v2, -1, 0
	v_xor_b32_e32 v1, 16, v2
	v_xor_b32_e32 v3, 8, v2
	v_cmp_gt_i32_e64 s0, 32, v1
	v_cndmask_b32_e64 v1, v2, v1, s0
	v_cmp_gt_i32_e64 s0, 32, v3
	v_lshlrev_b32_e32 v1, 2, v1
	v_cndmask_b32_e64 v3, v2, v3, s0
	ds_bpermute_b32 v4, v1, v11
	v_lshlrev_b32_e32 v3, 2, v3
	s_waitcnt lgkmcnt(0)
	v_add_f32_e32 v11, v11, v4
	v_xor_b32_e32 v4, 4, v2
	ds_bpermute_b32 v12, v3, v11
	v_cmp_gt_i32_e64 s0, 32, v4
	v_cndmask_b32_e64 v4, v2, v4, s0
	v_lshlrev_b32_e32 v4, 2, v4
	s_waitcnt lgkmcnt(0)
	v_add_f32_e32 v12, v11, v12
	v_xor_b32_e32 v11, 2, v2
	ds_bpermute_b32 v14, v4, v12
	v_cmp_gt_i32_e64 s0, 32, v11
	v_cndmask_b32_e64 v11, v2, v11, s0
	;; [unrolled: 7-line block ×3, first 2 shown]
	v_lshlrev_b32_e32 v12, 2, v2
	s_waitcnt lgkmcnt(0)
	v_add_f32_e32 v2, v14, v15
	v_lshrrev_b32_e32 v14, 3, v0
	ds_bpermute_b32 v15, v12, v2
	v_and_b32_e32 v14, 0x7c, v14
	v_add_nc_u32_e32 v14, 0, v14
	s_waitcnt lgkmcnt(0)
	v_add_f32_e32 v2, v2, v15
	ds_write_b32 v14, v2
	s_waitcnt lgkmcnt(0)
	s_barrier
	buffer_gl0_inv
	s_and_saveexec_b32 s0, vcc_lo
	s_cbranch_execz .LBB252_14
; %bb.13:
	ds_read_b32 v2, v5
	s_waitcnt lgkmcnt(0)
	ds_bpermute_b32 v15, v1, v2
	s_waitcnt lgkmcnt(0)
	v_add_f32_e32 v2, v2, v15
	ds_bpermute_b32 v15, v3, v2
	s_waitcnt lgkmcnt(0)
	v_add_f32_e32 v2, v2, v15
	ds_bpermute_b32 v15, v4, v2
	s_waitcnt lgkmcnt(0)
	v_add_f32_e32 v2, v2, v15
	ds_bpermute_b32 v15, v11, v2
	s_waitcnt lgkmcnt(0)
	v_add_f32_e32 v2, v2, v15
	ds_bpermute_b32 v15, v12, v2
	s_waitcnt lgkmcnt(0)
	v_add_f32_e32 v2, v2, v15
.LBB252_14:
	s_or_b32 exec_lo, exec_lo, s0
	ds_bpermute_b32 v15, v1, v13
	s_waitcnt lgkmcnt(0)
	s_barrier
	buffer_gl0_inv
	v_add_f32_e32 v13, v13, v15
	ds_bpermute_b32 v15, v3, v13
	s_waitcnt lgkmcnt(0)
	v_add_f32_e32 v13, v13, v15
	ds_bpermute_b32 v15, v4, v13
	s_waitcnt lgkmcnt(0)
	v_add_f32_e32 v13, v13, v15
	ds_bpermute_b32 v15, v11, v13
	s_waitcnt lgkmcnt(0)
	v_add_f32_e32 v13, v13, v15
	ds_bpermute_b32 v15, v12, v13
	s_waitcnt lgkmcnt(0)
	v_add_f32_e32 v13, v13, v15
	ds_write_b32 v14, v13
	s_waitcnt lgkmcnt(0)
	s_barrier
	buffer_gl0_inv
	s_and_saveexec_b32 s0, vcc_lo
	s_cbranch_execz .LBB252_16
; %bb.15:
	ds_read_b32 v13, v5
	s_waitcnt lgkmcnt(0)
	ds_bpermute_b32 v15, v1, v13
	s_waitcnt lgkmcnt(0)
	v_add_f32_e32 v13, v13, v15
	ds_bpermute_b32 v15, v3, v13
	s_waitcnt lgkmcnt(0)
	v_add_f32_e32 v13, v13, v15
	ds_bpermute_b32 v15, v4, v13
	s_waitcnt lgkmcnt(0)
	v_add_f32_e32 v13, v13, v15
	ds_bpermute_b32 v15, v11, v13
	s_waitcnt lgkmcnt(0)
	v_add_f32_e32 v13, v13, v15
	ds_bpermute_b32 v15, v12, v13
	s_waitcnt lgkmcnt(0)
	v_add_f32_e32 v13, v13, v15
.LBB252_16:
	s_or_b32 exec_lo, exec_lo, s0
	ds_bpermute_b32 v15, v1, v10
	s_waitcnt lgkmcnt(0)
	s_barrier
	buffer_gl0_inv
	v_add_f32_e32 v10, v10, v15
	ds_bpermute_b32 v15, v3, v10
	s_waitcnt lgkmcnt(0)
	v_add_f32_e32 v10, v10, v15
	ds_bpermute_b32 v15, v4, v10
	s_waitcnt lgkmcnt(0)
	v_add_f32_e32 v10, v10, v15
	ds_bpermute_b32 v15, v11, v10
	s_waitcnt lgkmcnt(0)
	v_add_f32_e32 v10, v10, v15
	ds_bpermute_b32 v15, v12, v10
	;; [unrolled: 43-line block ×6, first 2 shown]
	s_waitcnt lgkmcnt(0)
	v_add_f32_e32 v6, v6, v15
	ds_write_b32 v14, v6
	s_waitcnt lgkmcnt(0)
	s_barrier
	buffer_gl0_inv
	s_and_saveexec_b32 s0, vcc_lo
	s_cbranch_execz .LBB252_26
; %bb.25:
	ds_read_b32 v5, v5
	s_waitcnt lgkmcnt(0)
	ds_bpermute_b32 v1, v1, v5
	s_waitcnt lgkmcnt(0)
	v_add_f32_e32 v1, v5, v1
	ds_bpermute_b32 v3, v3, v1
	s_waitcnt lgkmcnt(0)
	v_add_f32_e32 v1, v1, v3
	;; [unrolled: 3-line block ×5, first 2 shown]
.LBB252_26:
	s_or_b32 exec_lo, exec_lo, s0
	s_barrier
	buffer_gl0_inv
	s_mov_b32 s0, exec_lo
	v_cmpx_gt_u32_e32 7, v0
	s_cbranch_execz .LBB252_28
; %bb.27:
	v_cmp_eq_u32_e32 vcc_lo, 1, v0
	s_load_dwordx2 s[0:1], s[4:5], 0x38
	s_mul_hi_i32 s3, s22, s10
	s_mul_i32 s2, s22, s10
	s_mul_i32 s4, s26, s7
	v_cndmask_b32_e32 v1, v2, v13, vcc_lo
	v_cmp_eq_u32_e32 vcc_lo, 2, v0
	s_lshl_b64 s[2:3], s[2:3], 2
	s_ashr_i32 s5, s4, 31
	v_cndmask_b32_e32 v3, v1, v10, vcc_lo
	v_cmp_eq_u32_e32 vcc_lo, 3, v0
	v_mad_u64_u32 v[1:2], null, s18, v0, s[6:7]
	v_cndmask_b32_e32 v2, v3, v9, vcc_lo
	v_cmp_eq_u32_e32 vcc_lo, 4, v0
	s_waitcnt lgkmcnt(0)
	s_add_u32 s2, s0, s2
	s_addc_u32 s3, s1, s3
	v_cndmask_b32_e32 v3, v2, v8, vcc_lo
	v_ashrrev_i32_e32 v2, 31, v1
	v_cmp_eq_u32_e32 vcc_lo, 5, v0
	s_lshl_b64 s[0:1], s[4:5], 2
	s_add_u32 s0, s2, s0
	v_lshlrev_b64 v[1:2], 2, v[1:2]
	v_cndmask_b32_e32 v3, v3, v7, vcc_lo
	v_cmp_eq_u32_e32 vcc_lo, 6, v0
	s_addc_u32 s1, s3, s1
	v_cndmask_b32_e32 v3, v3, v6, vcc_lo
	v_add_co_u32 v0, vcc_lo, s0, v1
	v_add_co_ci_u32_e64 v1, null, s1, v2, vcc_lo
	global_store_dword v[0:1], v3, off
.LBB252_28:
	s_endpgm
	.section	.rodata,"a",@progbits
	.p2align	6, 0x0
	.amdhsa_kernel _ZL13mul_mat_vec_fI6__halffLi7ELi160ELb0ELb0EEvPKT_PKfPKi31ggml_cuda_mm_fusion_args_devicePfi15HIP_vector_typeIjLj3EEiiiSB_iiiSB_iiii
		.amdhsa_group_segment_fixed_size 0
		.amdhsa_private_segment_fixed_size 0
		.amdhsa_kernarg_size 144
		.amdhsa_user_sgpr_count 6
		.amdhsa_user_sgpr_private_segment_buffer 1
		.amdhsa_user_sgpr_dispatch_ptr 0
		.amdhsa_user_sgpr_queue_ptr 0
		.amdhsa_user_sgpr_kernarg_segment_ptr 1
		.amdhsa_user_sgpr_dispatch_id 0
		.amdhsa_user_sgpr_flat_scratch_init 0
		.amdhsa_user_sgpr_private_segment_size 0
		.amdhsa_wavefront_size32 1
		.amdhsa_uses_dynamic_stack 0
		.amdhsa_system_sgpr_private_segment_wavefront_offset 0
		.amdhsa_system_sgpr_workgroup_id_x 1
		.amdhsa_system_sgpr_workgroup_id_y 1
		.amdhsa_system_sgpr_workgroup_id_z 1
		.amdhsa_system_sgpr_workgroup_info 0
		.amdhsa_system_vgpr_workitem_id 0
		.amdhsa_next_free_vgpr 29
		.amdhsa_next_free_sgpr 36
		.amdhsa_reserve_vcc 1
		.amdhsa_reserve_flat_scratch 0
		.amdhsa_float_round_mode_32 0
		.amdhsa_float_round_mode_16_64 0
		.amdhsa_float_denorm_mode_32 3
		.amdhsa_float_denorm_mode_16_64 3
		.amdhsa_dx10_clamp 1
		.amdhsa_ieee_mode 1
		.amdhsa_fp16_overflow 0
		.amdhsa_workgroup_processor_mode 1
		.amdhsa_memory_ordered 1
		.amdhsa_forward_progress 1
		.amdhsa_shared_vgpr_count 0
		.amdhsa_exception_fp_ieee_invalid_op 0
		.amdhsa_exception_fp_denorm_src 0
		.amdhsa_exception_fp_ieee_div_zero 0
		.amdhsa_exception_fp_ieee_overflow 0
		.amdhsa_exception_fp_ieee_underflow 0
		.amdhsa_exception_fp_ieee_inexact 0
		.amdhsa_exception_int_div_zero 0
	.end_amdhsa_kernel
	.section	.text._ZL13mul_mat_vec_fI6__halffLi7ELi160ELb0ELb0EEvPKT_PKfPKi31ggml_cuda_mm_fusion_args_devicePfi15HIP_vector_typeIjLj3EEiiiSB_iiiSB_iiii,"axG",@progbits,_ZL13mul_mat_vec_fI6__halffLi7ELi160ELb0ELb0EEvPKT_PKfPKi31ggml_cuda_mm_fusion_args_devicePfi15HIP_vector_typeIjLj3EEiiiSB_iiiSB_iiii,comdat
.Lfunc_end252:
	.size	_ZL13mul_mat_vec_fI6__halffLi7ELi160ELb0ELb0EEvPKT_PKfPKi31ggml_cuda_mm_fusion_args_devicePfi15HIP_vector_typeIjLj3EEiiiSB_iiiSB_iiii, .Lfunc_end252-_ZL13mul_mat_vec_fI6__halffLi7ELi160ELb0ELb0EEvPKT_PKfPKi31ggml_cuda_mm_fusion_args_devicePfi15HIP_vector_typeIjLj3EEiiiSB_iiiSB_iiii
                                        ; -- End function
	.set _ZL13mul_mat_vec_fI6__halffLi7ELi160ELb0ELb0EEvPKT_PKfPKi31ggml_cuda_mm_fusion_args_devicePfi15HIP_vector_typeIjLj3EEiiiSB_iiiSB_iiii.num_vgpr, 29
	.set _ZL13mul_mat_vec_fI6__halffLi7ELi160ELb0ELb0EEvPKT_PKfPKi31ggml_cuda_mm_fusion_args_devicePfi15HIP_vector_typeIjLj3EEiiiSB_iiiSB_iiii.num_agpr, 0
	.set _ZL13mul_mat_vec_fI6__halffLi7ELi160ELb0ELb0EEvPKT_PKfPKi31ggml_cuda_mm_fusion_args_devicePfi15HIP_vector_typeIjLj3EEiiiSB_iiiSB_iiii.numbered_sgpr, 36
	.set _ZL13mul_mat_vec_fI6__halffLi7ELi160ELb0ELb0EEvPKT_PKfPKi31ggml_cuda_mm_fusion_args_devicePfi15HIP_vector_typeIjLj3EEiiiSB_iiiSB_iiii.num_named_barrier, 0
	.set _ZL13mul_mat_vec_fI6__halffLi7ELi160ELb0ELb0EEvPKT_PKfPKi31ggml_cuda_mm_fusion_args_devicePfi15HIP_vector_typeIjLj3EEiiiSB_iiiSB_iiii.private_seg_size, 0
	.set _ZL13mul_mat_vec_fI6__halffLi7ELi160ELb0ELb0EEvPKT_PKfPKi31ggml_cuda_mm_fusion_args_devicePfi15HIP_vector_typeIjLj3EEiiiSB_iiiSB_iiii.uses_vcc, 1
	.set _ZL13mul_mat_vec_fI6__halffLi7ELi160ELb0ELb0EEvPKT_PKfPKi31ggml_cuda_mm_fusion_args_devicePfi15HIP_vector_typeIjLj3EEiiiSB_iiiSB_iiii.uses_flat_scratch, 0
	.set _ZL13mul_mat_vec_fI6__halffLi7ELi160ELb0ELb0EEvPKT_PKfPKi31ggml_cuda_mm_fusion_args_devicePfi15HIP_vector_typeIjLj3EEiiiSB_iiiSB_iiii.has_dyn_sized_stack, 0
	.set _ZL13mul_mat_vec_fI6__halffLi7ELi160ELb0ELb0EEvPKT_PKfPKi31ggml_cuda_mm_fusion_args_devicePfi15HIP_vector_typeIjLj3EEiiiSB_iiiSB_iiii.has_recursion, 0
	.set _ZL13mul_mat_vec_fI6__halffLi7ELi160ELb0ELb0EEvPKT_PKfPKi31ggml_cuda_mm_fusion_args_devicePfi15HIP_vector_typeIjLj3EEiiiSB_iiiSB_iiii.has_indirect_call, 0
	.section	.AMDGPU.csdata,"",@progbits
; Kernel info:
; codeLenInByte = 2832
; TotalNumSgprs: 38
; NumVgprs: 29
; ScratchSize: 0
; MemoryBound: 0
; FloatMode: 240
; IeeeMode: 1
; LDSByteSize: 0 bytes/workgroup (compile time only)
; SGPRBlocks: 0
; VGPRBlocks: 3
; NumSGPRsForWavesPerEU: 38
; NumVGPRsForWavesPerEU: 29
; Occupancy: 16
; WaveLimiterHint : 0
; COMPUTE_PGM_RSRC2:SCRATCH_EN: 0
; COMPUTE_PGM_RSRC2:USER_SGPR: 6
; COMPUTE_PGM_RSRC2:TRAP_HANDLER: 0
; COMPUTE_PGM_RSRC2:TGID_X_EN: 1
; COMPUTE_PGM_RSRC2:TGID_Y_EN: 1
; COMPUTE_PGM_RSRC2:TGID_Z_EN: 1
; COMPUTE_PGM_RSRC2:TIDIG_COMP_CNT: 0
	.section	.text._ZL13mul_mat_vec_fI6__halffLi7ELi192ELb0ELb0EEvPKT_PKfPKi31ggml_cuda_mm_fusion_args_devicePfi15HIP_vector_typeIjLj3EEiiiSB_iiiSB_iiii,"axG",@progbits,_ZL13mul_mat_vec_fI6__halffLi7ELi192ELb0ELb0EEvPKT_PKfPKi31ggml_cuda_mm_fusion_args_devicePfi15HIP_vector_typeIjLj3EEiiiSB_iiiSB_iiii,comdat
	.globl	_ZL13mul_mat_vec_fI6__halffLi7ELi192ELb0ELb0EEvPKT_PKfPKi31ggml_cuda_mm_fusion_args_devicePfi15HIP_vector_typeIjLj3EEiiiSB_iiiSB_iiii ; -- Begin function _ZL13mul_mat_vec_fI6__halffLi7ELi192ELb0ELb0EEvPKT_PKfPKi31ggml_cuda_mm_fusion_args_devicePfi15HIP_vector_typeIjLj3EEiiiSB_iiiSB_iiii
	.p2align	8
	.type	_ZL13mul_mat_vec_fI6__halffLi7ELi192ELb0ELb0EEvPKT_PKfPKi31ggml_cuda_mm_fusion_args_devicePfi15HIP_vector_typeIjLj3EEiiiSB_iiiSB_iiii,@function
_ZL13mul_mat_vec_fI6__halffLi7ELi192ELb0ELb0EEvPKT_PKfPKi31ggml_cuda_mm_fusion_args_devicePfi15HIP_vector_typeIjLj3EEiiiSB_iiiSB_iiii: ; @_ZL13mul_mat_vec_fI6__halffLi7ELi192ELb0ELb0EEvPKT_PKfPKi31ggml_cuda_mm_fusion_args_devicePfi15HIP_vector_typeIjLj3EEiiiSB_iiiSB_iiii
; %bb.0:
	s_clause 0x2
	s_load_dwordx2 s[0:1], s[4:5], 0x10
	s_load_dwordx8 s[12:19], s[4:5], 0x40
	s_load_dwordx4 s[20:23], s[4:5], 0x80
	s_waitcnt lgkmcnt(0)
	s_cmp_eq_u64 s[0:1], 0
	s_cselect_b32 s10, -1, 0
	s_cmp_lg_u64 s[0:1], 0
	s_cselect_b32 s11, -1, 0
	s_and_b32 vcc_lo, exec_lo, s10
	s_cbranch_vccnz .LBB253_2
; %bb.1:
	s_mul_i32 s2, s23, s8
	s_mov_b32 s3, 0
	s_add_i32 s2, s2, s7
	s_lshl_b64 s[24:25], s[2:3], 2
	s_add_u32 s0, s0, s24
	s_addc_u32 s1, s1, s25
	s_load_dword s9, s[0:1], 0x0
	s_cbranch_execz .LBB253_3
	s_branch .LBB253_4
.LBB253_2:
                                        ; implicit-def: $sgpr9
.LBB253_3:
	s_load_dwordx2 s[0:1], s[4:5], 0x5c
	s_waitcnt lgkmcnt(0)
	s_mul_hi_u32 s0, s0, s7
	s_add_i32 s0, s7, s0
	s_lshr_b32 s9, s0, s1
.LBB253_4:
	s_load_dwordx4 s[24:27], s[4:5], 0x68
	s_andn2_b32 vcc_lo, exec_lo, s11
	s_mov_b32 s19, s7
	s_cbranch_vccnz .LBB253_6
; %bb.5:
	s_mul_hi_u32 s0, s13, s7
	s_add_i32 s0, s7, s0
	s_lshr_b32 s0, s0, s14
	s_mul_i32 s0, s0, s15
	s_sub_i32 s19, s7, s0
.LBB253_6:
	s_load_dword s14, s[4:5], 0x78
	v_cmp_gt_u32_e32 vcc_lo, 32, v0
	v_lshl_add_u32 v5, v0, 2, 0
	s_and_saveexec_b32 s0, vcc_lo
; %bb.7:
	v_mov_b32_e32 v1, 0
	ds_write_b32 v5, v1
; %bb.8:
	s_or_b32 exec_lo, exec_lo, s0
	v_mov_b32_e32 v6, 0
	v_mov_b32_e32 v7, 0
	;; [unrolled: 1-line block ×7, first 2 shown]
	s_and_b32 s0, exec_lo, s10
	s_mov_b32 s11, 0
	s_cselect_b32 s10, s8, 0
	s_mov_b32 s13, exec_lo
	s_waitcnt lgkmcnt(0)
	s_barrier
	buffer_gl0_inv
	v_cmpx_gt_i32_e64 s12, v0
	s_cbranch_execz .LBB253_12
; %bb.9:
	s_load_dwordx4 s[0:3], s[4:5], 0x0
	s_mul_hi_u32 s15, s27, s10
	s_mul_hi_i32 s29, s21, s10
	s_mul_i32 s28, s21, s10
	s_mul_i32 s8, s9, s24
	;; [unrolled: 1-line block ×4, first 2 shown]
	s_add_i32 s15, s10, s15
	s_lshl_b64 s[28:29], s[28:29], 2
	s_ashr_i32 s9, s8, 31
	s_ashr_i32 s25, s24, 31
	;; [unrolled: 1-line block ×3, first 2 shown]
	s_lshr_b32 s14, s15, s14
	s_mov_b32 s34, s17
	s_mul_hi_i32 s21, s14, s20
	s_mul_i32 s20, s14, s20
	v_lshlrev_b32_e32 v2, 3, v0
	v_lshlrev_b32_e32 v1, 2, v0
	v_mov_b32_e32 v11, 0
	v_mov_b32_e32 v12, v0
	s_waitcnt lgkmcnt(0)
	s_add_u32 s15, s2, s28
	s_addc_u32 s16, s3, s29
	s_lshl_b64 s[30:31], s[30:31], 2
	v_mov_b32_e32 v13, 0
	s_add_u32 s14, s15, s30
	s_addc_u32 s15, s16, s31
	s_lshl_b64 s[8:9], s[8:9], 1
	s_ashr_i32 s35, s17, 31
	s_add_i32 s16, s17, s17
	s_lshl_b32 s19, s17, 2
	s_lshl_b64 s[20:21], s[20:21], 1
	s_lshl_b64 s[24:25], s[24:25], 1
	s_add_u32 s0, s0, s8
	s_addc_u32 s1, s1, s9
	s_add_u32 s0, s0, s24
	s_addc_u32 s1, s1, s25
	;; [unrolled: 2-line block ×3, first 2 shown]
	s_lshl_b64 s[8:9], s[34:35], 3
	s_add_u32 s2, s2, s30
	s_addc_u32 s3, s3, s31
	s_add_u32 s2, s2, s28
	s_addc_u32 s3, s3, s29
	v_add_co_u32 v3, s2, s2, v2
	v_add_co_ci_u32_e64 v4, null, s3, 0, s2
	v_add_co_u32 v1, s0, s0, v1
	v_add_co_ci_u32_e64 v2, null, s1, 0, s0
	;; [unrolled: 2-line block ×3, first 2 shown]
	v_mov_b32_e32 v10, 0
	v_mov_b32_e32 v9, 0
	;; [unrolled: 1-line block ×5, first 2 shown]
	s_mul_i32 s1, s17, 3
	s_mul_i32 s2, s17, 5
	;; [unrolled: 1-line block ×3, first 2 shown]
.LBB253_10:                             ; =>This Inner Loop Header: Depth=1
	v_add_nc_u32_e32 v18, s16, v12
	v_add_nc_u32_e32 v20, s1, v12
	;; [unrolled: 1-line block ×5, first 2 shown]
	v_ashrrev_i32_e32 v19, 31, v18
	v_ashrrev_i32_e32 v21, 31, v20
	;; [unrolled: 1-line block ×5, first 2 shown]
	v_lshlrev_b64 v[18:19], 3, v[18:19]
	v_lshlrev_b64 v[20:21], 3, v[20:21]
	v_add_co_u32 v16, s0, v3, s8
	v_lshlrev_b64 v[22:23], 3, v[22:23]
	v_add_co_ci_u32_e64 v17, null, s9, v4, s0
	v_lshlrev_b64 v[24:25], 3, v[24:25]
	v_add_co_u32 v18, s0, s14, v18
	v_lshlrev_b64 v[26:27], 3, v[26:27]
	v_add_co_ci_u32_e64 v19, null, s15, v19, s0
	v_add_co_u32 v20, s0, s14, v20
	v_add_co_ci_u32_e64 v21, null, s15, v21, s0
	v_add_co_u32 v22, s0, s14, v22
	v_add_co_ci_u32_e64 v23, null, s15, v23, s0
	v_add_co_u32 v24, s0, s14, v24
	v_add_co_ci_u32_e64 v25, null, s15, v25, s0
	v_add_co_u32 v26, s0, s14, v26
	v_add_co_ci_u32_e64 v27, null, s15, v27, s0
	global_load_dword v28, v[1:2], off
	s_clause 0x1
	global_load_dwordx2 v[14:15], v[3:4], off offset:-4
	global_load_dwordx2 v[16:17], v[16:17], off offset:-4
	s_clause 0x4
	global_load_dwordx2 v[18:19], v[18:19], off
	global_load_dwordx2 v[20:21], v[20:21], off
	;; [unrolled: 1-line block ×5, first 2 shown]
	v_add_nc_u32_e32 v12, 0xc0, v12
	v_add_co_u32 v1, s0, 0x300, v1
	v_add_co_ci_u32_e64 v2, null, 0, v2, s0
	v_add_co_u32 v3, s0, 0x600, v3
	v_add_co_ci_u32_e64 v4, null, 0, v4, s0
	v_cmp_le_i32_e64 s0, s12, v12
	s_or_b32 s11, s0, s11
	s_waitcnt vmcnt(4)
	v_fma_mix_f32 v10, v18, v28, v10 op_sel_hi:[0,1,0]
	v_fma_mix_f32 v11, v14, v28, v11 op_sel_hi:[0,1,0]
	;; [unrolled: 1-line block ×3, first 2 shown]
	s_waitcnt vmcnt(3)
	v_fma_mix_f32 v9, v20, v28, v9 op_sel_hi:[0,1,0]
	s_waitcnt vmcnt(2)
	v_fma_mix_f32 v8, v22, v28, v8 op_sel_hi:[0,1,0]
	;; [unrolled: 2-line block ×4, first 2 shown]
	v_fma_mix_f32 v11, v15, v28, v11 op_sel:[0,1,0] op_sel_hi:[0,1,0]
	v_fma_mix_f32 v13, v17, v28, v13 op_sel:[0,1,0] op_sel_hi:[0,1,0]
	;; [unrolled: 1-line block ×7, first 2 shown]
	s_andn2_b32 exec_lo, exec_lo, s11
	s_cbranch_execnz .LBB253_10
; %bb.11:
	s_or_b32 exec_lo, exec_lo, s11
.LBB253_12:
	s_or_b32 exec_lo, exec_lo, s13
	v_mbcnt_lo_u32_b32 v2, -1, 0
	v_xor_b32_e32 v1, 16, v2
	v_xor_b32_e32 v3, 8, v2
	v_cmp_gt_i32_e64 s0, 32, v1
	v_cndmask_b32_e64 v1, v2, v1, s0
	v_cmp_gt_i32_e64 s0, 32, v3
	v_lshlrev_b32_e32 v1, 2, v1
	v_cndmask_b32_e64 v3, v2, v3, s0
	ds_bpermute_b32 v4, v1, v11
	v_lshlrev_b32_e32 v3, 2, v3
	s_waitcnt lgkmcnt(0)
	v_add_f32_e32 v11, v11, v4
	v_xor_b32_e32 v4, 4, v2
	ds_bpermute_b32 v12, v3, v11
	v_cmp_gt_i32_e64 s0, 32, v4
	v_cndmask_b32_e64 v4, v2, v4, s0
	v_lshlrev_b32_e32 v4, 2, v4
	s_waitcnt lgkmcnt(0)
	v_add_f32_e32 v12, v11, v12
	v_xor_b32_e32 v11, 2, v2
	ds_bpermute_b32 v14, v4, v12
	v_cmp_gt_i32_e64 s0, 32, v11
	v_cndmask_b32_e64 v11, v2, v11, s0
	;; [unrolled: 7-line block ×3, first 2 shown]
	v_lshlrev_b32_e32 v12, 2, v2
	s_waitcnt lgkmcnt(0)
	v_add_f32_e32 v2, v14, v15
	v_lshrrev_b32_e32 v14, 3, v0
	ds_bpermute_b32 v15, v12, v2
	v_and_b32_e32 v14, 0x7c, v14
	v_add_nc_u32_e32 v14, 0, v14
	s_waitcnt lgkmcnt(0)
	v_add_f32_e32 v2, v2, v15
	ds_write_b32 v14, v2
	s_waitcnt lgkmcnt(0)
	s_barrier
	buffer_gl0_inv
	s_and_saveexec_b32 s0, vcc_lo
	s_cbranch_execz .LBB253_14
; %bb.13:
	ds_read_b32 v2, v5
	s_waitcnt lgkmcnt(0)
	ds_bpermute_b32 v15, v1, v2
	s_waitcnt lgkmcnt(0)
	v_add_f32_e32 v2, v2, v15
	ds_bpermute_b32 v15, v3, v2
	s_waitcnt lgkmcnt(0)
	v_add_f32_e32 v2, v2, v15
	ds_bpermute_b32 v15, v4, v2
	s_waitcnt lgkmcnt(0)
	v_add_f32_e32 v2, v2, v15
	ds_bpermute_b32 v15, v11, v2
	s_waitcnt lgkmcnt(0)
	v_add_f32_e32 v2, v2, v15
	ds_bpermute_b32 v15, v12, v2
	s_waitcnt lgkmcnt(0)
	v_add_f32_e32 v2, v2, v15
.LBB253_14:
	s_or_b32 exec_lo, exec_lo, s0
	ds_bpermute_b32 v15, v1, v13
	s_waitcnt lgkmcnt(0)
	s_barrier
	buffer_gl0_inv
	v_add_f32_e32 v13, v13, v15
	ds_bpermute_b32 v15, v3, v13
	s_waitcnt lgkmcnt(0)
	v_add_f32_e32 v13, v13, v15
	ds_bpermute_b32 v15, v4, v13
	s_waitcnt lgkmcnt(0)
	v_add_f32_e32 v13, v13, v15
	ds_bpermute_b32 v15, v11, v13
	s_waitcnt lgkmcnt(0)
	v_add_f32_e32 v13, v13, v15
	ds_bpermute_b32 v15, v12, v13
	s_waitcnt lgkmcnt(0)
	v_add_f32_e32 v13, v13, v15
	ds_write_b32 v14, v13
	s_waitcnt lgkmcnt(0)
	s_barrier
	buffer_gl0_inv
	s_and_saveexec_b32 s0, vcc_lo
	s_cbranch_execz .LBB253_16
; %bb.15:
	ds_read_b32 v13, v5
	s_waitcnt lgkmcnt(0)
	ds_bpermute_b32 v15, v1, v13
	s_waitcnt lgkmcnt(0)
	v_add_f32_e32 v13, v13, v15
	ds_bpermute_b32 v15, v3, v13
	s_waitcnt lgkmcnt(0)
	v_add_f32_e32 v13, v13, v15
	ds_bpermute_b32 v15, v4, v13
	s_waitcnt lgkmcnt(0)
	v_add_f32_e32 v13, v13, v15
	ds_bpermute_b32 v15, v11, v13
	s_waitcnt lgkmcnt(0)
	v_add_f32_e32 v13, v13, v15
	ds_bpermute_b32 v15, v12, v13
	s_waitcnt lgkmcnt(0)
	v_add_f32_e32 v13, v13, v15
.LBB253_16:
	s_or_b32 exec_lo, exec_lo, s0
	ds_bpermute_b32 v15, v1, v10
	s_waitcnt lgkmcnt(0)
	s_barrier
	buffer_gl0_inv
	v_add_f32_e32 v10, v10, v15
	ds_bpermute_b32 v15, v3, v10
	s_waitcnt lgkmcnt(0)
	v_add_f32_e32 v10, v10, v15
	ds_bpermute_b32 v15, v4, v10
	s_waitcnt lgkmcnt(0)
	v_add_f32_e32 v10, v10, v15
	ds_bpermute_b32 v15, v11, v10
	s_waitcnt lgkmcnt(0)
	v_add_f32_e32 v10, v10, v15
	ds_bpermute_b32 v15, v12, v10
	;; [unrolled: 43-line block ×6, first 2 shown]
	s_waitcnt lgkmcnt(0)
	v_add_f32_e32 v6, v6, v15
	ds_write_b32 v14, v6
	s_waitcnt lgkmcnt(0)
	s_barrier
	buffer_gl0_inv
	s_and_saveexec_b32 s0, vcc_lo
	s_cbranch_execz .LBB253_26
; %bb.25:
	ds_read_b32 v5, v5
	s_waitcnt lgkmcnt(0)
	ds_bpermute_b32 v1, v1, v5
	s_waitcnt lgkmcnt(0)
	v_add_f32_e32 v1, v5, v1
	ds_bpermute_b32 v3, v3, v1
	s_waitcnt lgkmcnt(0)
	v_add_f32_e32 v1, v1, v3
	;; [unrolled: 3-line block ×5, first 2 shown]
.LBB253_26:
	s_or_b32 exec_lo, exec_lo, s0
	s_barrier
	buffer_gl0_inv
	s_mov_b32 s0, exec_lo
	v_cmpx_gt_u32_e32 7, v0
	s_cbranch_execz .LBB253_28
; %bb.27:
	v_cmp_eq_u32_e32 vcc_lo, 1, v0
	s_load_dwordx2 s[0:1], s[4:5], 0x38
	s_mul_hi_i32 s3, s22, s10
	s_mul_i32 s2, s22, s10
	s_mul_i32 s4, s26, s7
	v_cndmask_b32_e32 v1, v2, v13, vcc_lo
	v_cmp_eq_u32_e32 vcc_lo, 2, v0
	s_lshl_b64 s[2:3], s[2:3], 2
	s_ashr_i32 s5, s4, 31
	v_cndmask_b32_e32 v3, v1, v10, vcc_lo
	v_cmp_eq_u32_e32 vcc_lo, 3, v0
	v_mad_u64_u32 v[1:2], null, s18, v0, s[6:7]
	v_cndmask_b32_e32 v2, v3, v9, vcc_lo
	v_cmp_eq_u32_e32 vcc_lo, 4, v0
	s_waitcnt lgkmcnt(0)
	s_add_u32 s2, s0, s2
	s_addc_u32 s3, s1, s3
	v_cndmask_b32_e32 v3, v2, v8, vcc_lo
	v_ashrrev_i32_e32 v2, 31, v1
	v_cmp_eq_u32_e32 vcc_lo, 5, v0
	s_lshl_b64 s[0:1], s[4:5], 2
	s_add_u32 s0, s2, s0
	v_lshlrev_b64 v[1:2], 2, v[1:2]
	v_cndmask_b32_e32 v3, v3, v7, vcc_lo
	v_cmp_eq_u32_e32 vcc_lo, 6, v0
	s_addc_u32 s1, s3, s1
	v_cndmask_b32_e32 v3, v3, v6, vcc_lo
	v_add_co_u32 v0, vcc_lo, s0, v1
	v_add_co_ci_u32_e64 v1, null, s1, v2, vcc_lo
	global_store_dword v[0:1], v3, off
.LBB253_28:
	s_endpgm
	.section	.rodata,"a",@progbits
	.p2align	6, 0x0
	.amdhsa_kernel _ZL13mul_mat_vec_fI6__halffLi7ELi192ELb0ELb0EEvPKT_PKfPKi31ggml_cuda_mm_fusion_args_devicePfi15HIP_vector_typeIjLj3EEiiiSB_iiiSB_iiii
		.amdhsa_group_segment_fixed_size 0
		.amdhsa_private_segment_fixed_size 0
		.amdhsa_kernarg_size 144
		.amdhsa_user_sgpr_count 6
		.amdhsa_user_sgpr_private_segment_buffer 1
		.amdhsa_user_sgpr_dispatch_ptr 0
		.amdhsa_user_sgpr_queue_ptr 0
		.amdhsa_user_sgpr_kernarg_segment_ptr 1
		.amdhsa_user_sgpr_dispatch_id 0
		.amdhsa_user_sgpr_flat_scratch_init 0
		.amdhsa_user_sgpr_private_segment_size 0
		.amdhsa_wavefront_size32 1
		.amdhsa_uses_dynamic_stack 0
		.amdhsa_system_sgpr_private_segment_wavefront_offset 0
		.amdhsa_system_sgpr_workgroup_id_x 1
		.amdhsa_system_sgpr_workgroup_id_y 1
		.amdhsa_system_sgpr_workgroup_id_z 1
		.amdhsa_system_sgpr_workgroup_info 0
		.amdhsa_system_vgpr_workitem_id 0
		.amdhsa_next_free_vgpr 29
		.amdhsa_next_free_sgpr 36
		.amdhsa_reserve_vcc 1
		.amdhsa_reserve_flat_scratch 0
		.amdhsa_float_round_mode_32 0
		.amdhsa_float_round_mode_16_64 0
		.amdhsa_float_denorm_mode_32 3
		.amdhsa_float_denorm_mode_16_64 3
		.amdhsa_dx10_clamp 1
		.amdhsa_ieee_mode 1
		.amdhsa_fp16_overflow 0
		.amdhsa_workgroup_processor_mode 1
		.amdhsa_memory_ordered 1
		.amdhsa_forward_progress 1
		.amdhsa_shared_vgpr_count 0
		.amdhsa_exception_fp_ieee_invalid_op 0
		.amdhsa_exception_fp_denorm_src 0
		.amdhsa_exception_fp_ieee_div_zero 0
		.amdhsa_exception_fp_ieee_overflow 0
		.amdhsa_exception_fp_ieee_underflow 0
		.amdhsa_exception_fp_ieee_inexact 0
		.amdhsa_exception_int_div_zero 0
	.end_amdhsa_kernel
	.section	.text._ZL13mul_mat_vec_fI6__halffLi7ELi192ELb0ELb0EEvPKT_PKfPKi31ggml_cuda_mm_fusion_args_devicePfi15HIP_vector_typeIjLj3EEiiiSB_iiiSB_iiii,"axG",@progbits,_ZL13mul_mat_vec_fI6__halffLi7ELi192ELb0ELb0EEvPKT_PKfPKi31ggml_cuda_mm_fusion_args_devicePfi15HIP_vector_typeIjLj3EEiiiSB_iiiSB_iiii,comdat
.Lfunc_end253:
	.size	_ZL13mul_mat_vec_fI6__halffLi7ELi192ELb0ELb0EEvPKT_PKfPKi31ggml_cuda_mm_fusion_args_devicePfi15HIP_vector_typeIjLj3EEiiiSB_iiiSB_iiii, .Lfunc_end253-_ZL13mul_mat_vec_fI6__halffLi7ELi192ELb0ELb0EEvPKT_PKfPKi31ggml_cuda_mm_fusion_args_devicePfi15HIP_vector_typeIjLj3EEiiiSB_iiiSB_iiii
                                        ; -- End function
	.set _ZL13mul_mat_vec_fI6__halffLi7ELi192ELb0ELb0EEvPKT_PKfPKi31ggml_cuda_mm_fusion_args_devicePfi15HIP_vector_typeIjLj3EEiiiSB_iiiSB_iiii.num_vgpr, 29
	.set _ZL13mul_mat_vec_fI6__halffLi7ELi192ELb0ELb0EEvPKT_PKfPKi31ggml_cuda_mm_fusion_args_devicePfi15HIP_vector_typeIjLj3EEiiiSB_iiiSB_iiii.num_agpr, 0
	.set _ZL13mul_mat_vec_fI6__halffLi7ELi192ELb0ELb0EEvPKT_PKfPKi31ggml_cuda_mm_fusion_args_devicePfi15HIP_vector_typeIjLj3EEiiiSB_iiiSB_iiii.numbered_sgpr, 36
	.set _ZL13mul_mat_vec_fI6__halffLi7ELi192ELb0ELb0EEvPKT_PKfPKi31ggml_cuda_mm_fusion_args_devicePfi15HIP_vector_typeIjLj3EEiiiSB_iiiSB_iiii.num_named_barrier, 0
	.set _ZL13mul_mat_vec_fI6__halffLi7ELi192ELb0ELb0EEvPKT_PKfPKi31ggml_cuda_mm_fusion_args_devicePfi15HIP_vector_typeIjLj3EEiiiSB_iiiSB_iiii.private_seg_size, 0
	.set _ZL13mul_mat_vec_fI6__halffLi7ELi192ELb0ELb0EEvPKT_PKfPKi31ggml_cuda_mm_fusion_args_devicePfi15HIP_vector_typeIjLj3EEiiiSB_iiiSB_iiii.uses_vcc, 1
	.set _ZL13mul_mat_vec_fI6__halffLi7ELi192ELb0ELb0EEvPKT_PKfPKi31ggml_cuda_mm_fusion_args_devicePfi15HIP_vector_typeIjLj3EEiiiSB_iiiSB_iiii.uses_flat_scratch, 0
	.set _ZL13mul_mat_vec_fI6__halffLi7ELi192ELb0ELb0EEvPKT_PKfPKi31ggml_cuda_mm_fusion_args_devicePfi15HIP_vector_typeIjLj3EEiiiSB_iiiSB_iiii.has_dyn_sized_stack, 0
	.set _ZL13mul_mat_vec_fI6__halffLi7ELi192ELb0ELb0EEvPKT_PKfPKi31ggml_cuda_mm_fusion_args_devicePfi15HIP_vector_typeIjLj3EEiiiSB_iiiSB_iiii.has_recursion, 0
	.set _ZL13mul_mat_vec_fI6__halffLi7ELi192ELb0ELb0EEvPKT_PKfPKi31ggml_cuda_mm_fusion_args_devicePfi15HIP_vector_typeIjLj3EEiiiSB_iiiSB_iiii.has_indirect_call, 0
	.section	.AMDGPU.csdata,"",@progbits
; Kernel info:
; codeLenInByte = 2832
; TotalNumSgprs: 38
; NumVgprs: 29
; ScratchSize: 0
; MemoryBound: 0
; FloatMode: 240
; IeeeMode: 1
; LDSByteSize: 0 bytes/workgroup (compile time only)
; SGPRBlocks: 0
; VGPRBlocks: 3
; NumSGPRsForWavesPerEU: 38
; NumVGPRsForWavesPerEU: 29
; Occupancy: 16
; WaveLimiterHint : 0
; COMPUTE_PGM_RSRC2:SCRATCH_EN: 0
; COMPUTE_PGM_RSRC2:USER_SGPR: 6
; COMPUTE_PGM_RSRC2:TRAP_HANDLER: 0
; COMPUTE_PGM_RSRC2:TGID_X_EN: 1
; COMPUTE_PGM_RSRC2:TGID_Y_EN: 1
; COMPUTE_PGM_RSRC2:TGID_Z_EN: 1
; COMPUTE_PGM_RSRC2:TIDIG_COMP_CNT: 0
	.section	.text._ZL13mul_mat_vec_fI6__halffLi7ELi224ELb0ELb0EEvPKT_PKfPKi31ggml_cuda_mm_fusion_args_devicePfi15HIP_vector_typeIjLj3EEiiiSB_iiiSB_iiii,"axG",@progbits,_ZL13mul_mat_vec_fI6__halffLi7ELi224ELb0ELb0EEvPKT_PKfPKi31ggml_cuda_mm_fusion_args_devicePfi15HIP_vector_typeIjLj3EEiiiSB_iiiSB_iiii,comdat
	.globl	_ZL13mul_mat_vec_fI6__halffLi7ELi224ELb0ELb0EEvPKT_PKfPKi31ggml_cuda_mm_fusion_args_devicePfi15HIP_vector_typeIjLj3EEiiiSB_iiiSB_iiii ; -- Begin function _ZL13mul_mat_vec_fI6__halffLi7ELi224ELb0ELb0EEvPKT_PKfPKi31ggml_cuda_mm_fusion_args_devicePfi15HIP_vector_typeIjLj3EEiiiSB_iiiSB_iiii
	.p2align	8
	.type	_ZL13mul_mat_vec_fI6__halffLi7ELi224ELb0ELb0EEvPKT_PKfPKi31ggml_cuda_mm_fusion_args_devicePfi15HIP_vector_typeIjLj3EEiiiSB_iiiSB_iiii,@function
_ZL13mul_mat_vec_fI6__halffLi7ELi224ELb0ELb0EEvPKT_PKfPKi31ggml_cuda_mm_fusion_args_devicePfi15HIP_vector_typeIjLj3EEiiiSB_iiiSB_iiii: ; @_ZL13mul_mat_vec_fI6__halffLi7ELi224ELb0ELb0EEvPKT_PKfPKi31ggml_cuda_mm_fusion_args_devicePfi15HIP_vector_typeIjLj3EEiiiSB_iiiSB_iiii
; %bb.0:
	s_clause 0x2
	s_load_dwordx2 s[0:1], s[4:5], 0x10
	s_load_dwordx8 s[12:19], s[4:5], 0x40
	s_load_dwordx4 s[20:23], s[4:5], 0x80
	s_waitcnt lgkmcnt(0)
	s_cmp_eq_u64 s[0:1], 0
	s_cselect_b32 s10, -1, 0
	s_cmp_lg_u64 s[0:1], 0
	s_cselect_b32 s11, -1, 0
	s_and_b32 vcc_lo, exec_lo, s10
	s_cbranch_vccnz .LBB254_2
; %bb.1:
	s_mul_i32 s2, s23, s8
	s_mov_b32 s3, 0
	s_add_i32 s2, s2, s7
	s_lshl_b64 s[24:25], s[2:3], 2
	s_add_u32 s0, s0, s24
	s_addc_u32 s1, s1, s25
	s_load_dword s9, s[0:1], 0x0
	s_cbranch_execz .LBB254_3
	s_branch .LBB254_4
.LBB254_2:
                                        ; implicit-def: $sgpr9
.LBB254_3:
	s_load_dwordx2 s[0:1], s[4:5], 0x5c
	s_waitcnt lgkmcnt(0)
	s_mul_hi_u32 s0, s0, s7
	s_add_i32 s0, s7, s0
	s_lshr_b32 s9, s0, s1
.LBB254_4:
	s_load_dwordx4 s[24:27], s[4:5], 0x68
	s_andn2_b32 vcc_lo, exec_lo, s11
	s_mov_b32 s19, s7
	s_cbranch_vccnz .LBB254_6
; %bb.5:
	s_mul_hi_u32 s0, s13, s7
	s_add_i32 s0, s7, s0
	s_lshr_b32 s0, s0, s14
	s_mul_i32 s0, s0, s15
	s_sub_i32 s19, s7, s0
.LBB254_6:
	s_load_dword s14, s[4:5], 0x78
	v_cmp_gt_u32_e32 vcc_lo, 32, v0
	v_lshl_add_u32 v5, v0, 2, 0
	s_and_saveexec_b32 s0, vcc_lo
; %bb.7:
	v_mov_b32_e32 v1, 0
	ds_write_b32 v5, v1
; %bb.8:
	s_or_b32 exec_lo, exec_lo, s0
	v_mov_b32_e32 v6, 0
	v_mov_b32_e32 v7, 0
	;; [unrolled: 1-line block ×7, first 2 shown]
	s_and_b32 s0, exec_lo, s10
	s_mov_b32 s11, 0
	s_cselect_b32 s10, s8, 0
	s_mov_b32 s13, exec_lo
	s_waitcnt lgkmcnt(0)
	s_barrier
	buffer_gl0_inv
	v_cmpx_gt_i32_e64 s12, v0
	s_cbranch_execz .LBB254_12
; %bb.9:
	s_load_dwordx4 s[0:3], s[4:5], 0x0
	s_mul_hi_u32 s15, s27, s10
	s_mul_hi_i32 s29, s21, s10
	s_mul_i32 s28, s21, s10
	s_mul_i32 s8, s9, s24
	s_mul_i32 s24, s16, s6
	s_mul_i32 s30, s19, s25
	s_add_i32 s15, s10, s15
	s_lshl_b64 s[28:29], s[28:29], 2
	s_ashr_i32 s9, s8, 31
	s_ashr_i32 s25, s24, 31
	;; [unrolled: 1-line block ×3, first 2 shown]
	s_lshr_b32 s14, s15, s14
	s_mov_b32 s34, s17
	s_mul_hi_i32 s21, s14, s20
	s_mul_i32 s20, s14, s20
	v_lshlrev_b32_e32 v2, 3, v0
	v_lshlrev_b32_e32 v1, 2, v0
	v_mov_b32_e32 v11, 0
	v_mov_b32_e32 v12, v0
	s_waitcnt lgkmcnt(0)
	s_add_u32 s15, s2, s28
	s_addc_u32 s16, s3, s29
	s_lshl_b64 s[30:31], s[30:31], 2
	v_mov_b32_e32 v13, 0
	s_add_u32 s14, s15, s30
	s_addc_u32 s15, s16, s31
	s_lshl_b64 s[8:9], s[8:9], 1
	s_ashr_i32 s35, s17, 31
	s_add_i32 s16, s17, s17
	s_lshl_b32 s19, s17, 2
	s_lshl_b64 s[20:21], s[20:21], 1
	s_lshl_b64 s[24:25], s[24:25], 1
	s_add_u32 s0, s0, s8
	s_addc_u32 s1, s1, s9
	s_add_u32 s0, s0, s24
	s_addc_u32 s1, s1, s25
	;; [unrolled: 2-line block ×3, first 2 shown]
	s_lshl_b64 s[8:9], s[34:35], 3
	s_add_u32 s2, s2, s30
	s_addc_u32 s3, s3, s31
	s_add_u32 s2, s2, s28
	s_addc_u32 s3, s3, s29
	v_add_co_u32 v3, s2, s2, v2
	v_add_co_ci_u32_e64 v4, null, s3, 0, s2
	v_add_co_u32 v1, s0, s0, v1
	v_add_co_ci_u32_e64 v2, null, s1, 0, s0
	;; [unrolled: 2-line block ×3, first 2 shown]
	v_mov_b32_e32 v10, 0
	v_mov_b32_e32 v9, 0
	v_mov_b32_e32 v8, 0
	v_mov_b32_e32 v7, 0
	v_mov_b32_e32 v6, 0
	s_mul_i32 s1, s17, 3
	s_mul_i32 s2, s17, 5
	s_mul_i32 s3, s17, 6
.LBB254_10:                             ; =>This Inner Loop Header: Depth=1
	v_add_nc_u32_e32 v18, s16, v12
	v_add_nc_u32_e32 v20, s1, v12
	;; [unrolled: 1-line block ×5, first 2 shown]
	v_ashrrev_i32_e32 v19, 31, v18
	v_ashrrev_i32_e32 v21, 31, v20
	;; [unrolled: 1-line block ×5, first 2 shown]
	v_lshlrev_b64 v[18:19], 3, v[18:19]
	v_lshlrev_b64 v[20:21], 3, v[20:21]
	v_add_co_u32 v16, s0, v3, s8
	v_lshlrev_b64 v[22:23], 3, v[22:23]
	v_add_co_ci_u32_e64 v17, null, s9, v4, s0
	v_lshlrev_b64 v[24:25], 3, v[24:25]
	v_add_co_u32 v18, s0, s14, v18
	v_lshlrev_b64 v[26:27], 3, v[26:27]
	v_add_co_ci_u32_e64 v19, null, s15, v19, s0
	v_add_co_u32 v20, s0, s14, v20
	v_add_co_ci_u32_e64 v21, null, s15, v21, s0
	v_add_co_u32 v22, s0, s14, v22
	;; [unrolled: 2-line block ×4, first 2 shown]
	v_add_co_ci_u32_e64 v27, null, s15, v27, s0
	global_load_dword v28, v[1:2], off
	s_clause 0x1
	global_load_dwordx2 v[14:15], v[3:4], off offset:-4
	global_load_dwordx2 v[16:17], v[16:17], off offset:-4
	s_clause 0x4
	global_load_dwordx2 v[18:19], v[18:19], off
	global_load_dwordx2 v[20:21], v[20:21], off
	;; [unrolled: 1-line block ×5, first 2 shown]
	v_add_nc_u32_e32 v12, 0xe0, v12
	v_add_co_u32 v1, s0, 0x380, v1
	v_add_co_ci_u32_e64 v2, null, 0, v2, s0
	v_add_co_u32 v3, s0, 0x700, v3
	v_add_co_ci_u32_e64 v4, null, 0, v4, s0
	v_cmp_le_i32_e64 s0, s12, v12
	s_or_b32 s11, s0, s11
	s_waitcnt vmcnt(4)
	v_fma_mix_f32 v10, v18, v28, v10 op_sel_hi:[0,1,0]
	v_fma_mix_f32 v11, v14, v28, v11 op_sel_hi:[0,1,0]
	;; [unrolled: 1-line block ×3, first 2 shown]
	s_waitcnt vmcnt(3)
	v_fma_mix_f32 v9, v20, v28, v9 op_sel_hi:[0,1,0]
	s_waitcnt vmcnt(2)
	v_fma_mix_f32 v8, v22, v28, v8 op_sel_hi:[0,1,0]
	;; [unrolled: 2-line block ×4, first 2 shown]
	v_fma_mix_f32 v11, v15, v28, v11 op_sel:[0,1,0] op_sel_hi:[0,1,0]
	v_fma_mix_f32 v13, v17, v28, v13 op_sel:[0,1,0] op_sel_hi:[0,1,0]
	;; [unrolled: 1-line block ×7, first 2 shown]
	s_andn2_b32 exec_lo, exec_lo, s11
	s_cbranch_execnz .LBB254_10
; %bb.11:
	s_or_b32 exec_lo, exec_lo, s11
.LBB254_12:
	s_or_b32 exec_lo, exec_lo, s13
	v_mbcnt_lo_u32_b32 v2, -1, 0
	v_xor_b32_e32 v1, 16, v2
	v_xor_b32_e32 v3, 8, v2
	v_cmp_gt_i32_e64 s0, 32, v1
	v_cndmask_b32_e64 v1, v2, v1, s0
	v_cmp_gt_i32_e64 s0, 32, v3
	v_lshlrev_b32_e32 v1, 2, v1
	v_cndmask_b32_e64 v3, v2, v3, s0
	ds_bpermute_b32 v4, v1, v11
	v_lshlrev_b32_e32 v3, 2, v3
	s_waitcnt lgkmcnt(0)
	v_add_f32_e32 v11, v11, v4
	v_xor_b32_e32 v4, 4, v2
	ds_bpermute_b32 v12, v3, v11
	v_cmp_gt_i32_e64 s0, 32, v4
	v_cndmask_b32_e64 v4, v2, v4, s0
	v_lshlrev_b32_e32 v4, 2, v4
	s_waitcnt lgkmcnt(0)
	v_add_f32_e32 v12, v11, v12
	v_xor_b32_e32 v11, 2, v2
	ds_bpermute_b32 v14, v4, v12
	v_cmp_gt_i32_e64 s0, 32, v11
	v_cndmask_b32_e64 v11, v2, v11, s0
	v_lshlrev_b32_e32 v11, 2, v11
	s_waitcnt lgkmcnt(0)
	v_add_f32_e32 v14, v12, v14
	v_xor_b32_e32 v12, 1, v2
	ds_bpermute_b32 v15, v11, v14
	v_cmp_gt_i32_e64 s0, 32, v12
	v_cndmask_b32_e64 v2, v2, v12, s0
	v_lshlrev_b32_e32 v12, 2, v2
	s_waitcnt lgkmcnt(0)
	v_add_f32_e32 v2, v14, v15
	v_lshrrev_b32_e32 v14, 3, v0
	ds_bpermute_b32 v15, v12, v2
	v_and_b32_e32 v14, 0x7c, v14
	v_add_nc_u32_e32 v14, 0, v14
	s_waitcnt lgkmcnt(0)
	v_add_f32_e32 v2, v2, v15
	ds_write_b32 v14, v2
	s_waitcnt lgkmcnt(0)
	s_barrier
	buffer_gl0_inv
	s_and_saveexec_b32 s0, vcc_lo
	s_cbranch_execz .LBB254_14
; %bb.13:
	ds_read_b32 v2, v5
	s_waitcnt lgkmcnt(0)
	ds_bpermute_b32 v15, v1, v2
	s_waitcnt lgkmcnt(0)
	v_add_f32_e32 v2, v2, v15
	ds_bpermute_b32 v15, v3, v2
	s_waitcnt lgkmcnt(0)
	v_add_f32_e32 v2, v2, v15
	ds_bpermute_b32 v15, v4, v2
	s_waitcnt lgkmcnt(0)
	v_add_f32_e32 v2, v2, v15
	ds_bpermute_b32 v15, v11, v2
	s_waitcnt lgkmcnt(0)
	v_add_f32_e32 v2, v2, v15
	ds_bpermute_b32 v15, v12, v2
	s_waitcnt lgkmcnt(0)
	v_add_f32_e32 v2, v2, v15
.LBB254_14:
	s_or_b32 exec_lo, exec_lo, s0
	ds_bpermute_b32 v15, v1, v13
	s_waitcnt lgkmcnt(0)
	s_barrier
	buffer_gl0_inv
	v_add_f32_e32 v13, v13, v15
	ds_bpermute_b32 v15, v3, v13
	s_waitcnt lgkmcnt(0)
	v_add_f32_e32 v13, v13, v15
	ds_bpermute_b32 v15, v4, v13
	s_waitcnt lgkmcnt(0)
	v_add_f32_e32 v13, v13, v15
	ds_bpermute_b32 v15, v11, v13
	s_waitcnt lgkmcnt(0)
	v_add_f32_e32 v13, v13, v15
	ds_bpermute_b32 v15, v12, v13
	s_waitcnt lgkmcnt(0)
	v_add_f32_e32 v13, v13, v15
	ds_write_b32 v14, v13
	s_waitcnt lgkmcnt(0)
	s_barrier
	buffer_gl0_inv
	s_and_saveexec_b32 s0, vcc_lo
	s_cbranch_execz .LBB254_16
; %bb.15:
	ds_read_b32 v13, v5
	s_waitcnt lgkmcnt(0)
	ds_bpermute_b32 v15, v1, v13
	s_waitcnt lgkmcnt(0)
	v_add_f32_e32 v13, v13, v15
	ds_bpermute_b32 v15, v3, v13
	s_waitcnt lgkmcnt(0)
	v_add_f32_e32 v13, v13, v15
	ds_bpermute_b32 v15, v4, v13
	s_waitcnt lgkmcnt(0)
	v_add_f32_e32 v13, v13, v15
	ds_bpermute_b32 v15, v11, v13
	s_waitcnt lgkmcnt(0)
	v_add_f32_e32 v13, v13, v15
	ds_bpermute_b32 v15, v12, v13
	s_waitcnt lgkmcnt(0)
	v_add_f32_e32 v13, v13, v15
.LBB254_16:
	s_or_b32 exec_lo, exec_lo, s0
	ds_bpermute_b32 v15, v1, v10
	s_waitcnt lgkmcnt(0)
	s_barrier
	buffer_gl0_inv
	v_add_f32_e32 v10, v10, v15
	ds_bpermute_b32 v15, v3, v10
	s_waitcnt lgkmcnt(0)
	v_add_f32_e32 v10, v10, v15
	ds_bpermute_b32 v15, v4, v10
	s_waitcnt lgkmcnt(0)
	v_add_f32_e32 v10, v10, v15
	ds_bpermute_b32 v15, v11, v10
	s_waitcnt lgkmcnt(0)
	v_add_f32_e32 v10, v10, v15
	ds_bpermute_b32 v15, v12, v10
	;; [unrolled: 43-line block ×6, first 2 shown]
	s_waitcnt lgkmcnt(0)
	v_add_f32_e32 v6, v6, v15
	ds_write_b32 v14, v6
	s_waitcnt lgkmcnt(0)
	s_barrier
	buffer_gl0_inv
	s_and_saveexec_b32 s0, vcc_lo
	s_cbranch_execz .LBB254_26
; %bb.25:
	ds_read_b32 v5, v5
	s_waitcnt lgkmcnt(0)
	ds_bpermute_b32 v1, v1, v5
	s_waitcnt lgkmcnt(0)
	v_add_f32_e32 v1, v5, v1
	ds_bpermute_b32 v3, v3, v1
	s_waitcnt lgkmcnt(0)
	v_add_f32_e32 v1, v1, v3
	;; [unrolled: 3-line block ×5, first 2 shown]
.LBB254_26:
	s_or_b32 exec_lo, exec_lo, s0
	s_barrier
	buffer_gl0_inv
	s_mov_b32 s0, exec_lo
	v_cmpx_gt_u32_e32 7, v0
	s_cbranch_execz .LBB254_28
; %bb.27:
	v_cmp_eq_u32_e32 vcc_lo, 1, v0
	s_load_dwordx2 s[0:1], s[4:5], 0x38
	s_mul_hi_i32 s3, s22, s10
	s_mul_i32 s2, s22, s10
	s_mul_i32 s4, s26, s7
	v_cndmask_b32_e32 v1, v2, v13, vcc_lo
	v_cmp_eq_u32_e32 vcc_lo, 2, v0
	s_lshl_b64 s[2:3], s[2:3], 2
	s_ashr_i32 s5, s4, 31
	v_cndmask_b32_e32 v3, v1, v10, vcc_lo
	v_cmp_eq_u32_e32 vcc_lo, 3, v0
	v_mad_u64_u32 v[1:2], null, s18, v0, s[6:7]
	v_cndmask_b32_e32 v2, v3, v9, vcc_lo
	v_cmp_eq_u32_e32 vcc_lo, 4, v0
	s_waitcnt lgkmcnt(0)
	s_add_u32 s2, s0, s2
	s_addc_u32 s3, s1, s3
	v_cndmask_b32_e32 v3, v2, v8, vcc_lo
	v_ashrrev_i32_e32 v2, 31, v1
	v_cmp_eq_u32_e32 vcc_lo, 5, v0
	s_lshl_b64 s[0:1], s[4:5], 2
	s_add_u32 s0, s2, s0
	v_lshlrev_b64 v[1:2], 2, v[1:2]
	v_cndmask_b32_e32 v3, v3, v7, vcc_lo
	v_cmp_eq_u32_e32 vcc_lo, 6, v0
	s_addc_u32 s1, s3, s1
	v_cndmask_b32_e32 v3, v3, v6, vcc_lo
	v_add_co_u32 v0, vcc_lo, s0, v1
	v_add_co_ci_u32_e64 v1, null, s1, v2, vcc_lo
	global_store_dword v[0:1], v3, off
.LBB254_28:
	s_endpgm
	.section	.rodata,"a",@progbits
	.p2align	6, 0x0
	.amdhsa_kernel _ZL13mul_mat_vec_fI6__halffLi7ELi224ELb0ELb0EEvPKT_PKfPKi31ggml_cuda_mm_fusion_args_devicePfi15HIP_vector_typeIjLj3EEiiiSB_iiiSB_iiii
		.amdhsa_group_segment_fixed_size 0
		.amdhsa_private_segment_fixed_size 0
		.amdhsa_kernarg_size 144
		.amdhsa_user_sgpr_count 6
		.amdhsa_user_sgpr_private_segment_buffer 1
		.amdhsa_user_sgpr_dispatch_ptr 0
		.amdhsa_user_sgpr_queue_ptr 0
		.amdhsa_user_sgpr_kernarg_segment_ptr 1
		.amdhsa_user_sgpr_dispatch_id 0
		.amdhsa_user_sgpr_flat_scratch_init 0
		.amdhsa_user_sgpr_private_segment_size 0
		.amdhsa_wavefront_size32 1
		.amdhsa_uses_dynamic_stack 0
		.amdhsa_system_sgpr_private_segment_wavefront_offset 0
		.amdhsa_system_sgpr_workgroup_id_x 1
		.amdhsa_system_sgpr_workgroup_id_y 1
		.amdhsa_system_sgpr_workgroup_id_z 1
		.amdhsa_system_sgpr_workgroup_info 0
		.amdhsa_system_vgpr_workitem_id 0
		.amdhsa_next_free_vgpr 29
		.amdhsa_next_free_sgpr 36
		.amdhsa_reserve_vcc 1
		.amdhsa_reserve_flat_scratch 0
		.amdhsa_float_round_mode_32 0
		.amdhsa_float_round_mode_16_64 0
		.amdhsa_float_denorm_mode_32 3
		.amdhsa_float_denorm_mode_16_64 3
		.amdhsa_dx10_clamp 1
		.amdhsa_ieee_mode 1
		.amdhsa_fp16_overflow 0
		.amdhsa_workgroup_processor_mode 1
		.amdhsa_memory_ordered 1
		.amdhsa_forward_progress 1
		.amdhsa_shared_vgpr_count 0
		.amdhsa_exception_fp_ieee_invalid_op 0
		.amdhsa_exception_fp_denorm_src 0
		.amdhsa_exception_fp_ieee_div_zero 0
		.amdhsa_exception_fp_ieee_overflow 0
		.amdhsa_exception_fp_ieee_underflow 0
		.amdhsa_exception_fp_ieee_inexact 0
		.amdhsa_exception_int_div_zero 0
	.end_amdhsa_kernel
	.section	.text._ZL13mul_mat_vec_fI6__halffLi7ELi224ELb0ELb0EEvPKT_PKfPKi31ggml_cuda_mm_fusion_args_devicePfi15HIP_vector_typeIjLj3EEiiiSB_iiiSB_iiii,"axG",@progbits,_ZL13mul_mat_vec_fI6__halffLi7ELi224ELb0ELb0EEvPKT_PKfPKi31ggml_cuda_mm_fusion_args_devicePfi15HIP_vector_typeIjLj3EEiiiSB_iiiSB_iiii,comdat
.Lfunc_end254:
	.size	_ZL13mul_mat_vec_fI6__halffLi7ELi224ELb0ELb0EEvPKT_PKfPKi31ggml_cuda_mm_fusion_args_devicePfi15HIP_vector_typeIjLj3EEiiiSB_iiiSB_iiii, .Lfunc_end254-_ZL13mul_mat_vec_fI6__halffLi7ELi224ELb0ELb0EEvPKT_PKfPKi31ggml_cuda_mm_fusion_args_devicePfi15HIP_vector_typeIjLj3EEiiiSB_iiiSB_iiii
                                        ; -- End function
	.set _ZL13mul_mat_vec_fI6__halffLi7ELi224ELb0ELb0EEvPKT_PKfPKi31ggml_cuda_mm_fusion_args_devicePfi15HIP_vector_typeIjLj3EEiiiSB_iiiSB_iiii.num_vgpr, 29
	.set _ZL13mul_mat_vec_fI6__halffLi7ELi224ELb0ELb0EEvPKT_PKfPKi31ggml_cuda_mm_fusion_args_devicePfi15HIP_vector_typeIjLj3EEiiiSB_iiiSB_iiii.num_agpr, 0
	.set _ZL13mul_mat_vec_fI6__halffLi7ELi224ELb0ELb0EEvPKT_PKfPKi31ggml_cuda_mm_fusion_args_devicePfi15HIP_vector_typeIjLj3EEiiiSB_iiiSB_iiii.numbered_sgpr, 36
	.set _ZL13mul_mat_vec_fI6__halffLi7ELi224ELb0ELb0EEvPKT_PKfPKi31ggml_cuda_mm_fusion_args_devicePfi15HIP_vector_typeIjLj3EEiiiSB_iiiSB_iiii.num_named_barrier, 0
	.set _ZL13mul_mat_vec_fI6__halffLi7ELi224ELb0ELb0EEvPKT_PKfPKi31ggml_cuda_mm_fusion_args_devicePfi15HIP_vector_typeIjLj3EEiiiSB_iiiSB_iiii.private_seg_size, 0
	.set _ZL13mul_mat_vec_fI6__halffLi7ELi224ELb0ELb0EEvPKT_PKfPKi31ggml_cuda_mm_fusion_args_devicePfi15HIP_vector_typeIjLj3EEiiiSB_iiiSB_iiii.uses_vcc, 1
	.set _ZL13mul_mat_vec_fI6__halffLi7ELi224ELb0ELb0EEvPKT_PKfPKi31ggml_cuda_mm_fusion_args_devicePfi15HIP_vector_typeIjLj3EEiiiSB_iiiSB_iiii.uses_flat_scratch, 0
	.set _ZL13mul_mat_vec_fI6__halffLi7ELi224ELb0ELb0EEvPKT_PKfPKi31ggml_cuda_mm_fusion_args_devicePfi15HIP_vector_typeIjLj3EEiiiSB_iiiSB_iiii.has_dyn_sized_stack, 0
	.set _ZL13mul_mat_vec_fI6__halffLi7ELi224ELb0ELb0EEvPKT_PKfPKi31ggml_cuda_mm_fusion_args_devicePfi15HIP_vector_typeIjLj3EEiiiSB_iiiSB_iiii.has_recursion, 0
	.set _ZL13mul_mat_vec_fI6__halffLi7ELi224ELb0ELb0EEvPKT_PKfPKi31ggml_cuda_mm_fusion_args_devicePfi15HIP_vector_typeIjLj3EEiiiSB_iiiSB_iiii.has_indirect_call, 0
	.section	.AMDGPU.csdata,"",@progbits
; Kernel info:
; codeLenInByte = 2832
; TotalNumSgprs: 38
; NumVgprs: 29
; ScratchSize: 0
; MemoryBound: 0
; FloatMode: 240
; IeeeMode: 1
; LDSByteSize: 0 bytes/workgroup (compile time only)
; SGPRBlocks: 0
; VGPRBlocks: 3
; NumSGPRsForWavesPerEU: 38
; NumVGPRsForWavesPerEU: 29
; Occupancy: 16
; WaveLimiterHint : 0
; COMPUTE_PGM_RSRC2:SCRATCH_EN: 0
; COMPUTE_PGM_RSRC2:USER_SGPR: 6
; COMPUTE_PGM_RSRC2:TRAP_HANDLER: 0
; COMPUTE_PGM_RSRC2:TGID_X_EN: 1
; COMPUTE_PGM_RSRC2:TGID_Y_EN: 1
; COMPUTE_PGM_RSRC2:TGID_Z_EN: 1
; COMPUTE_PGM_RSRC2:TIDIG_COMP_CNT: 0
	.section	.text._ZL13mul_mat_vec_fI6__halffLi7ELi256ELb0ELb0EEvPKT_PKfPKi31ggml_cuda_mm_fusion_args_devicePfi15HIP_vector_typeIjLj3EEiiiSB_iiiSB_iiii,"axG",@progbits,_ZL13mul_mat_vec_fI6__halffLi7ELi256ELb0ELb0EEvPKT_PKfPKi31ggml_cuda_mm_fusion_args_devicePfi15HIP_vector_typeIjLj3EEiiiSB_iiiSB_iiii,comdat
	.globl	_ZL13mul_mat_vec_fI6__halffLi7ELi256ELb0ELb0EEvPKT_PKfPKi31ggml_cuda_mm_fusion_args_devicePfi15HIP_vector_typeIjLj3EEiiiSB_iiiSB_iiii ; -- Begin function _ZL13mul_mat_vec_fI6__halffLi7ELi256ELb0ELb0EEvPKT_PKfPKi31ggml_cuda_mm_fusion_args_devicePfi15HIP_vector_typeIjLj3EEiiiSB_iiiSB_iiii
	.p2align	8
	.type	_ZL13mul_mat_vec_fI6__halffLi7ELi256ELb0ELb0EEvPKT_PKfPKi31ggml_cuda_mm_fusion_args_devicePfi15HIP_vector_typeIjLj3EEiiiSB_iiiSB_iiii,@function
_ZL13mul_mat_vec_fI6__halffLi7ELi256ELb0ELb0EEvPKT_PKfPKi31ggml_cuda_mm_fusion_args_devicePfi15HIP_vector_typeIjLj3EEiiiSB_iiiSB_iiii: ; @_ZL13mul_mat_vec_fI6__halffLi7ELi256ELb0ELb0EEvPKT_PKfPKi31ggml_cuda_mm_fusion_args_devicePfi15HIP_vector_typeIjLj3EEiiiSB_iiiSB_iiii
; %bb.0:
	s_clause 0x2
	s_load_dwordx2 s[0:1], s[4:5], 0x10
	s_load_dwordx8 s[12:19], s[4:5], 0x40
	s_load_dwordx4 s[20:23], s[4:5], 0x80
	s_waitcnt lgkmcnt(0)
	s_cmp_eq_u64 s[0:1], 0
	s_cselect_b32 s10, -1, 0
	s_cmp_lg_u64 s[0:1], 0
	s_cselect_b32 s11, -1, 0
	s_and_b32 vcc_lo, exec_lo, s10
	s_cbranch_vccnz .LBB255_2
; %bb.1:
	s_mul_i32 s2, s23, s8
	s_mov_b32 s3, 0
	s_add_i32 s2, s2, s7
	s_lshl_b64 s[24:25], s[2:3], 2
	s_add_u32 s0, s0, s24
	s_addc_u32 s1, s1, s25
	s_load_dword s9, s[0:1], 0x0
	s_cbranch_execz .LBB255_3
	s_branch .LBB255_4
.LBB255_2:
                                        ; implicit-def: $sgpr9
.LBB255_3:
	s_load_dwordx2 s[0:1], s[4:5], 0x5c
	s_waitcnt lgkmcnt(0)
	s_mul_hi_u32 s0, s0, s7
	s_add_i32 s0, s7, s0
	s_lshr_b32 s9, s0, s1
.LBB255_4:
	s_load_dwordx4 s[24:27], s[4:5], 0x68
	s_andn2_b32 vcc_lo, exec_lo, s11
	s_mov_b32 s19, s7
	s_cbranch_vccnz .LBB255_6
; %bb.5:
	s_mul_hi_u32 s0, s13, s7
	s_add_i32 s0, s7, s0
	s_lshr_b32 s0, s0, s14
	s_mul_i32 s0, s0, s15
	s_sub_i32 s19, s7, s0
.LBB255_6:
	s_load_dword s14, s[4:5], 0x78
	v_cmp_gt_u32_e32 vcc_lo, 32, v0
	v_lshl_add_u32 v5, v0, 2, 0
	s_and_saveexec_b32 s0, vcc_lo
; %bb.7:
	v_mov_b32_e32 v1, 0
	ds_write_b32 v5, v1
; %bb.8:
	s_or_b32 exec_lo, exec_lo, s0
	v_mov_b32_e32 v6, 0
	v_mov_b32_e32 v7, 0
	;; [unrolled: 1-line block ×7, first 2 shown]
	s_and_b32 s0, exec_lo, s10
	s_mov_b32 s11, 0
	s_cselect_b32 s10, s8, 0
	s_mov_b32 s13, exec_lo
	s_waitcnt lgkmcnt(0)
	s_barrier
	buffer_gl0_inv
	v_cmpx_gt_i32_e64 s12, v0
	s_cbranch_execz .LBB255_12
; %bb.9:
	s_load_dwordx4 s[0:3], s[4:5], 0x0
	s_mul_hi_u32 s15, s27, s10
	s_mul_hi_i32 s29, s21, s10
	s_mul_i32 s28, s21, s10
	s_mul_i32 s8, s9, s24
	;; [unrolled: 1-line block ×4, first 2 shown]
	s_add_i32 s15, s10, s15
	s_lshl_b64 s[28:29], s[28:29], 2
	s_ashr_i32 s9, s8, 31
	s_ashr_i32 s25, s24, 31
	;; [unrolled: 1-line block ×3, first 2 shown]
	s_lshr_b32 s14, s15, s14
	s_mov_b32 s34, s17
	s_mul_hi_i32 s21, s14, s20
	s_mul_i32 s20, s14, s20
	v_lshlrev_b32_e32 v2, 3, v0
	v_lshlrev_b32_e32 v1, 2, v0
	v_mov_b32_e32 v11, 0
	v_mov_b32_e32 v12, v0
	s_waitcnt lgkmcnt(0)
	s_add_u32 s15, s2, s28
	s_addc_u32 s16, s3, s29
	s_lshl_b64 s[30:31], s[30:31], 2
	v_mov_b32_e32 v13, 0
	s_add_u32 s14, s15, s30
	s_addc_u32 s15, s16, s31
	s_lshl_b64 s[8:9], s[8:9], 1
	s_ashr_i32 s35, s17, 31
	s_add_i32 s16, s17, s17
	s_lshl_b32 s19, s17, 2
	s_lshl_b64 s[20:21], s[20:21], 1
	s_lshl_b64 s[24:25], s[24:25], 1
	s_add_u32 s0, s0, s8
	s_addc_u32 s1, s1, s9
	s_add_u32 s0, s0, s24
	s_addc_u32 s1, s1, s25
	;; [unrolled: 2-line block ×3, first 2 shown]
	s_lshl_b64 s[8:9], s[34:35], 3
	s_add_u32 s2, s2, s30
	s_addc_u32 s3, s3, s31
	s_add_u32 s2, s2, s28
	s_addc_u32 s3, s3, s29
	v_add_co_u32 v3, s2, s2, v2
	v_add_co_ci_u32_e64 v4, null, s3, 0, s2
	v_add_co_u32 v1, s0, s0, v1
	v_add_co_ci_u32_e64 v2, null, s1, 0, s0
	;; [unrolled: 2-line block ×3, first 2 shown]
	v_mov_b32_e32 v10, 0
	v_mov_b32_e32 v9, 0
	;; [unrolled: 1-line block ×5, first 2 shown]
	s_mul_i32 s1, s17, 3
	s_mul_i32 s2, s17, 5
	;; [unrolled: 1-line block ×3, first 2 shown]
.LBB255_10:                             ; =>This Inner Loop Header: Depth=1
	v_add_nc_u32_e32 v18, s16, v12
	v_add_nc_u32_e32 v20, s1, v12
	;; [unrolled: 1-line block ×5, first 2 shown]
	v_ashrrev_i32_e32 v19, 31, v18
	v_ashrrev_i32_e32 v21, 31, v20
	;; [unrolled: 1-line block ×5, first 2 shown]
	v_lshlrev_b64 v[18:19], 3, v[18:19]
	v_lshlrev_b64 v[20:21], 3, v[20:21]
	v_add_co_u32 v16, s0, v3, s8
	v_lshlrev_b64 v[22:23], 3, v[22:23]
	v_add_co_ci_u32_e64 v17, null, s9, v4, s0
	v_lshlrev_b64 v[24:25], 3, v[24:25]
	v_add_co_u32 v18, s0, s14, v18
	v_lshlrev_b64 v[26:27], 3, v[26:27]
	v_add_co_ci_u32_e64 v19, null, s15, v19, s0
	v_add_co_u32 v20, s0, s14, v20
	v_add_co_ci_u32_e64 v21, null, s15, v21, s0
	v_add_co_u32 v22, s0, s14, v22
	;; [unrolled: 2-line block ×4, first 2 shown]
	v_add_co_ci_u32_e64 v27, null, s15, v27, s0
	global_load_dword v28, v[1:2], off
	s_clause 0x1
	global_load_dwordx2 v[14:15], v[3:4], off offset:-4
	global_load_dwordx2 v[16:17], v[16:17], off offset:-4
	s_clause 0x4
	global_load_dwordx2 v[18:19], v[18:19], off
	global_load_dwordx2 v[20:21], v[20:21], off
	;; [unrolled: 1-line block ×5, first 2 shown]
	v_add_nc_u32_e32 v12, 0x100, v12
	v_add_co_u32 v1, s0, 0x400, v1
	v_add_co_ci_u32_e64 v2, null, 0, v2, s0
	v_add_co_u32 v3, s0, 0x800, v3
	v_add_co_ci_u32_e64 v4, null, 0, v4, s0
	v_cmp_le_i32_e64 s0, s12, v12
	s_or_b32 s11, s0, s11
	s_waitcnt vmcnt(4)
	v_fma_mix_f32 v10, v18, v28, v10 op_sel_hi:[0,1,0]
	v_fma_mix_f32 v11, v14, v28, v11 op_sel_hi:[0,1,0]
	;; [unrolled: 1-line block ×3, first 2 shown]
	s_waitcnt vmcnt(3)
	v_fma_mix_f32 v9, v20, v28, v9 op_sel_hi:[0,1,0]
	s_waitcnt vmcnt(2)
	v_fma_mix_f32 v8, v22, v28, v8 op_sel_hi:[0,1,0]
	;; [unrolled: 2-line block ×4, first 2 shown]
	v_fma_mix_f32 v11, v15, v28, v11 op_sel:[0,1,0] op_sel_hi:[0,1,0]
	v_fma_mix_f32 v13, v17, v28, v13 op_sel:[0,1,0] op_sel_hi:[0,1,0]
	;; [unrolled: 1-line block ×7, first 2 shown]
	s_andn2_b32 exec_lo, exec_lo, s11
	s_cbranch_execnz .LBB255_10
; %bb.11:
	s_or_b32 exec_lo, exec_lo, s11
.LBB255_12:
	s_or_b32 exec_lo, exec_lo, s13
	v_mbcnt_lo_u32_b32 v2, -1, 0
	v_xor_b32_e32 v1, 16, v2
	v_xor_b32_e32 v3, 8, v2
	v_cmp_gt_i32_e64 s0, 32, v1
	v_cndmask_b32_e64 v1, v2, v1, s0
	v_cmp_gt_i32_e64 s0, 32, v3
	v_lshlrev_b32_e32 v1, 2, v1
	v_cndmask_b32_e64 v3, v2, v3, s0
	ds_bpermute_b32 v4, v1, v11
	v_lshlrev_b32_e32 v3, 2, v3
	s_waitcnt lgkmcnt(0)
	v_add_f32_e32 v11, v11, v4
	v_xor_b32_e32 v4, 4, v2
	ds_bpermute_b32 v12, v3, v11
	v_cmp_gt_i32_e64 s0, 32, v4
	v_cndmask_b32_e64 v4, v2, v4, s0
	v_lshlrev_b32_e32 v4, 2, v4
	s_waitcnt lgkmcnt(0)
	v_add_f32_e32 v12, v11, v12
	v_xor_b32_e32 v11, 2, v2
	ds_bpermute_b32 v14, v4, v12
	v_cmp_gt_i32_e64 s0, 32, v11
	v_cndmask_b32_e64 v11, v2, v11, s0
	;; [unrolled: 7-line block ×3, first 2 shown]
	v_lshlrev_b32_e32 v12, 2, v2
	s_waitcnt lgkmcnt(0)
	v_add_f32_e32 v2, v14, v15
	v_lshrrev_b32_e32 v14, 3, v0
	ds_bpermute_b32 v15, v12, v2
	v_and_b32_e32 v14, 0x7c, v14
	v_add_nc_u32_e32 v14, 0, v14
	s_waitcnt lgkmcnt(0)
	v_add_f32_e32 v2, v2, v15
	ds_write_b32 v14, v2
	s_waitcnt lgkmcnt(0)
	s_barrier
	buffer_gl0_inv
	s_and_saveexec_b32 s0, vcc_lo
	s_cbranch_execz .LBB255_14
; %bb.13:
	ds_read_b32 v2, v5
	s_waitcnt lgkmcnt(0)
	ds_bpermute_b32 v15, v1, v2
	s_waitcnt lgkmcnt(0)
	v_add_f32_e32 v2, v2, v15
	ds_bpermute_b32 v15, v3, v2
	s_waitcnt lgkmcnt(0)
	v_add_f32_e32 v2, v2, v15
	ds_bpermute_b32 v15, v4, v2
	s_waitcnt lgkmcnt(0)
	v_add_f32_e32 v2, v2, v15
	ds_bpermute_b32 v15, v11, v2
	s_waitcnt lgkmcnt(0)
	v_add_f32_e32 v2, v2, v15
	ds_bpermute_b32 v15, v12, v2
	s_waitcnt lgkmcnt(0)
	v_add_f32_e32 v2, v2, v15
.LBB255_14:
	s_or_b32 exec_lo, exec_lo, s0
	ds_bpermute_b32 v15, v1, v13
	s_waitcnt lgkmcnt(0)
	s_barrier
	buffer_gl0_inv
	v_add_f32_e32 v13, v13, v15
	ds_bpermute_b32 v15, v3, v13
	s_waitcnt lgkmcnt(0)
	v_add_f32_e32 v13, v13, v15
	ds_bpermute_b32 v15, v4, v13
	s_waitcnt lgkmcnt(0)
	v_add_f32_e32 v13, v13, v15
	ds_bpermute_b32 v15, v11, v13
	s_waitcnt lgkmcnt(0)
	v_add_f32_e32 v13, v13, v15
	ds_bpermute_b32 v15, v12, v13
	s_waitcnt lgkmcnt(0)
	v_add_f32_e32 v13, v13, v15
	ds_write_b32 v14, v13
	s_waitcnt lgkmcnt(0)
	s_barrier
	buffer_gl0_inv
	s_and_saveexec_b32 s0, vcc_lo
	s_cbranch_execz .LBB255_16
; %bb.15:
	ds_read_b32 v13, v5
	s_waitcnt lgkmcnt(0)
	ds_bpermute_b32 v15, v1, v13
	s_waitcnt lgkmcnt(0)
	v_add_f32_e32 v13, v13, v15
	ds_bpermute_b32 v15, v3, v13
	s_waitcnt lgkmcnt(0)
	v_add_f32_e32 v13, v13, v15
	ds_bpermute_b32 v15, v4, v13
	s_waitcnt lgkmcnt(0)
	v_add_f32_e32 v13, v13, v15
	ds_bpermute_b32 v15, v11, v13
	s_waitcnt lgkmcnt(0)
	v_add_f32_e32 v13, v13, v15
	ds_bpermute_b32 v15, v12, v13
	s_waitcnt lgkmcnt(0)
	v_add_f32_e32 v13, v13, v15
.LBB255_16:
	s_or_b32 exec_lo, exec_lo, s0
	ds_bpermute_b32 v15, v1, v10
	s_waitcnt lgkmcnt(0)
	s_barrier
	buffer_gl0_inv
	v_add_f32_e32 v10, v10, v15
	ds_bpermute_b32 v15, v3, v10
	s_waitcnt lgkmcnt(0)
	v_add_f32_e32 v10, v10, v15
	ds_bpermute_b32 v15, v4, v10
	s_waitcnt lgkmcnt(0)
	v_add_f32_e32 v10, v10, v15
	ds_bpermute_b32 v15, v11, v10
	s_waitcnt lgkmcnt(0)
	v_add_f32_e32 v10, v10, v15
	ds_bpermute_b32 v15, v12, v10
	s_waitcnt lgkmcnt(0)
	v_add_f32_e32 v10, v10, v15
	ds_write_b32 v14, v10
	s_waitcnt lgkmcnt(0)
	s_barrier
	buffer_gl0_inv
	s_and_saveexec_b32 s0, vcc_lo
	s_cbranch_execz .LBB255_18
; %bb.17:
	ds_read_b32 v10, v5
	s_waitcnt lgkmcnt(0)
	ds_bpermute_b32 v15, v1, v10
	s_waitcnt lgkmcnt(0)
	v_add_f32_e32 v10, v10, v15
	ds_bpermute_b32 v15, v3, v10
	s_waitcnt lgkmcnt(0)
	v_add_f32_e32 v10, v10, v15
	ds_bpermute_b32 v15, v4, v10
	s_waitcnt lgkmcnt(0)
	v_add_f32_e32 v10, v10, v15
	ds_bpermute_b32 v15, v11, v10
	s_waitcnt lgkmcnt(0)
	v_add_f32_e32 v10, v10, v15
	ds_bpermute_b32 v15, v12, v10
	s_waitcnt lgkmcnt(0)
	v_add_f32_e32 v10, v10, v15
.LBB255_18:
	s_or_b32 exec_lo, exec_lo, s0
	ds_bpermute_b32 v15, v1, v9
	s_waitcnt lgkmcnt(0)
	s_barrier
	buffer_gl0_inv
	v_add_f32_e32 v9, v9, v15
	ds_bpermute_b32 v15, v3, v9
	s_waitcnt lgkmcnt(0)
	v_add_f32_e32 v9, v9, v15
	ds_bpermute_b32 v15, v4, v9
	s_waitcnt lgkmcnt(0)
	v_add_f32_e32 v9, v9, v15
	ds_bpermute_b32 v15, v11, v9
	s_waitcnt lgkmcnt(0)
	v_add_f32_e32 v9, v9, v15
	ds_bpermute_b32 v15, v12, v9
	s_waitcnt lgkmcnt(0)
	v_add_f32_e32 v9, v9, v15
	ds_write_b32 v14, v9
	s_waitcnt lgkmcnt(0)
	s_barrier
	buffer_gl0_inv
	s_and_saveexec_b32 s0, vcc_lo
	s_cbranch_execz .LBB255_20
; %bb.19:
	ds_read_b32 v9, v5
	s_waitcnt lgkmcnt(0)
	ds_bpermute_b32 v15, v1, v9
	s_waitcnt lgkmcnt(0)
	v_add_f32_e32 v9, v9, v15
	ds_bpermute_b32 v15, v3, v9
	s_waitcnt lgkmcnt(0)
	v_add_f32_e32 v9, v9, v15
	ds_bpermute_b32 v15, v4, v9
	s_waitcnt lgkmcnt(0)
	v_add_f32_e32 v9, v9, v15
	ds_bpermute_b32 v15, v11, v9
	s_waitcnt lgkmcnt(0)
	v_add_f32_e32 v9, v9, v15
	ds_bpermute_b32 v15, v12, v9
	s_waitcnt lgkmcnt(0)
	v_add_f32_e32 v9, v9, v15
.LBB255_20:
	s_or_b32 exec_lo, exec_lo, s0
	ds_bpermute_b32 v15, v1, v8
	s_waitcnt lgkmcnt(0)
	s_barrier
	buffer_gl0_inv
	v_add_f32_e32 v8, v8, v15
	ds_bpermute_b32 v15, v3, v8
	s_waitcnt lgkmcnt(0)
	v_add_f32_e32 v8, v8, v15
	ds_bpermute_b32 v15, v4, v8
	s_waitcnt lgkmcnt(0)
	v_add_f32_e32 v8, v8, v15
	ds_bpermute_b32 v15, v11, v8
	s_waitcnt lgkmcnt(0)
	v_add_f32_e32 v8, v8, v15
	ds_bpermute_b32 v15, v12, v8
	s_waitcnt lgkmcnt(0)
	v_add_f32_e32 v8, v8, v15
	ds_write_b32 v14, v8
	s_waitcnt lgkmcnt(0)
	s_barrier
	buffer_gl0_inv
	s_and_saveexec_b32 s0, vcc_lo
	s_cbranch_execz .LBB255_22
; %bb.21:
	ds_read_b32 v8, v5
	s_waitcnt lgkmcnt(0)
	ds_bpermute_b32 v15, v1, v8
	s_waitcnt lgkmcnt(0)
	v_add_f32_e32 v8, v8, v15
	ds_bpermute_b32 v15, v3, v8
	s_waitcnt lgkmcnt(0)
	v_add_f32_e32 v8, v8, v15
	ds_bpermute_b32 v15, v4, v8
	s_waitcnt lgkmcnt(0)
	v_add_f32_e32 v8, v8, v15
	ds_bpermute_b32 v15, v11, v8
	s_waitcnt lgkmcnt(0)
	v_add_f32_e32 v8, v8, v15
	ds_bpermute_b32 v15, v12, v8
	s_waitcnt lgkmcnt(0)
	v_add_f32_e32 v8, v8, v15
.LBB255_22:
	s_or_b32 exec_lo, exec_lo, s0
	ds_bpermute_b32 v15, v1, v7
	s_waitcnt lgkmcnt(0)
	s_barrier
	buffer_gl0_inv
	v_add_f32_e32 v7, v7, v15
	ds_bpermute_b32 v15, v3, v7
	s_waitcnt lgkmcnt(0)
	v_add_f32_e32 v7, v7, v15
	ds_bpermute_b32 v15, v4, v7
	s_waitcnt lgkmcnt(0)
	v_add_f32_e32 v7, v7, v15
	ds_bpermute_b32 v15, v11, v7
	s_waitcnt lgkmcnt(0)
	v_add_f32_e32 v7, v7, v15
	ds_bpermute_b32 v15, v12, v7
	s_waitcnt lgkmcnt(0)
	v_add_f32_e32 v7, v7, v15
	ds_write_b32 v14, v7
	s_waitcnt lgkmcnt(0)
	s_barrier
	buffer_gl0_inv
	s_and_saveexec_b32 s0, vcc_lo
	s_cbranch_execz .LBB255_24
; %bb.23:
	ds_read_b32 v7, v5
	s_waitcnt lgkmcnt(0)
	ds_bpermute_b32 v15, v1, v7
	s_waitcnt lgkmcnt(0)
	v_add_f32_e32 v7, v7, v15
	ds_bpermute_b32 v15, v3, v7
	s_waitcnt lgkmcnt(0)
	v_add_f32_e32 v7, v7, v15
	ds_bpermute_b32 v15, v4, v7
	s_waitcnt lgkmcnt(0)
	v_add_f32_e32 v7, v7, v15
	ds_bpermute_b32 v15, v11, v7
	s_waitcnt lgkmcnt(0)
	v_add_f32_e32 v7, v7, v15
	ds_bpermute_b32 v15, v12, v7
	s_waitcnt lgkmcnt(0)
	v_add_f32_e32 v7, v7, v15
.LBB255_24:
	s_or_b32 exec_lo, exec_lo, s0
	ds_bpermute_b32 v15, v1, v6
	s_waitcnt lgkmcnt(0)
	s_barrier
	buffer_gl0_inv
	v_add_f32_e32 v6, v6, v15
	ds_bpermute_b32 v15, v3, v6
	s_waitcnt lgkmcnt(0)
	v_add_f32_e32 v6, v6, v15
	ds_bpermute_b32 v15, v4, v6
	s_waitcnt lgkmcnt(0)
	v_add_f32_e32 v6, v6, v15
	ds_bpermute_b32 v15, v11, v6
	s_waitcnt lgkmcnt(0)
	v_add_f32_e32 v6, v6, v15
	ds_bpermute_b32 v15, v12, v6
	s_waitcnt lgkmcnt(0)
	v_add_f32_e32 v6, v6, v15
	ds_write_b32 v14, v6
	s_waitcnt lgkmcnt(0)
	s_barrier
	buffer_gl0_inv
	s_and_saveexec_b32 s0, vcc_lo
	s_cbranch_execz .LBB255_26
; %bb.25:
	ds_read_b32 v5, v5
	s_waitcnt lgkmcnt(0)
	ds_bpermute_b32 v1, v1, v5
	s_waitcnt lgkmcnt(0)
	v_add_f32_e32 v1, v5, v1
	ds_bpermute_b32 v3, v3, v1
	s_waitcnt lgkmcnt(0)
	v_add_f32_e32 v1, v1, v3
	;; [unrolled: 3-line block ×5, first 2 shown]
.LBB255_26:
	s_or_b32 exec_lo, exec_lo, s0
	s_barrier
	buffer_gl0_inv
	s_mov_b32 s0, exec_lo
	v_cmpx_gt_u32_e32 7, v0
	s_cbranch_execz .LBB255_28
; %bb.27:
	v_cmp_eq_u32_e32 vcc_lo, 1, v0
	s_load_dwordx2 s[0:1], s[4:5], 0x38
	s_mul_hi_i32 s3, s22, s10
	s_mul_i32 s2, s22, s10
	s_mul_i32 s4, s26, s7
	v_cndmask_b32_e32 v1, v2, v13, vcc_lo
	v_cmp_eq_u32_e32 vcc_lo, 2, v0
	s_lshl_b64 s[2:3], s[2:3], 2
	s_ashr_i32 s5, s4, 31
	v_cndmask_b32_e32 v3, v1, v10, vcc_lo
	v_cmp_eq_u32_e32 vcc_lo, 3, v0
	v_mad_u64_u32 v[1:2], null, s18, v0, s[6:7]
	v_cndmask_b32_e32 v2, v3, v9, vcc_lo
	v_cmp_eq_u32_e32 vcc_lo, 4, v0
	s_waitcnt lgkmcnt(0)
	s_add_u32 s2, s0, s2
	s_addc_u32 s3, s1, s3
	v_cndmask_b32_e32 v3, v2, v8, vcc_lo
	v_ashrrev_i32_e32 v2, 31, v1
	v_cmp_eq_u32_e32 vcc_lo, 5, v0
	s_lshl_b64 s[0:1], s[4:5], 2
	s_add_u32 s0, s2, s0
	v_lshlrev_b64 v[1:2], 2, v[1:2]
	v_cndmask_b32_e32 v3, v3, v7, vcc_lo
	v_cmp_eq_u32_e32 vcc_lo, 6, v0
	s_addc_u32 s1, s3, s1
	v_cndmask_b32_e32 v3, v3, v6, vcc_lo
	v_add_co_u32 v0, vcc_lo, s0, v1
	v_add_co_ci_u32_e64 v1, null, s1, v2, vcc_lo
	global_store_dword v[0:1], v3, off
.LBB255_28:
	s_endpgm
	.section	.rodata,"a",@progbits
	.p2align	6, 0x0
	.amdhsa_kernel _ZL13mul_mat_vec_fI6__halffLi7ELi256ELb0ELb0EEvPKT_PKfPKi31ggml_cuda_mm_fusion_args_devicePfi15HIP_vector_typeIjLj3EEiiiSB_iiiSB_iiii
		.amdhsa_group_segment_fixed_size 0
		.amdhsa_private_segment_fixed_size 0
		.amdhsa_kernarg_size 144
		.amdhsa_user_sgpr_count 6
		.amdhsa_user_sgpr_private_segment_buffer 1
		.amdhsa_user_sgpr_dispatch_ptr 0
		.amdhsa_user_sgpr_queue_ptr 0
		.amdhsa_user_sgpr_kernarg_segment_ptr 1
		.amdhsa_user_sgpr_dispatch_id 0
		.amdhsa_user_sgpr_flat_scratch_init 0
		.amdhsa_user_sgpr_private_segment_size 0
		.amdhsa_wavefront_size32 1
		.amdhsa_uses_dynamic_stack 0
		.amdhsa_system_sgpr_private_segment_wavefront_offset 0
		.amdhsa_system_sgpr_workgroup_id_x 1
		.amdhsa_system_sgpr_workgroup_id_y 1
		.amdhsa_system_sgpr_workgroup_id_z 1
		.amdhsa_system_sgpr_workgroup_info 0
		.amdhsa_system_vgpr_workitem_id 0
		.amdhsa_next_free_vgpr 29
		.amdhsa_next_free_sgpr 36
		.amdhsa_reserve_vcc 1
		.amdhsa_reserve_flat_scratch 0
		.amdhsa_float_round_mode_32 0
		.amdhsa_float_round_mode_16_64 0
		.amdhsa_float_denorm_mode_32 3
		.amdhsa_float_denorm_mode_16_64 3
		.amdhsa_dx10_clamp 1
		.amdhsa_ieee_mode 1
		.amdhsa_fp16_overflow 0
		.amdhsa_workgroup_processor_mode 1
		.amdhsa_memory_ordered 1
		.amdhsa_forward_progress 1
		.amdhsa_shared_vgpr_count 0
		.amdhsa_exception_fp_ieee_invalid_op 0
		.amdhsa_exception_fp_denorm_src 0
		.amdhsa_exception_fp_ieee_div_zero 0
		.amdhsa_exception_fp_ieee_overflow 0
		.amdhsa_exception_fp_ieee_underflow 0
		.amdhsa_exception_fp_ieee_inexact 0
		.amdhsa_exception_int_div_zero 0
	.end_amdhsa_kernel
	.section	.text._ZL13mul_mat_vec_fI6__halffLi7ELi256ELb0ELb0EEvPKT_PKfPKi31ggml_cuda_mm_fusion_args_devicePfi15HIP_vector_typeIjLj3EEiiiSB_iiiSB_iiii,"axG",@progbits,_ZL13mul_mat_vec_fI6__halffLi7ELi256ELb0ELb0EEvPKT_PKfPKi31ggml_cuda_mm_fusion_args_devicePfi15HIP_vector_typeIjLj3EEiiiSB_iiiSB_iiii,comdat
.Lfunc_end255:
	.size	_ZL13mul_mat_vec_fI6__halffLi7ELi256ELb0ELb0EEvPKT_PKfPKi31ggml_cuda_mm_fusion_args_devicePfi15HIP_vector_typeIjLj3EEiiiSB_iiiSB_iiii, .Lfunc_end255-_ZL13mul_mat_vec_fI6__halffLi7ELi256ELb0ELb0EEvPKT_PKfPKi31ggml_cuda_mm_fusion_args_devicePfi15HIP_vector_typeIjLj3EEiiiSB_iiiSB_iiii
                                        ; -- End function
	.set _ZL13mul_mat_vec_fI6__halffLi7ELi256ELb0ELb0EEvPKT_PKfPKi31ggml_cuda_mm_fusion_args_devicePfi15HIP_vector_typeIjLj3EEiiiSB_iiiSB_iiii.num_vgpr, 29
	.set _ZL13mul_mat_vec_fI6__halffLi7ELi256ELb0ELb0EEvPKT_PKfPKi31ggml_cuda_mm_fusion_args_devicePfi15HIP_vector_typeIjLj3EEiiiSB_iiiSB_iiii.num_agpr, 0
	.set _ZL13mul_mat_vec_fI6__halffLi7ELi256ELb0ELb0EEvPKT_PKfPKi31ggml_cuda_mm_fusion_args_devicePfi15HIP_vector_typeIjLj3EEiiiSB_iiiSB_iiii.numbered_sgpr, 36
	.set _ZL13mul_mat_vec_fI6__halffLi7ELi256ELb0ELb0EEvPKT_PKfPKi31ggml_cuda_mm_fusion_args_devicePfi15HIP_vector_typeIjLj3EEiiiSB_iiiSB_iiii.num_named_barrier, 0
	.set _ZL13mul_mat_vec_fI6__halffLi7ELi256ELb0ELb0EEvPKT_PKfPKi31ggml_cuda_mm_fusion_args_devicePfi15HIP_vector_typeIjLj3EEiiiSB_iiiSB_iiii.private_seg_size, 0
	.set _ZL13mul_mat_vec_fI6__halffLi7ELi256ELb0ELb0EEvPKT_PKfPKi31ggml_cuda_mm_fusion_args_devicePfi15HIP_vector_typeIjLj3EEiiiSB_iiiSB_iiii.uses_vcc, 1
	.set _ZL13mul_mat_vec_fI6__halffLi7ELi256ELb0ELb0EEvPKT_PKfPKi31ggml_cuda_mm_fusion_args_devicePfi15HIP_vector_typeIjLj3EEiiiSB_iiiSB_iiii.uses_flat_scratch, 0
	.set _ZL13mul_mat_vec_fI6__halffLi7ELi256ELb0ELb0EEvPKT_PKfPKi31ggml_cuda_mm_fusion_args_devicePfi15HIP_vector_typeIjLj3EEiiiSB_iiiSB_iiii.has_dyn_sized_stack, 0
	.set _ZL13mul_mat_vec_fI6__halffLi7ELi256ELb0ELb0EEvPKT_PKfPKi31ggml_cuda_mm_fusion_args_devicePfi15HIP_vector_typeIjLj3EEiiiSB_iiiSB_iiii.has_recursion, 0
	.set _ZL13mul_mat_vec_fI6__halffLi7ELi256ELb0ELb0EEvPKT_PKfPKi31ggml_cuda_mm_fusion_args_devicePfi15HIP_vector_typeIjLj3EEiiiSB_iiiSB_iiii.has_indirect_call, 0
	.section	.AMDGPU.csdata,"",@progbits
; Kernel info:
; codeLenInByte = 2832
; TotalNumSgprs: 38
; NumVgprs: 29
; ScratchSize: 0
; MemoryBound: 0
; FloatMode: 240
; IeeeMode: 1
; LDSByteSize: 0 bytes/workgroup (compile time only)
; SGPRBlocks: 0
; VGPRBlocks: 3
; NumSGPRsForWavesPerEU: 38
; NumVGPRsForWavesPerEU: 29
; Occupancy: 16
; WaveLimiterHint : 0
; COMPUTE_PGM_RSRC2:SCRATCH_EN: 0
; COMPUTE_PGM_RSRC2:USER_SGPR: 6
; COMPUTE_PGM_RSRC2:TRAP_HANDLER: 0
; COMPUTE_PGM_RSRC2:TGID_X_EN: 1
; COMPUTE_PGM_RSRC2:TGID_Y_EN: 1
; COMPUTE_PGM_RSRC2:TGID_Z_EN: 1
; COMPUTE_PGM_RSRC2:TIDIG_COMP_CNT: 0
	.section	.text._ZL13mul_mat_vec_fI6__halffLi8ELi32ELb0ELb0EEvPKT_PKfPKi31ggml_cuda_mm_fusion_args_devicePfi15HIP_vector_typeIjLj3EEiiiSB_iiiSB_iiii,"axG",@progbits,_ZL13mul_mat_vec_fI6__halffLi8ELi32ELb0ELb0EEvPKT_PKfPKi31ggml_cuda_mm_fusion_args_devicePfi15HIP_vector_typeIjLj3EEiiiSB_iiiSB_iiii,comdat
	.globl	_ZL13mul_mat_vec_fI6__halffLi8ELi32ELb0ELb0EEvPKT_PKfPKi31ggml_cuda_mm_fusion_args_devicePfi15HIP_vector_typeIjLj3EEiiiSB_iiiSB_iiii ; -- Begin function _ZL13mul_mat_vec_fI6__halffLi8ELi32ELb0ELb0EEvPKT_PKfPKi31ggml_cuda_mm_fusion_args_devicePfi15HIP_vector_typeIjLj3EEiiiSB_iiiSB_iiii
	.p2align	8
	.type	_ZL13mul_mat_vec_fI6__halffLi8ELi32ELb0ELb0EEvPKT_PKfPKi31ggml_cuda_mm_fusion_args_devicePfi15HIP_vector_typeIjLj3EEiiiSB_iiiSB_iiii,@function
_ZL13mul_mat_vec_fI6__halffLi8ELi32ELb0ELb0EEvPKT_PKfPKi31ggml_cuda_mm_fusion_args_devicePfi15HIP_vector_typeIjLj3EEiiiSB_iiiSB_iiii: ; @_ZL13mul_mat_vec_fI6__halffLi8ELi32ELb0ELb0EEvPKT_PKfPKi31ggml_cuda_mm_fusion_args_devicePfi15HIP_vector_typeIjLj3EEiiiSB_iiiSB_iiii
; %bb.0:
	s_clause 0x2
	s_load_dwordx2 s[20:21], s[4:5], 0x10
	s_load_dwordx8 s[12:19], s[4:5], 0x40
	s_load_dwordx4 s[0:3], s[4:5], 0x80
	s_waitcnt lgkmcnt(0)
	s_cmp_eq_u64 s[20:21], 0
	s_cselect_b32 s9, -1, 0
	s_cmp_lg_u64 s[20:21], 0
	s_cselect_b32 s25, -1, 0
	s_and_b32 vcc_lo, exec_lo, s9
	s_cbranch_vccnz .LBB256_2
; %bb.1:
	s_mul_i32 s3, s3, s8
	s_mov_b32 s11, 0
	s_add_i32 s10, s3, s7
	s_lshl_b64 s[22:23], s[10:11], 2
	s_add_u32 s20, s20, s22
	s_addc_u32 s21, s21, s23
	s_load_dword s24, s[20:21], 0x0
	s_load_dwordx4 s[20:23], s[4:5], 0x68
	s_cbranch_execz .LBB256_3
	s_branch .LBB256_4
.LBB256_2:
                                        ; implicit-def: $sgpr24
	s_load_dwordx4 s[20:23], s[4:5], 0x68
.LBB256_3:
	s_load_dwordx2 s[10:11], s[4:5], 0x5c
	s_waitcnt lgkmcnt(0)
	s_mul_hi_u32 s3, s10, s7
	s_add_i32 s3, s7, s3
	s_lshr_b32 s24, s3, s11
.LBB256_4:
	s_load_dword s19, s[4:5], 0x78
	s_andn2_b32 vcc_lo, exec_lo, s25
	s_mov_b32 s25, s7
	s_cbranch_vccnz .LBB256_6
; %bb.5:
	s_mul_hi_u32 s3, s13, s7
	s_add_i32 s3, s7, s3
	s_lshr_b32 s3, s3, s14
	s_mul_i32 s3, s3, s15
	s_sub_i32 s25, s7, s3
.LBB256_6:
	v_mov_b32_e32 v6, 0
	v_mov_b32_e32 v7, 0
	;; [unrolled: 1-line block ×8, first 2 shown]
	s_and_b32 s3, exec_lo, s9
	s_mov_b32 s14, 0
	s_cselect_b32 s3, s8, 0
	s_mov_b32 s13, exec_lo
	v_cmpx_gt_i32_e64 s12, v0
	s_cbranch_execz .LBB256_10
; %bb.7:
	s_load_dwordx4 s[8:11], s[4:5], 0x0
	s_waitcnt lgkmcnt(0)
	s_mul_hi_u32 s23, s23, s3
	s_mul_hi_i32 s29, s1, s3
	s_mul_i32 s28, s1, s3
	s_mul_i32 s24, s24, s20
	;; [unrolled: 1-line block ×4, first 2 shown]
	s_add_i32 s1, s3, s23
	s_lshl_b64 s[28:29], s[28:29], 2
	s_ashr_i32 s25, s24, 31
	s_ashr_i32 s27, s26, 31
	;; [unrolled: 1-line block ×3, first 2 shown]
	s_lshr_b32 s16, s1, s19
	s_mov_b32 s30, s17
	s_mul_hi_i32 s1, s16, s0
	s_mul_i32 s0, s16, s0
	v_lshlrev_b32_e32 v2, 3, v0
	v_lshlrev_b32_e32 v1, 2, v0
	v_mov_b32_e32 v5, 0
	v_mov_b32_e32 v13, v0
	s_add_u32 s19, s10, s28
	s_addc_u32 s23, s11, s29
	s_lshl_b64 s[34:35], s[20:21], 2
	v_mov_b32_e32 v9, 0
	s_add_u32 s16, s19, s34
	s_addc_u32 s19, s23, s35
	s_lshl_b64 s[24:25], s[24:25], 1
	s_ashr_i32 s31, s17, 31
	s_add_i32 s20, s17, s17
	s_lshl_b32 s21, s17, 2
	s_lshl_b64 s[0:1], s[0:1], 1
	s_lshl_b64 s[26:27], s[26:27], 1
	s_add_u32 s8, s8, s24
	s_addc_u32 s9, s9, s25
	s_add_u32 s8, s8, s26
	s_addc_u32 s9, s9, s27
	;; [unrolled: 2-line block ×3, first 2 shown]
	s_lshl_b64 s[0:1], s[30:31], 3
	s_add_u32 s10, s10, s34
	s_addc_u32 s11, s11, s35
	s_add_u32 s10, s10, s28
	s_addc_u32 s11, s11, s29
	v_add_co_u32 v3, s10, s10, v2
	v_add_co_ci_u32_e64 v4, null, s11, 0, s10
	v_add_co_u32 v1, s8, s8, v1
	v_add_co_u32 v3, vcc_lo, v3, 4
	v_add_co_ci_u32_e64 v2, null, s9, 0, s8
	v_add_co_ci_u32_e64 v4, null, 0, v4, vcc_lo
	v_mov_b32_e32 v12, 0
	v_mov_b32_e32 v11, 0
	v_mov_b32_e32 v10, 0
	v_mov_b32_e32 v8, 0
	v_mov_b32_e32 v7, 0
	v_mov_b32_e32 v6, 0
	s_mul_i32 s15, s17, 3
	s_mul_i32 s8, s17, 5
	;; [unrolled: 1-line block ×4, first 2 shown]
.LBB256_8:                              ; =>This Inner Loop Header: Depth=1
	v_add_nc_u32_e32 v18, s20, v13
	v_add_nc_u32_e32 v20, s15, v13
	;; [unrolled: 1-line block ×5, first 2 shown]
	v_ashrrev_i32_e32 v19, 31, v18
	v_ashrrev_i32_e32 v21, 31, v20
	;; [unrolled: 1-line block ×3, first 2 shown]
	v_add_nc_u32_e32 v28, s10, v13
	v_ashrrev_i32_e32 v25, 31, v24
	v_lshlrev_b64 v[18:19], 3, v[18:19]
	v_lshlrev_b64 v[20:21], 3, v[20:21]
	v_ashrrev_i32_e32 v27, 31, v26
	v_add_co_u32 v16, vcc_lo, v3, s0
	v_lshlrev_b64 v[22:23], 3, v[22:23]
	v_ashrrev_i32_e32 v29, 31, v28
	v_add_co_ci_u32_e64 v17, null, s1, v4, vcc_lo
	v_lshlrev_b64 v[24:25], 3, v[24:25]
	v_add_co_u32 v18, vcc_lo, s16, v18
	v_lshlrev_b64 v[26:27], 3, v[26:27]
	v_add_co_ci_u32_e64 v19, null, s19, v19, vcc_lo
	v_add_co_u32 v20, vcc_lo, s16, v20
	v_lshlrev_b64 v[28:29], 3, v[28:29]
	v_add_co_ci_u32_e64 v21, null, s19, v21, vcc_lo
	v_add_co_u32 v22, vcc_lo, s16, v22
	v_add_co_ci_u32_e64 v23, null, s19, v23, vcc_lo
	v_add_co_u32 v24, vcc_lo, s16, v24
	;; [unrolled: 2-line block ×4, first 2 shown]
	v_add_co_ci_u32_e64 v29, null, s19, v29, vcc_lo
	global_load_dword v30, v[1:2], off
	s_clause 0x1
	global_load_dwordx2 v[14:15], v[3:4], off offset:-4
	global_load_dwordx2 v[16:17], v[16:17], off offset:-4
	s_clause 0x5
	global_load_dwordx2 v[18:19], v[18:19], off
	global_load_dwordx2 v[20:21], v[20:21], off
	;; [unrolled: 1-line block ×6, first 2 shown]
	v_add_nc_u32_e32 v13, 32, v13
	v_add_co_u32 v1, vcc_lo, 0x80, v1
	v_add_co_ci_u32_e64 v2, null, 0, v2, vcc_lo
	v_add_co_u32 v3, vcc_lo, 0x100, v3
	v_add_co_ci_u32_e64 v4, null, 0, v4, vcc_lo
	v_cmp_le_i32_e32 vcc_lo, s12, v13
	s_or_b32 s14, vcc_lo, s14
	s_waitcnt vmcnt(5)
	v_fma_mix_f32 v12, v18, v30, v12 op_sel_hi:[0,1,0]
	v_fma_mix_f32 v5, v14, v30, v5 op_sel_hi:[0,1,0]
	;; [unrolled: 1-line block ×3, first 2 shown]
	s_waitcnt vmcnt(4)
	v_fma_mix_f32 v11, v20, v30, v11 op_sel_hi:[0,1,0]
	s_waitcnt vmcnt(3)
	v_fma_mix_f32 v10, v22, v30, v10 op_sel_hi:[0,1,0]
	;; [unrolled: 2-line block ×5, first 2 shown]
	v_fma_mix_f32 v5, v15, v30, v5 op_sel:[0,1,0] op_sel_hi:[0,1,0]
	v_fma_mix_f32 v9, v17, v30, v9 op_sel:[0,1,0] op_sel_hi:[0,1,0]
	;; [unrolled: 1-line block ×8, first 2 shown]
	s_andn2_b32 exec_lo, exec_lo, s14
	s_cbranch_execnz .LBB256_8
; %bb.9:
	s_or_b32 exec_lo, exec_lo, s14
.LBB256_10:
	s_or_b32 exec_lo, exec_lo, s13
	v_mbcnt_lo_u32_b32 v1, -1, 0
	s_mov_b32 s0, exec_lo
	v_xor_b32_e32 v2, 16, v1
	v_xor_b32_e32 v18, 8, v1
	v_cmp_gt_i32_e32 vcc_lo, 32, v2
	v_cndmask_b32_e32 v2, v1, v2, vcc_lo
	v_cmp_gt_i32_e32 vcc_lo, 32, v18
	v_lshlrev_b32_e32 v2, 2, v2
	v_cndmask_b32_e32 v18, v1, v18, vcc_lo
	ds_bpermute_b32 v3, v2, v5
	ds_bpermute_b32 v4, v2, v9
	;; [unrolled: 1-line block ×8, first 2 shown]
	v_lshlrev_b32_e32 v18, 2, v18
	s_waitcnt lgkmcnt(0)
	v_add_f32_e32 v3, v5, v3
	v_add_f32_e32 v4, v9, v4
	;; [unrolled: 1-line block ×8, first 2 shown]
	ds_bpermute_b32 v6, v18, v3
	ds_bpermute_b32 v11, v18, v4
	ds_bpermute_b32 v12, v18, v5
	ds_bpermute_b32 v13, v18, v9
	ds_bpermute_b32 v14, v18, v10
	ds_bpermute_b32 v15, v18, v8
	ds_bpermute_b32 v16, v18, v7
	ds_bpermute_b32 v17, v18, v2
	v_xor_b32_e32 v18, 4, v1
	v_cmp_gt_i32_e32 vcc_lo, 32, v18
	v_cndmask_b32_e32 v18, v1, v18, vcc_lo
	s_waitcnt lgkmcnt(7)
	v_add_f32_e32 v3, v3, v6
	s_waitcnt lgkmcnt(6)
	v_add_f32_e32 v4, v4, v11
	s_waitcnt lgkmcnt(5)
	v_add_f32_e32 v5, v5, v12
	v_lshlrev_b32_e32 v18, 2, v18
	s_waitcnt lgkmcnt(4)
	v_add_f32_e32 v6, v9, v13
	s_waitcnt lgkmcnt(3)
	v_add_f32_e32 v9, v10, v14
	s_waitcnt lgkmcnt(2)
	v_add_f32_e32 v8, v8, v15
	s_waitcnt lgkmcnt(1)
	v_add_f32_e32 v7, v7, v16
	s_waitcnt lgkmcnt(0)
	v_add_f32_e32 v2, v2, v17
	ds_bpermute_b32 v10, v18, v3
	ds_bpermute_b32 v11, v18, v4
	ds_bpermute_b32 v12, v18, v5
	ds_bpermute_b32 v13, v18, v6
	ds_bpermute_b32 v14, v18, v9
	ds_bpermute_b32 v15, v18, v8
	ds_bpermute_b32 v16, v18, v7
	ds_bpermute_b32 v17, v18, v2
	v_xor_b32_e32 v18, 2, v1
	v_cmp_gt_i32_e32 vcc_lo, 32, v18
	v_cndmask_b32_e32 v18, v1, v18, vcc_lo
	s_waitcnt lgkmcnt(7)
	v_add_f32_e32 v3, v3, v10
	s_waitcnt lgkmcnt(6)
	v_add_f32_e32 v4, v4, v11
	s_waitcnt lgkmcnt(5)
	v_add_f32_e32 v5, v5, v12
	v_lshlrev_b32_e32 v18, 2, v18
	s_waitcnt lgkmcnt(4)
	v_add_f32_e32 v6, v6, v13
	s_waitcnt lgkmcnt(3)
	v_add_f32_e32 v9, v9, v14
	s_waitcnt lgkmcnt(2)
	v_add_f32_e32 v8, v8, v15
	s_waitcnt lgkmcnt(1)
	v_add_f32_e32 v10, v7, v16
	s_waitcnt lgkmcnt(0)
	v_add_f32_e32 v14, v2, v17
	;; [unrolled: 28-line block ×3, first 2 shown]
	ds_bpermute_b32 v15, v20, v12
	ds_bpermute_b32 v16, v20, v13
	;; [unrolled: 1-line block ×8, first 2 shown]
	v_cmpx_gt_u32_e32 8, v0
	s_cbranch_execz .LBB256_12
; %bb.11:
	s_waitcnt lgkmcnt(7)
	v_add_f32_e32 v12, v12, v15
	s_waitcnt lgkmcnt(6)
	v_add_f32_e32 v13, v13, v16
	v_cmp_eq_u32_e32 vcc_lo, 1, v0
	s_waitcnt lgkmcnt(5)
	v_add_f32_e32 v11, v11, v14
	s_waitcnt lgkmcnt(4)
	v_add_f32_e32 v7, v7, v10
	s_load_dwordx2 s[0:1], s[4:5], 0x38
	s_waitcnt lgkmcnt(0)
	v_add_f32_e32 v9, v6, v9
	v_cndmask_b32_e32 v12, v12, v13, vcc_lo
	v_cmp_eq_u32_e32 vcc_lo, 2, v0
	v_add_f32_e32 v8, v5, v8
	v_mad_u64_u32 v[5:6], null, s18, v0, s[6:7]
	v_add_f32_e32 v2, v2, v4
	v_cndmask_b32_e32 v10, v12, v11, vcc_lo
	v_cmp_eq_u32_e32 vcc_lo, 3, v0
	s_mul_hi_i32 s5, s2, s3
	s_mul_i32 s4, s2, s3
	s_mul_i32 s2, s22, s7
	s_lshl_b64 s[4:5], s[4:5], 2
	v_cndmask_b32_e32 v7, v10, v7, vcc_lo
	v_cmp_eq_u32_e32 vcc_lo, 4, v0
	s_ashr_i32 s3, s2, 31
	v_add_f32_e32 v3, v1, v3
	v_cndmask_b32_e32 v6, v7, v9, vcc_lo
	v_cmp_eq_u32_e32 vcc_lo, 5, v0
	s_add_u32 s4, s0, s4
	s_addc_u32 s5, s1, s5
	s_lshl_b64 s[0:1], s[2:3], 2
	v_cndmask_b32_e32 v4, v6, v8, vcc_lo
	v_ashrrev_i32_e32 v6, 31, v5
	v_cmp_eq_u32_e32 vcc_lo, 6, v0
	s_add_u32 s0, s4, s0
	s_addc_u32 s1, s5, s1
	v_cndmask_b32_e32 v4, v4, v2, vcc_lo
	v_lshlrev_b64 v[1:2], 2, v[5:6]
	v_cmp_eq_u32_e32 vcc_lo, 7, v0
	v_cndmask_b32_e32 v3, v4, v3, vcc_lo
	v_add_co_u32 v0, vcc_lo, s0, v1
	v_add_co_ci_u32_e64 v1, null, s1, v2, vcc_lo
	global_store_dword v[0:1], v3, off
.LBB256_12:
	s_endpgm
	.section	.rodata,"a",@progbits
	.p2align	6, 0x0
	.amdhsa_kernel _ZL13mul_mat_vec_fI6__halffLi8ELi32ELb0ELb0EEvPKT_PKfPKi31ggml_cuda_mm_fusion_args_devicePfi15HIP_vector_typeIjLj3EEiiiSB_iiiSB_iiii
		.amdhsa_group_segment_fixed_size 0
		.amdhsa_private_segment_fixed_size 0
		.amdhsa_kernarg_size 144
		.amdhsa_user_sgpr_count 6
		.amdhsa_user_sgpr_private_segment_buffer 1
		.amdhsa_user_sgpr_dispatch_ptr 0
		.amdhsa_user_sgpr_queue_ptr 0
		.amdhsa_user_sgpr_kernarg_segment_ptr 1
		.amdhsa_user_sgpr_dispatch_id 0
		.amdhsa_user_sgpr_flat_scratch_init 0
		.amdhsa_user_sgpr_private_segment_size 0
		.amdhsa_wavefront_size32 1
		.amdhsa_uses_dynamic_stack 0
		.amdhsa_system_sgpr_private_segment_wavefront_offset 0
		.amdhsa_system_sgpr_workgroup_id_x 1
		.amdhsa_system_sgpr_workgroup_id_y 1
		.amdhsa_system_sgpr_workgroup_id_z 1
		.amdhsa_system_sgpr_workgroup_info 0
		.amdhsa_system_vgpr_workitem_id 0
		.amdhsa_next_free_vgpr 31
		.amdhsa_next_free_sgpr 36
		.amdhsa_reserve_vcc 1
		.amdhsa_reserve_flat_scratch 0
		.amdhsa_float_round_mode_32 0
		.amdhsa_float_round_mode_16_64 0
		.amdhsa_float_denorm_mode_32 3
		.amdhsa_float_denorm_mode_16_64 3
		.amdhsa_dx10_clamp 1
		.amdhsa_ieee_mode 1
		.amdhsa_fp16_overflow 0
		.amdhsa_workgroup_processor_mode 1
		.amdhsa_memory_ordered 1
		.amdhsa_forward_progress 1
		.amdhsa_shared_vgpr_count 0
		.amdhsa_exception_fp_ieee_invalid_op 0
		.amdhsa_exception_fp_denorm_src 0
		.amdhsa_exception_fp_ieee_div_zero 0
		.amdhsa_exception_fp_ieee_overflow 0
		.amdhsa_exception_fp_ieee_underflow 0
		.amdhsa_exception_fp_ieee_inexact 0
		.amdhsa_exception_int_div_zero 0
	.end_amdhsa_kernel
	.section	.text._ZL13mul_mat_vec_fI6__halffLi8ELi32ELb0ELb0EEvPKT_PKfPKi31ggml_cuda_mm_fusion_args_devicePfi15HIP_vector_typeIjLj3EEiiiSB_iiiSB_iiii,"axG",@progbits,_ZL13mul_mat_vec_fI6__halffLi8ELi32ELb0ELb0EEvPKT_PKfPKi31ggml_cuda_mm_fusion_args_devicePfi15HIP_vector_typeIjLj3EEiiiSB_iiiSB_iiii,comdat
.Lfunc_end256:
	.size	_ZL13mul_mat_vec_fI6__halffLi8ELi32ELb0ELb0EEvPKT_PKfPKi31ggml_cuda_mm_fusion_args_devicePfi15HIP_vector_typeIjLj3EEiiiSB_iiiSB_iiii, .Lfunc_end256-_ZL13mul_mat_vec_fI6__halffLi8ELi32ELb0ELb0EEvPKT_PKfPKi31ggml_cuda_mm_fusion_args_devicePfi15HIP_vector_typeIjLj3EEiiiSB_iiiSB_iiii
                                        ; -- End function
	.set _ZL13mul_mat_vec_fI6__halffLi8ELi32ELb0ELb0EEvPKT_PKfPKi31ggml_cuda_mm_fusion_args_devicePfi15HIP_vector_typeIjLj3EEiiiSB_iiiSB_iiii.num_vgpr, 31
	.set _ZL13mul_mat_vec_fI6__halffLi8ELi32ELb0ELb0EEvPKT_PKfPKi31ggml_cuda_mm_fusion_args_devicePfi15HIP_vector_typeIjLj3EEiiiSB_iiiSB_iiii.num_agpr, 0
	.set _ZL13mul_mat_vec_fI6__halffLi8ELi32ELb0ELb0EEvPKT_PKfPKi31ggml_cuda_mm_fusion_args_devicePfi15HIP_vector_typeIjLj3EEiiiSB_iiiSB_iiii.numbered_sgpr, 36
	.set _ZL13mul_mat_vec_fI6__halffLi8ELi32ELb0ELb0EEvPKT_PKfPKi31ggml_cuda_mm_fusion_args_devicePfi15HIP_vector_typeIjLj3EEiiiSB_iiiSB_iiii.num_named_barrier, 0
	.set _ZL13mul_mat_vec_fI6__halffLi8ELi32ELb0ELb0EEvPKT_PKfPKi31ggml_cuda_mm_fusion_args_devicePfi15HIP_vector_typeIjLj3EEiiiSB_iiiSB_iiii.private_seg_size, 0
	.set _ZL13mul_mat_vec_fI6__halffLi8ELi32ELb0ELb0EEvPKT_PKfPKi31ggml_cuda_mm_fusion_args_devicePfi15HIP_vector_typeIjLj3EEiiiSB_iiiSB_iiii.uses_vcc, 1
	.set _ZL13mul_mat_vec_fI6__halffLi8ELi32ELb0ELb0EEvPKT_PKfPKi31ggml_cuda_mm_fusion_args_devicePfi15HIP_vector_typeIjLj3EEiiiSB_iiiSB_iiii.uses_flat_scratch, 0
	.set _ZL13mul_mat_vec_fI6__halffLi8ELi32ELb0ELb0EEvPKT_PKfPKi31ggml_cuda_mm_fusion_args_devicePfi15HIP_vector_typeIjLj3EEiiiSB_iiiSB_iiii.has_dyn_sized_stack, 0
	.set _ZL13mul_mat_vec_fI6__halffLi8ELi32ELb0ELb0EEvPKT_PKfPKi31ggml_cuda_mm_fusion_args_devicePfi15HIP_vector_typeIjLj3EEiiiSB_iiiSB_iiii.has_recursion, 0
	.set _ZL13mul_mat_vec_fI6__halffLi8ELi32ELb0ELb0EEvPKT_PKfPKi31ggml_cuda_mm_fusion_args_devicePfi15HIP_vector_typeIjLj3EEiiiSB_iiiSB_iiii.has_indirect_call, 0
	.section	.AMDGPU.csdata,"",@progbits
; Kernel info:
; codeLenInByte = 1864
; TotalNumSgprs: 38
; NumVgprs: 31
; ScratchSize: 0
; MemoryBound: 0
; FloatMode: 240
; IeeeMode: 1
; LDSByteSize: 0 bytes/workgroup (compile time only)
; SGPRBlocks: 0
; VGPRBlocks: 3
; NumSGPRsForWavesPerEU: 38
; NumVGPRsForWavesPerEU: 31
; Occupancy: 16
; WaveLimiterHint : 0
; COMPUTE_PGM_RSRC2:SCRATCH_EN: 0
; COMPUTE_PGM_RSRC2:USER_SGPR: 6
; COMPUTE_PGM_RSRC2:TRAP_HANDLER: 0
; COMPUTE_PGM_RSRC2:TGID_X_EN: 1
; COMPUTE_PGM_RSRC2:TGID_Y_EN: 1
; COMPUTE_PGM_RSRC2:TGID_Z_EN: 1
; COMPUTE_PGM_RSRC2:TIDIG_COMP_CNT: 0
	.section	.text._ZL13mul_mat_vec_fI6__halffLi8ELi64ELb0ELb0EEvPKT_PKfPKi31ggml_cuda_mm_fusion_args_devicePfi15HIP_vector_typeIjLj3EEiiiSB_iiiSB_iiii,"axG",@progbits,_ZL13mul_mat_vec_fI6__halffLi8ELi64ELb0ELb0EEvPKT_PKfPKi31ggml_cuda_mm_fusion_args_devicePfi15HIP_vector_typeIjLj3EEiiiSB_iiiSB_iiii,comdat
	.globl	_ZL13mul_mat_vec_fI6__halffLi8ELi64ELb0ELb0EEvPKT_PKfPKi31ggml_cuda_mm_fusion_args_devicePfi15HIP_vector_typeIjLj3EEiiiSB_iiiSB_iiii ; -- Begin function _ZL13mul_mat_vec_fI6__halffLi8ELi64ELb0ELb0EEvPKT_PKfPKi31ggml_cuda_mm_fusion_args_devicePfi15HIP_vector_typeIjLj3EEiiiSB_iiiSB_iiii
	.p2align	8
	.type	_ZL13mul_mat_vec_fI6__halffLi8ELi64ELb0ELb0EEvPKT_PKfPKi31ggml_cuda_mm_fusion_args_devicePfi15HIP_vector_typeIjLj3EEiiiSB_iiiSB_iiii,@function
_ZL13mul_mat_vec_fI6__halffLi8ELi64ELb0ELb0EEvPKT_PKfPKi31ggml_cuda_mm_fusion_args_devicePfi15HIP_vector_typeIjLj3EEiiiSB_iiiSB_iiii: ; @_ZL13mul_mat_vec_fI6__halffLi8ELi64ELb0ELb0EEvPKT_PKfPKi31ggml_cuda_mm_fusion_args_devicePfi15HIP_vector_typeIjLj3EEiiiSB_iiiSB_iiii
; %bb.0:
	s_clause 0x2
	s_load_dwordx2 s[0:1], s[4:5], 0x10
	s_load_dwordx8 s[12:19], s[4:5], 0x40
	s_load_dwordx4 s[20:23], s[4:5], 0x80
	s_waitcnt lgkmcnt(0)
	s_cmp_eq_u64 s[0:1], 0
	s_cselect_b32 s10, -1, 0
	s_cmp_lg_u64 s[0:1], 0
	s_cselect_b32 s11, -1, 0
	s_and_b32 vcc_lo, exec_lo, s10
	s_cbranch_vccnz .LBB257_2
; %bb.1:
	s_mul_i32 s2, s23, s8
	s_mov_b32 s3, 0
	s_add_i32 s2, s2, s7
	s_lshl_b64 s[24:25], s[2:3], 2
	s_add_u32 s0, s0, s24
	s_addc_u32 s1, s1, s25
	s_load_dword s9, s[0:1], 0x0
	s_cbranch_execz .LBB257_3
	s_branch .LBB257_4
.LBB257_2:
                                        ; implicit-def: $sgpr9
.LBB257_3:
	s_load_dwordx2 s[0:1], s[4:5], 0x5c
	s_waitcnt lgkmcnt(0)
	s_mul_hi_u32 s0, s0, s7
	s_add_i32 s0, s7, s0
	s_lshr_b32 s9, s0, s1
.LBB257_4:
	s_load_dwordx4 s[24:27], s[4:5], 0x68
	s_andn2_b32 vcc_lo, exec_lo, s11
	s_mov_b32 s19, s7
	s_cbranch_vccnz .LBB257_6
; %bb.5:
	s_mul_hi_u32 s0, s13, s7
	s_add_i32 s0, s7, s0
	s_lshr_b32 s0, s0, s14
	s_mul_i32 s0, s0, s15
	s_sub_i32 s19, s7, s0
.LBB257_6:
	s_load_dword s15, s[4:5], 0x78
	v_cmp_gt_u32_e32 vcc_lo, 32, v0
	v_lshl_add_u32 v5, v0, 2, 0
	s_and_saveexec_b32 s0, vcc_lo
; %bb.7:
	v_mov_b32_e32 v1, 0
	ds_write_b32 v5, v1
; %bb.8:
	s_or_b32 exec_lo, exec_lo, s0
	v_mov_b32_e32 v6, 0
	v_mov_b32_e32 v7, 0
	;; [unrolled: 1-line block ×8, first 2 shown]
	s_and_b32 s0, exec_lo, s10
	s_mov_b32 s11, 0
	s_cselect_b32 s10, s8, 0
	s_mov_b32 s13, exec_lo
	s_waitcnt lgkmcnt(0)
	s_barrier
	buffer_gl0_inv
	v_cmpx_gt_i32_e64 s12, v0
	s_cbranch_execz .LBB257_12
; %bb.9:
	s_load_dwordx4 s[0:3], s[4:5], 0x0
	s_mul_hi_u32 s23, s27, s10
	s_mul_hi_i32 s29, s21, s10
	s_mul_i32 s28, s21, s10
	s_mul_i32 s8, s9, s24
	;; [unrolled: 1-line block ×4, first 2 shown]
	s_add_i32 s16, s10, s23
	s_lshl_b64 s[28:29], s[28:29], 2
	s_ashr_i32 s9, s8, 31
	s_ashr_i32 s25, s24, 31
	;; [unrolled: 1-line block ×3, first 2 shown]
	s_lshr_b32 s15, s16, s15
	s_mov_b32 s34, s17
	s_mul_hi_i32 s37, s15, s20
	s_mul_i32 s36, s15, s20
	v_lshlrev_b32_e32 v2, 3, v0
	v_lshlrev_b32_e32 v1, 2, v0
	v_mov_b32_e32 v12, 0
	v_mov_b32_e32 v13, v0
	s_waitcnt lgkmcnt(0)
	s_add_u32 s16, s2, s28
	s_addc_u32 s19, s3, s29
	s_lshl_b64 s[30:31], s[30:31], 2
	v_mov_b32_e32 v14, 0
	s_add_u32 s15, s16, s30
	s_addc_u32 s16, s19, s31
	s_lshl_b64 s[8:9], s[8:9], 1
	s_ashr_i32 s35, s17, 31
	s_add_i32 s19, s17, s17
	s_lshl_b32 s20, s17, 2
	s_lshl_b64 s[36:37], s[36:37], 1
	s_lshl_b64 s[24:25], s[24:25], 1
	s_add_u32 s0, s0, s8
	s_addc_u32 s1, s1, s9
	s_add_u32 s0, s0, s24
	s_addc_u32 s1, s1, s25
	;; [unrolled: 2-line block ×3, first 2 shown]
	s_lshl_b64 s[8:9], s[34:35], 3
	s_add_u32 s2, s2, s30
	s_addc_u32 s3, s3, s31
	s_add_u32 s2, s2, s28
	s_addc_u32 s3, s3, s29
	v_add_co_u32 v3, s2, s2, v2
	v_add_co_ci_u32_e64 v4, null, s3, 0, s2
	v_add_co_u32 v1, s0, s0, v1
	v_add_co_ci_u32_e64 v2, null, s1, 0, s0
	;; [unrolled: 2-line block ×3, first 2 shown]
	v_mov_b32_e32 v11, 0
	v_mov_b32_e32 v10, 0
	;; [unrolled: 1-line block ×6, first 2 shown]
	s_mul_i32 s14, s17, 3
	s_mul_i32 s1, s17, 5
	;; [unrolled: 1-line block ×4, first 2 shown]
.LBB257_10:                             ; =>This Inner Loop Header: Depth=1
	v_add_nc_u32_e32 v19, s19, v13
	v_add_nc_u32_e32 v21, s14, v13
	;; [unrolled: 1-line block ×5, first 2 shown]
	v_ashrrev_i32_e32 v20, 31, v19
	v_ashrrev_i32_e32 v22, 31, v21
	;; [unrolled: 1-line block ×3, first 2 shown]
	v_add_nc_u32_e32 v29, s3, v13
	v_ashrrev_i32_e32 v26, 31, v25
	v_lshlrev_b64 v[19:20], 3, v[19:20]
	v_lshlrev_b64 v[21:22], 3, v[21:22]
	v_ashrrev_i32_e32 v28, 31, v27
	v_add_co_u32 v17, s0, v3, s8
	v_lshlrev_b64 v[23:24], 3, v[23:24]
	v_ashrrev_i32_e32 v30, 31, v29
	v_add_co_ci_u32_e64 v18, null, s9, v4, s0
	v_lshlrev_b64 v[25:26], 3, v[25:26]
	v_add_co_u32 v19, s0, s15, v19
	v_lshlrev_b64 v[27:28], 3, v[27:28]
	v_add_co_ci_u32_e64 v20, null, s16, v20, s0
	v_add_co_u32 v21, s0, s15, v21
	v_lshlrev_b64 v[29:30], 3, v[29:30]
	v_add_co_ci_u32_e64 v22, null, s16, v22, s0
	v_add_co_u32 v23, s0, s15, v23
	v_add_co_ci_u32_e64 v24, null, s16, v24, s0
	v_add_co_u32 v25, s0, s15, v25
	;; [unrolled: 2-line block ×4, first 2 shown]
	v_add_co_ci_u32_e64 v30, null, s16, v30, s0
	global_load_dword v31, v[1:2], off
	s_clause 0x1
	global_load_dwordx2 v[15:16], v[3:4], off offset:-4
	global_load_dwordx2 v[17:18], v[17:18], off offset:-4
	s_clause 0x5
	global_load_dwordx2 v[19:20], v[19:20], off
	global_load_dwordx2 v[21:22], v[21:22], off
	;; [unrolled: 1-line block ×6, first 2 shown]
	v_add_nc_u32_e32 v13, 64, v13
	v_add_co_u32 v1, s0, 0x100, v1
	v_add_co_ci_u32_e64 v2, null, 0, v2, s0
	v_add_co_u32 v3, s0, 0x200, v3
	v_add_co_ci_u32_e64 v4, null, 0, v4, s0
	v_cmp_le_i32_e64 s0, s12, v13
	s_or_b32 s11, s0, s11
	s_waitcnt vmcnt(5)
	v_fma_mix_f32 v11, v19, v31, v11 op_sel_hi:[0,1,0]
	v_fma_mix_f32 v12, v15, v31, v12 op_sel_hi:[0,1,0]
	;; [unrolled: 1-line block ×3, first 2 shown]
	s_waitcnt vmcnt(4)
	v_fma_mix_f32 v10, v21, v31, v10 op_sel_hi:[0,1,0]
	s_waitcnt vmcnt(3)
	v_fma_mix_f32 v9, v23, v31, v9 op_sel_hi:[0,1,0]
	;; [unrolled: 2-line block ×5, first 2 shown]
	v_fma_mix_f32 v12, v16, v31, v12 op_sel:[0,1,0] op_sel_hi:[0,1,0]
	v_fma_mix_f32 v14, v18, v31, v14 op_sel:[0,1,0] op_sel_hi:[0,1,0]
	;; [unrolled: 1-line block ×8, first 2 shown]
	s_andn2_b32 exec_lo, exec_lo, s11
	s_cbranch_execnz .LBB257_10
; %bb.11:
	s_or_b32 exec_lo, exec_lo, s11
.LBB257_12:
	s_or_b32 exec_lo, exec_lo, s13
	v_mbcnt_lo_u32_b32 v2, -1, 0
	v_xor_b32_e32 v1, 16, v2
	v_xor_b32_e32 v3, 8, v2
	v_cmp_gt_i32_e64 s0, 32, v1
	v_cndmask_b32_e64 v1, v2, v1, s0
	v_cmp_gt_i32_e64 s0, 32, v3
	v_lshlrev_b32_e32 v1, 2, v1
	v_cndmask_b32_e64 v3, v2, v3, s0
	ds_bpermute_b32 v4, v1, v12
	v_lshlrev_b32_e32 v3, 2, v3
	s_waitcnt lgkmcnt(0)
	v_add_f32_e32 v12, v12, v4
	v_xor_b32_e32 v4, 4, v2
	ds_bpermute_b32 v13, v3, v12
	v_cmp_gt_i32_e64 s0, 32, v4
	v_cndmask_b32_e64 v4, v2, v4, s0
	v_lshlrev_b32_e32 v4, 2, v4
	s_waitcnt lgkmcnt(0)
	v_add_f32_e32 v13, v12, v13
	v_xor_b32_e32 v12, 2, v2
	ds_bpermute_b32 v15, v4, v13
	v_cmp_gt_i32_e64 s0, 32, v12
	v_cndmask_b32_e64 v12, v2, v12, s0
	;; [unrolled: 7-line block ×3, first 2 shown]
	v_lshlrev_b32_e32 v13, 2, v2
	s_waitcnt lgkmcnt(0)
	v_add_f32_e32 v2, v15, v16
	v_lshrrev_b32_e32 v15, 3, v0
	ds_bpermute_b32 v16, v13, v2
	v_and_b32_e32 v15, 0x7c, v15
	v_add_nc_u32_e32 v15, 0, v15
	s_waitcnt lgkmcnt(0)
	v_add_f32_e32 v2, v2, v16
	ds_write_b32 v15, v2
	s_waitcnt lgkmcnt(0)
	s_barrier
	buffer_gl0_inv
	s_and_saveexec_b32 s0, vcc_lo
	s_cbranch_execz .LBB257_14
; %bb.13:
	ds_read_b32 v2, v5
	s_waitcnt lgkmcnt(0)
	ds_bpermute_b32 v16, v1, v2
	s_waitcnt lgkmcnt(0)
	v_add_f32_e32 v2, v2, v16
	ds_bpermute_b32 v16, v3, v2
	s_waitcnt lgkmcnt(0)
	v_add_f32_e32 v2, v2, v16
	ds_bpermute_b32 v16, v4, v2
	s_waitcnt lgkmcnt(0)
	v_add_f32_e32 v2, v2, v16
	ds_bpermute_b32 v16, v12, v2
	s_waitcnt lgkmcnt(0)
	v_add_f32_e32 v2, v2, v16
	ds_bpermute_b32 v16, v13, v2
	s_waitcnt lgkmcnt(0)
	v_add_f32_e32 v2, v2, v16
.LBB257_14:
	s_or_b32 exec_lo, exec_lo, s0
	ds_bpermute_b32 v16, v1, v14
	s_waitcnt lgkmcnt(0)
	s_barrier
	buffer_gl0_inv
	v_add_f32_e32 v14, v14, v16
	ds_bpermute_b32 v16, v3, v14
	s_waitcnt lgkmcnt(0)
	v_add_f32_e32 v14, v14, v16
	ds_bpermute_b32 v16, v4, v14
	s_waitcnt lgkmcnt(0)
	v_add_f32_e32 v14, v14, v16
	ds_bpermute_b32 v16, v12, v14
	s_waitcnt lgkmcnt(0)
	v_add_f32_e32 v14, v14, v16
	ds_bpermute_b32 v16, v13, v14
	s_waitcnt lgkmcnt(0)
	v_add_f32_e32 v14, v14, v16
	ds_write_b32 v15, v14
	s_waitcnt lgkmcnt(0)
	s_barrier
	buffer_gl0_inv
	s_and_saveexec_b32 s0, vcc_lo
	s_cbranch_execz .LBB257_16
; %bb.15:
	ds_read_b32 v14, v5
	s_waitcnt lgkmcnt(0)
	ds_bpermute_b32 v16, v1, v14
	s_waitcnt lgkmcnt(0)
	v_add_f32_e32 v14, v14, v16
	ds_bpermute_b32 v16, v3, v14
	s_waitcnt lgkmcnt(0)
	v_add_f32_e32 v14, v14, v16
	ds_bpermute_b32 v16, v4, v14
	s_waitcnt lgkmcnt(0)
	v_add_f32_e32 v14, v14, v16
	ds_bpermute_b32 v16, v12, v14
	s_waitcnt lgkmcnt(0)
	v_add_f32_e32 v14, v14, v16
	ds_bpermute_b32 v16, v13, v14
	s_waitcnt lgkmcnt(0)
	v_add_f32_e32 v14, v14, v16
.LBB257_16:
	s_or_b32 exec_lo, exec_lo, s0
	ds_bpermute_b32 v16, v1, v11
	s_waitcnt lgkmcnt(0)
	s_barrier
	buffer_gl0_inv
	v_add_f32_e32 v11, v11, v16
	ds_bpermute_b32 v16, v3, v11
	s_waitcnt lgkmcnt(0)
	v_add_f32_e32 v11, v11, v16
	ds_bpermute_b32 v16, v4, v11
	s_waitcnt lgkmcnt(0)
	v_add_f32_e32 v11, v11, v16
	ds_bpermute_b32 v16, v12, v11
	s_waitcnt lgkmcnt(0)
	v_add_f32_e32 v11, v11, v16
	ds_bpermute_b32 v16, v13, v11
	;; [unrolled: 43-line block ×7, first 2 shown]
	s_waitcnt lgkmcnt(0)
	v_add_f32_e32 v6, v6, v16
	ds_write_b32 v15, v6
	s_waitcnt lgkmcnt(0)
	s_barrier
	buffer_gl0_inv
	s_and_saveexec_b32 s0, vcc_lo
	s_cbranch_execz .LBB257_28
; %bb.27:
	ds_read_b32 v5, v5
	s_waitcnt lgkmcnt(0)
	ds_bpermute_b32 v1, v1, v5
	s_waitcnt lgkmcnt(0)
	v_add_f32_e32 v1, v5, v1
	ds_bpermute_b32 v3, v3, v1
	s_waitcnt lgkmcnt(0)
	v_add_f32_e32 v1, v1, v3
	;; [unrolled: 3-line block ×5, first 2 shown]
.LBB257_28:
	s_or_b32 exec_lo, exec_lo, s0
	s_barrier
	buffer_gl0_inv
	s_mov_b32 s0, exec_lo
	v_cmpx_gt_u32_e32 8, v0
	s_cbranch_execz .LBB257_30
; %bb.29:
	v_cmp_eq_u32_e32 vcc_lo, 1, v0
	s_load_dwordx2 s[0:1], s[4:5], 0x38
	s_mul_hi_i32 s3, s22, s10
	s_mul_i32 s2, s22, s10
	s_mul_i32 s4, s26, s7
	v_cndmask_b32_e32 v1, v2, v14, vcc_lo
	v_cmp_eq_u32_e32 vcc_lo, 2, v0
	s_lshl_b64 s[2:3], s[2:3], 2
	s_ashr_i32 s5, s4, 31
	v_cndmask_b32_e32 v3, v1, v11, vcc_lo
	v_cmp_eq_u32_e32 vcc_lo, 3, v0
	v_mad_u64_u32 v[1:2], null, s18, v0, s[6:7]
	v_cndmask_b32_e32 v2, v3, v10, vcc_lo
	v_cmp_eq_u32_e32 vcc_lo, 4, v0
	s_waitcnt lgkmcnt(0)
	s_add_u32 s2, s0, s2
	s_addc_u32 s3, s1, s3
	v_cndmask_b32_e32 v3, v2, v9, vcc_lo
	v_cmp_eq_u32_e32 vcc_lo, 5, v0
	v_ashrrev_i32_e32 v2, 31, v1
	s_lshl_b64 s[0:1], s[4:5], 2
	s_add_u32 s0, s2, s0
	v_cndmask_b32_e32 v3, v3, v8, vcc_lo
	v_cmp_eq_u32_e32 vcc_lo, 6, v0
	v_lshlrev_b64 v[1:2], 2, v[1:2]
	s_addc_u32 s1, s3, s1
	v_cndmask_b32_e32 v3, v3, v7, vcc_lo
	v_cmp_eq_u32_e32 vcc_lo, 7, v0
	v_cndmask_b32_e32 v3, v3, v6, vcc_lo
	v_add_co_u32 v0, vcc_lo, s0, v1
	v_add_co_ci_u32_e64 v1, null, s1, v2, vcc_lo
	global_store_dword v[0:1], v3, off
.LBB257_30:
	s_endpgm
	.section	.rodata,"a",@progbits
	.p2align	6, 0x0
	.amdhsa_kernel _ZL13mul_mat_vec_fI6__halffLi8ELi64ELb0ELb0EEvPKT_PKfPKi31ggml_cuda_mm_fusion_args_devicePfi15HIP_vector_typeIjLj3EEiiiSB_iiiSB_iiii
		.amdhsa_group_segment_fixed_size 0
		.amdhsa_private_segment_fixed_size 0
		.amdhsa_kernarg_size 144
		.amdhsa_user_sgpr_count 6
		.amdhsa_user_sgpr_private_segment_buffer 1
		.amdhsa_user_sgpr_dispatch_ptr 0
		.amdhsa_user_sgpr_queue_ptr 0
		.amdhsa_user_sgpr_kernarg_segment_ptr 1
		.amdhsa_user_sgpr_dispatch_id 0
		.amdhsa_user_sgpr_flat_scratch_init 0
		.amdhsa_user_sgpr_private_segment_size 0
		.amdhsa_wavefront_size32 1
		.amdhsa_uses_dynamic_stack 0
		.amdhsa_system_sgpr_private_segment_wavefront_offset 0
		.amdhsa_system_sgpr_workgroup_id_x 1
		.amdhsa_system_sgpr_workgroup_id_y 1
		.amdhsa_system_sgpr_workgroup_id_z 1
		.amdhsa_system_sgpr_workgroup_info 0
		.amdhsa_system_vgpr_workitem_id 0
		.amdhsa_next_free_vgpr 32
		.amdhsa_next_free_sgpr 38
		.amdhsa_reserve_vcc 1
		.amdhsa_reserve_flat_scratch 0
		.amdhsa_float_round_mode_32 0
		.amdhsa_float_round_mode_16_64 0
		.amdhsa_float_denorm_mode_32 3
		.amdhsa_float_denorm_mode_16_64 3
		.amdhsa_dx10_clamp 1
		.amdhsa_ieee_mode 1
		.amdhsa_fp16_overflow 0
		.amdhsa_workgroup_processor_mode 1
		.amdhsa_memory_ordered 1
		.amdhsa_forward_progress 1
		.amdhsa_shared_vgpr_count 0
		.amdhsa_exception_fp_ieee_invalid_op 0
		.amdhsa_exception_fp_denorm_src 0
		.amdhsa_exception_fp_ieee_div_zero 0
		.amdhsa_exception_fp_ieee_overflow 0
		.amdhsa_exception_fp_ieee_underflow 0
		.amdhsa_exception_fp_ieee_inexact 0
		.amdhsa_exception_int_div_zero 0
	.end_amdhsa_kernel
	.section	.text._ZL13mul_mat_vec_fI6__halffLi8ELi64ELb0ELb0EEvPKT_PKfPKi31ggml_cuda_mm_fusion_args_devicePfi15HIP_vector_typeIjLj3EEiiiSB_iiiSB_iiii,"axG",@progbits,_ZL13mul_mat_vec_fI6__halffLi8ELi64ELb0ELb0EEvPKT_PKfPKi31ggml_cuda_mm_fusion_args_devicePfi15HIP_vector_typeIjLj3EEiiiSB_iiiSB_iiii,comdat
.Lfunc_end257:
	.size	_ZL13mul_mat_vec_fI6__halffLi8ELi64ELb0ELb0EEvPKT_PKfPKi31ggml_cuda_mm_fusion_args_devicePfi15HIP_vector_typeIjLj3EEiiiSB_iiiSB_iiii, .Lfunc_end257-_ZL13mul_mat_vec_fI6__halffLi8ELi64ELb0ELb0EEvPKT_PKfPKi31ggml_cuda_mm_fusion_args_devicePfi15HIP_vector_typeIjLj3EEiiiSB_iiiSB_iiii
                                        ; -- End function
	.set _ZL13mul_mat_vec_fI6__halffLi8ELi64ELb0ELb0EEvPKT_PKfPKi31ggml_cuda_mm_fusion_args_devicePfi15HIP_vector_typeIjLj3EEiiiSB_iiiSB_iiii.num_vgpr, 32
	.set _ZL13mul_mat_vec_fI6__halffLi8ELi64ELb0ELb0EEvPKT_PKfPKi31ggml_cuda_mm_fusion_args_devicePfi15HIP_vector_typeIjLj3EEiiiSB_iiiSB_iiii.num_agpr, 0
	.set _ZL13mul_mat_vec_fI6__halffLi8ELi64ELb0ELb0EEvPKT_PKfPKi31ggml_cuda_mm_fusion_args_devicePfi15HIP_vector_typeIjLj3EEiiiSB_iiiSB_iiii.numbered_sgpr, 38
	.set _ZL13mul_mat_vec_fI6__halffLi8ELi64ELb0ELb0EEvPKT_PKfPKi31ggml_cuda_mm_fusion_args_devicePfi15HIP_vector_typeIjLj3EEiiiSB_iiiSB_iiii.num_named_barrier, 0
	.set _ZL13mul_mat_vec_fI6__halffLi8ELi64ELb0ELb0EEvPKT_PKfPKi31ggml_cuda_mm_fusion_args_devicePfi15HIP_vector_typeIjLj3EEiiiSB_iiiSB_iiii.private_seg_size, 0
	.set _ZL13mul_mat_vec_fI6__halffLi8ELi64ELb0ELb0EEvPKT_PKfPKi31ggml_cuda_mm_fusion_args_devicePfi15HIP_vector_typeIjLj3EEiiiSB_iiiSB_iiii.uses_vcc, 1
	.set _ZL13mul_mat_vec_fI6__halffLi8ELi64ELb0ELb0EEvPKT_PKfPKi31ggml_cuda_mm_fusion_args_devicePfi15HIP_vector_typeIjLj3EEiiiSB_iiiSB_iiii.uses_flat_scratch, 0
	.set _ZL13mul_mat_vec_fI6__halffLi8ELi64ELb0ELb0EEvPKT_PKfPKi31ggml_cuda_mm_fusion_args_devicePfi15HIP_vector_typeIjLj3EEiiiSB_iiiSB_iiii.has_dyn_sized_stack, 0
	.set _ZL13mul_mat_vec_fI6__halffLi8ELi64ELb0ELb0EEvPKT_PKfPKi31ggml_cuda_mm_fusion_args_devicePfi15HIP_vector_typeIjLj3EEiiiSB_iiiSB_iiii.has_recursion, 0
	.set _ZL13mul_mat_vec_fI6__halffLi8ELi64ELb0ELb0EEvPKT_PKfPKi31ggml_cuda_mm_fusion_args_devicePfi15HIP_vector_typeIjLj3EEiiiSB_iiiSB_iiii.has_indirect_call, 0
	.section	.AMDGPU.csdata,"",@progbits
; Kernel info:
; codeLenInByte = 3128
; TotalNumSgprs: 40
; NumVgprs: 32
; ScratchSize: 0
; MemoryBound: 0
; FloatMode: 240
; IeeeMode: 1
; LDSByteSize: 0 bytes/workgroup (compile time only)
; SGPRBlocks: 0
; VGPRBlocks: 3
; NumSGPRsForWavesPerEU: 40
; NumVGPRsForWavesPerEU: 32
; Occupancy: 16
; WaveLimiterHint : 0
; COMPUTE_PGM_RSRC2:SCRATCH_EN: 0
; COMPUTE_PGM_RSRC2:USER_SGPR: 6
; COMPUTE_PGM_RSRC2:TRAP_HANDLER: 0
; COMPUTE_PGM_RSRC2:TGID_X_EN: 1
; COMPUTE_PGM_RSRC2:TGID_Y_EN: 1
; COMPUTE_PGM_RSRC2:TGID_Z_EN: 1
; COMPUTE_PGM_RSRC2:TIDIG_COMP_CNT: 0
	.section	.text._ZL13mul_mat_vec_fI6__halffLi8ELi96ELb0ELb0EEvPKT_PKfPKi31ggml_cuda_mm_fusion_args_devicePfi15HIP_vector_typeIjLj3EEiiiSB_iiiSB_iiii,"axG",@progbits,_ZL13mul_mat_vec_fI6__halffLi8ELi96ELb0ELb0EEvPKT_PKfPKi31ggml_cuda_mm_fusion_args_devicePfi15HIP_vector_typeIjLj3EEiiiSB_iiiSB_iiii,comdat
	.globl	_ZL13mul_mat_vec_fI6__halffLi8ELi96ELb0ELb0EEvPKT_PKfPKi31ggml_cuda_mm_fusion_args_devicePfi15HIP_vector_typeIjLj3EEiiiSB_iiiSB_iiii ; -- Begin function _ZL13mul_mat_vec_fI6__halffLi8ELi96ELb0ELb0EEvPKT_PKfPKi31ggml_cuda_mm_fusion_args_devicePfi15HIP_vector_typeIjLj3EEiiiSB_iiiSB_iiii
	.p2align	8
	.type	_ZL13mul_mat_vec_fI6__halffLi8ELi96ELb0ELb0EEvPKT_PKfPKi31ggml_cuda_mm_fusion_args_devicePfi15HIP_vector_typeIjLj3EEiiiSB_iiiSB_iiii,@function
_ZL13mul_mat_vec_fI6__halffLi8ELi96ELb0ELb0EEvPKT_PKfPKi31ggml_cuda_mm_fusion_args_devicePfi15HIP_vector_typeIjLj3EEiiiSB_iiiSB_iiii: ; @_ZL13mul_mat_vec_fI6__halffLi8ELi96ELb0ELb0EEvPKT_PKfPKi31ggml_cuda_mm_fusion_args_devicePfi15HIP_vector_typeIjLj3EEiiiSB_iiiSB_iiii
; %bb.0:
	s_clause 0x2
	s_load_dwordx2 s[0:1], s[4:5], 0x10
	s_load_dwordx8 s[12:19], s[4:5], 0x40
	s_load_dwordx4 s[20:23], s[4:5], 0x80
	s_waitcnt lgkmcnt(0)
	s_cmp_eq_u64 s[0:1], 0
	s_cselect_b32 s10, -1, 0
	s_cmp_lg_u64 s[0:1], 0
	s_cselect_b32 s11, -1, 0
	s_and_b32 vcc_lo, exec_lo, s10
	s_cbranch_vccnz .LBB258_2
; %bb.1:
	s_mul_i32 s2, s23, s8
	s_mov_b32 s3, 0
	s_add_i32 s2, s2, s7
	s_lshl_b64 s[24:25], s[2:3], 2
	s_add_u32 s0, s0, s24
	s_addc_u32 s1, s1, s25
	s_load_dword s9, s[0:1], 0x0
	s_cbranch_execz .LBB258_3
	s_branch .LBB258_4
.LBB258_2:
                                        ; implicit-def: $sgpr9
.LBB258_3:
	s_load_dwordx2 s[0:1], s[4:5], 0x5c
	s_waitcnt lgkmcnt(0)
	s_mul_hi_u32 s0, s0, s7
	s_add_i32 s0, s7, s0
	s_lshr_b32 s9, s0, s1
.LBB258_4:
	s_load_dwordx4 s[24:27], s[4:5], 0x68
	s_andn2_b32 vcc_lo, exec_lo, s11
	s_mov_b32 s19, s7
	s_cbranch_vccnz .LBB258_6
; %bb.5:
	s_mul_hi_u32 s0, s13, s7
	s_add_i32 s0, s7, s0
	s_lshr_b32 s0, s0, s14
	s_mul_i32 s0, s0, s15
	s_sub_i32 s19, s7, s0
.LBB258_6:
	s_load_dword s15, s[4:5], 0x78
	v_cmp_gt_u32_e32 vcc_lo, 32, v0
	v_lshl_add_u32 v5, v0, 2, 0
	s_and_saveexec_b32 s0, vcc_lo
; %bb.7:
	v_mov_b32_e32 v1, 0
	ds_write_b32 v5, v1
; %bb.8:
	s_or_b32 exec_lo, exec_lo, s0
	v_mov_b32_e32 v6, 0
	v_mov_b32_e32 v7, 0
	;; [unrolled: 1-line block ×8, first 2 shown]
	s_and_b32 s0, exec_lo, s10
	s_mov_b32 s11, 0
	s_cselect_b32 s10, s8, 0
	s_mov_b32 s13, exec_lo
	s_waitcnt lgkmcnt(0)
	s_barrier
	buffer_gl0_inv
	v_cmpx_gt_i32_e64 s12, v0
	s_cbranch_execz .LBB258_12
; %bb.9:
	s_load_dwordx4 s[0:3], s[4:5], 0x0
	s_mul_hi_u32 s23, s27, s10
	s_mul_hi_i32 s29, s21, s10
	s_mul_i32 s28, s21, s10
	s_mul_i32 s8, s9, s24
	;; [unrolled: 1-line block ×4, first 2 shown]
	s_add_i32 s16, s10, s23
	s_lshl_b64 s[28:29], s[28:29], 2
	s_ashr_i32 s9, s8, 31
	s_ashr_i32 s25, s24, 31
	;; [unrolled: 1-line block ×3, first 2 shown]
	s_lshr_b32 s15, s16, s15
	s_mov_b32 s34, s17
	s_mul_hi_i32 s37, s15, s20
	s_mul_i32 s36, s15, s20
	v_lshlrev_b32_e32 v2, 3, v0
	v_lshlrev_b32_e32 v1, 2, v0
	v_mov_b32_e32 v12, 0
	v_mov_b32_e32 v13, v0
	s_waitcnt lgkmcnt(0)
	s_add_u32 s16, s2, s28
	s_addc_u32 s19, s3, s29
	s_lshl_b64 s[30:31], s[30:31], 2
	v_mov_b32_e32 v14, 0
	s_add_u32 s15, s16, s30
	s_addc_u32 s16, s19, s31
	s_lshl_b64 s[8:9], s[8:9], 1
	s_ashr_i32 s35, s17, 31
	s_add_i32 s19, s17, s17
	s_lshl_b32 s20, s17, 2
	s_lshl_b64 s[36:37], s[36:37], 1
	s_lshl_b64 s[24:25], s[24:25], 1
	s_add_u32 s0, s0, s8
	s_addc_u32 s1, s1, s9
	s_add_u32 s0, s0, s24
	s_addc_u32 s1, s1, s25
	;; [unrolled: 2-line block ×3, first 2 shown]
	s_lshl_b64 s[8:9], s[34:35], 3
	s_add_u32 s2, s2, s30
	s_addc_u32 s3, s3, s31
	s_add_u32 s2, s2, s28
	s_addc_u32 s3, s3, s29
	v_add_co_u32 v3, s2, s2, v2
	v_add_co_ci_u32_e64 v4, null, s3, 0, s2
	v_add_co_u32 v1, s0, s0, v1
	v_add_co_ci_u32_e64 v2, null, s1, 0, s0
	;; [unrolled: 2-line block ×3, first 2 shown]
	v_mov_b32_e32 v11, 0
	v_mov_b32_e32 v10, 0
	;; [unrolled: 1-line block ×6, first 2 shown]
	s_mul_i32 s14, s17, 3
	s_mul_i32 s1, s17, 5
	;; [unrolled: 1-line block ×4, first 2 shown]
.LBB258_10:                             ; =>This Inner Loop Header: Depth=1
	v_add_nc_u32_e32 v19, s19, v13
	v_add_nc_u32_e32 v21, s14, v13
	v_add_nc_u32_e32 v23, s20, v13
	v_add_nc_u32_e32 v25, s1, v13
	v_add_nc_u32_e32 v27, s2, v13
	v_ashrrev_i32_e32 v20, 31, v19
	v_ashrrev_i32_e32 v22, 31, v21
	;; [unrolled: 1-line block ×3, first 2 shown]
	v_add_nc_u32_e32 v29, s3, v13
	v_ashrrev_i32_e32 v26, 31, v25
	v_lshlrev_b64 v[19:20], 3, v[19:20]
	v_lshlrev_b64 v[21:22], 3, v[21:22]
	v_ashrrev_i32_e32 v28, 31, v27
	v_add_co_u32 v17, s0, v3, s8
	v_lshlrev_b64 v[23:24], 3, v[23:24]
	v_ashrrev_i32_e32 v30, 31, v29
	v_add_co_ci_u32_e64 v18, null, s9, v4, s0
	v_lshlrev_b64 v[25:26], 3, v[25:26]
	v_add_co_u32 v19, s0, s15, v19
	v_lshlrev_b64 v[27:28], 3, v[27:28]
	v_add_co_ci_u32_e64 v20, null, s16, v20, s0
	v_add_co_u32 v21, s0, s15, v21
	v_lshlrev_b64 v[29:30], 3, v[29:30]
	v_add_co_ci_u32_e64 v22, null, s16, v22, s0
	v_add_co_u32 v23, s0, s15, v23
	v_add_co_ci_u32_e64 v24, null, s16, v24, s0
	v_add_co_u32 v25, s0, s15, v25
	;; [unrolled: 2-line block ×4, first 2 shown]
	v_add_co_ci_u32_e64 v30, null, s16, v30, s0
	global_load_dword v31, v[1:2], off
	s_clause 0x1
	global_load_dwordx2 v[15:16], v[3:4], off offset:-4
	global_load_dwordx2 v[17:18], v[17:18], off offset:-4
	s_clause 0x5
	global_load_dwordx2 v[19:20], v[19:20], off
	global_load_dwordx2 v[21:22], v[21:22], off
	;; [unrolled: 1-line block ×6, first 2 shown]
	v_add_nc_u32_e32 v13, 0x60, v13
	v_add_co_u32 v1, s0, 0x180, v1
	v_add_co_ci_u32_e64 v2, null, 0, v2, s0
	v_add_co_u32 v3, s0, 0x300, v3
	v_add_co_ci_u32_e64 v4, null, 0, v4, s0
	v_cmp_le_i32_e64 s0, s12, v13
	s_or_b32 s11, s0, s11
	s_waitcnt vmcnt(5)
	v_fma_mix_f32 v11, v19, v31, v11 op_sel_hi:[0,1,0]
	v_fma_mix_f32 v12, v15, v31, v12 op_sel_hi:[0,1,0]
	;; [unrolled: 1-line block ×3, first 2 shown]
	s_waitcnt vmcnt(4)
	v_fma_mix_f32 v10, v21, v31, v10 op_sel_hi:[0,1,0]
	s_waitcnt vmcnt(3)
	v_fma_mix_f32 v9, v23, v31, v9 op_sel_hi:[0,1,0]
	;; [unrolled: 2-line block ×5, first 2 shown]
	v_fma_mix_f32 v12, v16, v31, v12 op_sel:[0,1,0] op_sel_hi:[0,1,0]
	v_fma_mix_f32 v14, v18, v31, v14 op_sel:[0,1,0] op_sel_hi:[0,1,0]
	v_fma_mix_f32 v11, v20, v31, v11 op_sel:[0,1,0] op_sel_hi:[0,1,0]
	v_fma_mix_f32 v10, v22, v31, v10 op_sel:[0,1,0] op_sel_hi:[0,1,0]
	v_fma_mix_f32 v9, v24, v31, v9 op_sel:[0,1,0] op_sel_hi:[0,1,0]
	v_fma_mix_f32 v8, v26, v31, v8 op_sel:[0,1,0] op_sel_hi:[0,1,0]
	v_fma_mix_f32 v7, v28, v31, v7 op_sel:[0,1,0] op_sel_hi:[0,1,0]
	v_fma_mix_f32 v6, v30, v31, v6 op_sel:[0,1,0] op_sel_hi:[0,1,0]
	s_andn2_b32 exec_lo, exec_lo, s11
	s_cbranch_execnz .LBB258_10
; %bb.11:
	s_or_b32 exec_lo, exec_lo, s11
.LBB258_12:
	s_or_b32 exec_lo, exec_lo, s13
	v_mbcnt_lo_u32_b32 v2, -1, 0
	v_xor_b32_e32 v1, 16, v2
	v_xor_b32_e32 v3, 8, v2
	v_cmp_gt_i32_e64 s0, 32, v1
	v_cndmask_b32_e64 v1, v2, v1, s0
	v_cmp_gt_i32_e64 s0, 32, v3
	v_lshlrev_b32_e32 v1, 2, v1
	v_cndmask_b32_e64 v3, v2, v3, s0
	ds_bpermute_b32 v4, v1, v12
	v_lshlrev_b32_e32 v3, 2, v3
	s_waitcnt lgkmcnt(0)
	v_add_f32_e32 v12, v12, v4
	v_xor_b32_e32 v4, 4, v2
	ds_bpermute_b32 v13, v3, v12
	v_cmp_gt_i32_e64 s0, 32, v4
	v_cndmask_b32_e64 v4, v2, v4, s0
	v_lshlrev_b32_e32 v4, 2, v4
	s_waitcnt lgkmcnt(0)
	v_add_f32_e32 v13, v12, v13
	v_xor_b32_e32 v12, 2, v2
	ds_bpermute_b32 v15, v4, v13
	v_cmp_gt_i32_e64 s0, 32, v12
	v_cndmask_b32_e64 v12, v2, v12, s0
	;; [unrolled: 7-line block ×3, first 2 shown]
	v_lshlrev_b32_e32 v13, 2, v2
	s_waitcnt lgkmcnt(0)
	v_add_f32_e32 v2, v15, v16
	v_lshrrev_b32_e32 v15, 3, v0
	ds_bpermute_b32 v16, v13, v2
	v_and_b32_e32 v15, 0x7c, v15
	v_add_nc_u32_e32 v15, 0, v15
	s_waitcnt lgkmcnt(0)
	v_add_f32_e32 v2, v2, v16
	ds_write_b32 v15, v2
	s_waitcnt lgkmcnt(0)
	s_barrier
	buffer_gl0_inv
	s_and_saveexec_b32 s0, vcc_lo
	s_cbranch_execz .LBB258_14
; %bb.13:
	ds_read_b32 v2, v5
	s_waitcnt lgkmcnt(0)
	ds_bpermute_b32 v16, v1, v2
	s_waitcnt lgkmcnt(0)
	v_add_f32_e32 v2, v2, v16
	ds_bpermute_b32 v16, v3, v2
	s_waitcnt lgkmcnt(0)
	v_add_f32_e32 v2, v2, v16
	ds_bpermute_b32 v16, v4, v2
	s_waitcnt lgkmcnt(0)
	v_add_f32_e32 v2, v2, v16
	ds_bpermute_b32 v16, v12, v2
	s_waitcnt lgkmcnt(0)
	v_add_f32_e32 v2, v2, v16
	ds_bpermute_b32 v16, v13, v2
	s_waitcnt lgkmcnt(0)
	v_add_f32_e32 v2, v2, v16
.LBB258_14:
	s_or_b32 exec_lo, exec_lo, s0
	ds_bpermute_b32 v16, v1, v14
	s_waitcnt lgkmcnt(0)
	s_barrier
	buffer_gl0_inv
	v_add_f32_e32 v14, v14, v16
	ds_bpermute_b32 v16, v3, v14
	s_waitcnt lgkmcnt(0)
	v_add_f32_e32 v14, v14, v16
	ds_bpermute_b32 v16, v4, v14
	s_waitcnt lgkmcnt(0)
	v_add_f32_e32 v14, v14, v16
	ds_bpermute_b32 v16, v12, v14
	s_waitcnt lgkmcnt(0)
	v_add_f32_e32 v14, v14, v16
	ds_bpermute_b32 v16, v13, v14
	s_waitcnt lgkmcnt(0)
	v_add_f32_e32 v14, v14, v16
	ds_write_b32 v15, v14
	s_waitcnt lgkmcnt(0)
	s_barrier
	buffer_gl0_inv
	s_and_saveexec_b32 s0, vcc_lo
	s_cbranch_execz .LBB258_16
; %bb.15:
	ds_read_b32 v14, v5
	s_waitcnt lgkmcnt(0)
	ds_bpermute_b32 v16, v1, v14
	s_waitcnt lgkmcnt(0)
	v_add_f32_e32 v14, v14, v16
	ds_bpermute_b32 v16, v3, v14
	s_waitcnt lgkmcnt(0)
	v_add_f32_e32 v14, v14, v16
	ds_bpermute_b32 v16, v4, v14
	s_waitcnt lgkmcnt(0)
	v_add_f32_e32 v14, v14, v16
	ds_bpermute_b32 v16, v12, v14
	s_waitcnt lgkmcnt(0)
	v_add_f32_e32 v14, v14, v16
	ds_bpermute_b32 v16, v13, v14
	s_waitcnt lgkmcnt(0)
	v_add_f32_e32 v14, v14, v16
.LBB258_16:
	s_or_b32 exec_lo, exec_lo, s0
	ds_bpermute_b32 v16, v1, v11
	s_waitcnt lgkmcnt(0)
	s_barrier
	buffer_gl0_inv
	v_add_f32_e32 v11, v11, v16
	ds_bpermute_b32 v16, v3, v11
	s_waitcnt lgkmcnt(0)
	v_add_f32_e32 v11, v11, v16
	ds_bpermute_b32 v16, v4, v11
	s_waitcnt lgkmcnt(0)
	v_add_f32_e32 v11, v11, v16
	ds_bpermute_b32 v16, v12, v11
	s_waitcnt lgkmcnt(0)
	v_add_f32_e32 v11, v11, v16
	ds_bpermute_b32 v16, v13, v11
	;; [unrolled: 43-line block ×7, first 2 shown]
	s_waitcnt lgkmcnt(0)
	v_add_f32_e32 v6, v6, v16
	ds_write_b32 v15, v6
	s_waitcnt lgkmcnt(0)
	s_barrier
	buffer_gl0_inv
	s_and_saveexec_b32 s0, vcc_lo
	s_cbranch_execz .LBB258_28
; %bb.27:
	ds_read_b32 v5, v5
	s_waitcnt lgkmcnt(0)
	ds_bpermute_b32 v1, v1, v5
	s_waitcnt lgkmcnt(0)
	v_add_f32_e32 v1, v5, v1
	ds_bpermute_b32 v3, v3, v1
	s_waitcnt lgkmcnt(0)
	v_add_f32_e32 v1, v1, v3
	;; [unrolled: 3-line block ×5, first 2 shown]
.LBB258_28:
	s_or_b32 exec_lo, exec_lo, s0
	s_barrier
	buffer_gl0_inv
	s_mov_b32 s0, exec_lo
	v_cmpx_gt_u32_e32 8, v0
	s_cbranch_execz .LBB258_30
; %bb.29:
	v_cmp_eq_u32_e32 vcc_lo, 1, v0
	s_load_dwordx2 s[0:1], s[4:5], 0x38
	s_mul_hi_i32 s3, s22, s10
	s_mul_i32 s2, s22, s10
	s_mul_i32 s4, s26, s7
	v_cndmask_b32_e32 v1, v2, v14, vcc_lo
	v_cmp_eq_u32_e32 vcc_lo, 2, v0
	s_lshl_b64 s[2:3], s[2:3], 2
	s_ashr_i32 s5, s4, 31
	v_cndmask_b32_e32 v3, v1, v11, vcc_lo
	v_cmp_eq_u32_e32 vcc_lo, 3, v0
	v_mad_u64_u32 v[1:2], null, s18, v0, s[6:7]
	v_cndmask_b32_e32 v2, v3, v10, vcc_lo
	v_cmp_eq_u32_e32 vcc_lo, 4, v0
	s_waitcnt lgkmcnt(0)
	s_add_u32 s2, s0, s2
	s_addc_u32 s3, s1, s3
	v_cndmask_b32_e32 v3, v2, v9, vcc_lo
	v_cmp_eq_u32_e32 vcc_lo, 5, v0
	v_ashrrev_i32_e32 v2, 31, v1
	s_lshl_b64 s[0:1], s[4:5], 2
	s_add_u32 s0, s2, s0
	v_cndmask_b32_e32 v3, v3, v8, vcc_lo
	v_cmp_eq_u32_e32 vcc_lo, 6, v0
	v_lshlrev_b64 v[1:2], 2, v[1:2]
	s_addc_u32 s1, s3, s1
	v_cndmask_b32_e32 v3, v3, v7, vcc_lo
	v_cmp_eq_u32_e32 vcc_lo, 7, v0
	v_cndmask_b32_e32 v3, v3, v6, vcc_lo
	v_add_co_u32 v0, vcc_lo, s0, v1
	v_add_co_ci_u32_e64 v1, null, s1, v2, vcc_lo
	global_store_dword v[0:1], v3, off
.LBB258_30:
	s_endpgm
	.section	.rodata,"a",@progbits
	.p2align	6, 0x0
	.amdhsa_kernel _ZL13mul_mat_vec_fI6__halffLi8ELi96ELb0ELb0EEvPKT_PKfPKi31ggml_cuda_mm_fusion_args_devicePfi15HIP_vector_typeIjLj3EEiiiSB_iiiSB_iiii
		.amdhsa_group_segment_fixed_size 0
		.amdhsa_private_segment_fixed_size 0
		.amdhsa_kernarg_size 144
		.amdhsa_user_sgpr_count 6
		.amdhsa_user_sgpr_private_segment_buffer 1
		.amdhsa_user_sgpr_dispatch_ptr 0
		.amdhsa_user_sgpr_queue_ptr 0
		.amdhsa_user_sgpr_kernarg_segment_ptr 1
		.amdhsa_user_sgpr_dispatch_id 0
		.amdhsa_user_sgpr_flat_scratch_init 0
		.amdhsa_user_sgpr_private_segment_size 0
		.amdhsa_wavefront_size32 1
		.amdhsa_uses_dynamic_stack 0
		.amdhsa_system_sgpr_private_segment_wavefront_offset 0
		.amdhsa_system_sgpr_workgroup_id_x 1
		.amdhsa_system_sgpr_workgroup_id_y 1
		.amdhsa_system_sgpr_workgroup_id_z 1
		.amdhsa_system_sgpr_workgroup_info 0
		.amdhsa_system_vgpr_workitem_id 0
		.amdhsa_next_free_vgpr 32
		.amdhsa_next_free_sgpr 38
		.amdhsa_reserve_vcc 1
		.amdhsa_reserve_flat_scratch 0
		.amdhsa_float_round_mode_32 0
		.amdhsa_float_round_mode_16_64 0
		.amdhsa_float_denorm_mode_32 3
		.amdhsa_float_denorm_mode_16_64 3
		.amdhsa_dx10_clamp 1
		.amdhsa_ieee_mode 1
		.amdhsa_fp16_overflow 0
		.amdhsa_workgroup_processor_mode 1
		.amdhsa_memory_ordered 1
		.amdhsa_forward_progress 1
		.amdhsa_shared_vgpr_count 0
		.amdhsa_exception_fp_ieee_invalid_op 0
		.amdhsa_exception_fp_denorm_src 0
		.amdhsa_exception_fp_ieee_div_zero 0
		.amdhsa_exception_fp_ieee_overflow 0
		.amdhsa_exception_fp_ieee_underflow 0
		.amdhsa_exception_fp_ieee_inexact 0
		.amdhsa_exception_int_div_zero 0
	.end_amdhsa_kernel
	.section	.text._ZL13mul_mat_vec_fI6__halffLi8ELi96ELb0ELb0EEvPKT_PKfPKi31ggml_cuda_mm_fusion_args_devicePfi15HIP_vector_typeIjLj3EEiiiSB_iiiSB_iiii,"axG",@progbits,_ZL13mul_mat_vec_fI6__halffLi8ELi96ELb0ELb0EEvPKT_PKfPKi31ggml_cuda_mm_fusion_args_devicePfi15HIP_vector_typeIjLj3EEiiiSB_iiiSB_iiii,comdat
.Lfunc_end258:
	.size	_ZL13mul_mat_vec_fI6__halffLi8ELi96ELb0ELb0EEvPKT_PKfPKi31ggml_cuda_mm_fusion_args_devicePfi15HIP_vector_typeIjLj3EEiiiSB_iiiSB_iiii, .Lfunc_end258-_ZL13mul_mat_vec_fI6__halffLi8ELi96ELb0ELb0EEvPKT_PKfPKi31ggml_cuda_mm_fusion_args_devicePfi15HIP_vector_typeIjLj3EEiiiSB_iiiSB_iiii
                                        ; -- End function
	.set _ZL13mul_mat_vec_fI6__halffLi8ELi96ELb0ELb0EEvPKT_PKfPKi31ggml_cuda_mm_fusion_args_devicePfi15HIP_vector_typeIjLj3EEiiiSB_iiiSB_iiii.num_vgpr, 32
	.set _ZL13mul_mat_vec_fI6__halffLi8ELi96ELb0ELb0EEvPKT_PKfPKi31ggml_cuda_mm_fusion_args_devicePfi15HIP_vector_typeIjLj3EEiiiSB_iiiSB_iiii.num_agpr, 0
	.set _ZL13mul_mat_vec_fI6__halffLi8ELi96ELb0ELb0EEvPKT_PKfPKi31ggml_cuda_mm_fusion_args_devicePfi15HIP_vector_typeIjLj3EEiiiSB_iiiSB_iiii.numbered_sgpr, 38
	.set _ZL13mul_mat_vec_fI6__halffLi8ELi96ELb0ELb0EEvPKT_PKfPKi31ggml_cuda_mm_fusion_args_devicePfi15HIP_vector_typeIjLj3EEiiiSB_iiiSB_iiii.num_named_barrier, 0
	.set _ZL13mul_mat_vec_fI6__halffLi8ELi96ELb0ELb0EEvPKT_PKfPKi31ggml_cuda_mm_fusion_args_devicePfi15HIP_vector_typeIjLj3EEiiiSB_iiiSB_iiii.private_seg_size, 0
	.set _ZL13mul_mat_vec_fI6__halffLi8ELi96ELb0ELb0EEvPKT_PKfPKi31ggml_cuda_mm_fusion_args_devicePfi15HIP_vector_typeIjLj3EEiiiSB_iiiSB_iiii.uses_vcc, 1
	.set _ZL13mul_mat_vec_fI6__halffLi8ELi96ELb0ELb0EEvPKT_PKfPKi31ggml_cuda_mm_fusion_args_devicePfi15HIP_vector_typeIjLj3EEiiiSB_iiiSB_iiii.uses_flat_scratch, 0
	.set _ZL13mul_mat_vec_fI6__halffLi8ELi96ELb0ELb0EEvPKT_PKfPKi31ggml_cuda_mm_fusion_args_devicePfi15HIP_vector_typeIjLj3EEiiiSB_iiiSB_iiii.has_dyn_sized_stack, 0
	.set _ZL13mul_mat_vec_fI6__halffLi8ELi96ELb0ELb0EEvPKT_PKfPKi31ggml_cuda_mm_fusion_args_devicePfi15HIP_vector_typeIjLj3EEiiiSB_iiiSB_iiii.has_recursion, 0
	.set _ZL13mul_mat_vec_fI6__halffLi8ELi96ELb0ELb0EEvPKT_PKfPKi31ggml_cuda_mm_fusion_args_devicePfi15HIP_vector_typeIjLj3EEiiiSB_iiiSB_iiii.has_indirect_call, 0
	.section	.AMDGPU.csdata,"",@progbits
; Kernel info:
; codeLenInByte = 3132
; TotalNumSgprs: 40
; NumVgprs: 32
; ScratchSize: 0
; MemoryBound: 0
; FloatMode: 240
; IeeeMode: 1
; LDSByteSize: 0 bytes/workgroup (compile time only)
; SGPRBlocks: 0
; VGPRBlocks: 3
; NumSGPRsForWavesPerEU: 40
; NumVGPRsForWavesPerEU: 32
; Occupancy: 16
; WaveLimiterHint : 0
; COMPUTE_PGM_RSRC2:SCRATCH_EN: 0
; COMPUTE_PGM_RSRC2:USER_SGPR: 6
; COMPUTE_PGM_RSRC2:TRAP_HANDLER: 0
; COMPUTE_PGM_RSRC2:TGID_X_EN: 1
; COMPUTE_PGM_RSRC2:TGID_Y_EN: 1
; COMPUTE_PGM_RSRC2:TGID_Z_EN: 1
; COMPUTE_PGM_RSRC2:TIDIG_COMP_CNT: 0
	.section	.text._ZL13mul_mat_vec_fI6__halffLi8ELi128ELb0ELb0EEvPKT_PKfPKi31ggml_cuda_mm_fusion_args_devicePfi15HIP_vector_typeIjLj3EEiiiSB_iiiSB_iiii,"axG",@progbits,_ZL13mul_mat_vec_fI6__halffLi8ELi128ELb0ELb0EEvPKT_PKfPKi31ggml_cuda_mm_fusion_args_devicePfi15HIP_vector_typeIjLj3EEiiiSB_iiiSB_iiii,comdat
	.globl	_ZL13mul_mat_vec_fI6__halffLi8ELi128ELb0ELb0EEvPKT_PKfPKi31ggml_cuda_mm_fusion_args_devicePfi15HIP_vector_typeIjLj3EEiiiSB_iiiSB_iiii ; -- Begin function _ZL13mul_mat_vec_fI6__halffLi8ELi128ELb0ELb0EEvPKT_PKfPKi31ggml_cuda_mm_fusion_args_devicePfi15HIP_vector_typeIjLj3EEiiiSB_iiiSB_iiii
	.p2align	8
	.type	_ZL13mul_mat_vec_fI6__halffLi8ELi128ELb0ELb0EEvPKT_PKfPKi31ggml_cuda_mm_fusion_args_devicePfi15HIP_vector_typeIjLj3EEiiiSB_iiiSB_iiii,@function
_ZL13mul_mat_vec_fI6__halffLi8ELi128ELb0ELb0EEvPKT_PKfPKi31ggml_cuda_mm_fusion_args_devicePfi15HIP_vector_typeIjLj3EEiiiSB_iiiSB_iiii: ; @_ZL13mul_mat_vec_fI6__halffLi8ELi128ELb0ELb0EEvPKT_PKfPKi31ggml_cuda_mm_fusion_args_devicePfi15HIP_vector_typeIjLj3EEiiiSB_iiiSB_iiii
; %bb.0:
	s_clause 0x2
	s_load_dwordx2 s[0:1], s[4:5], 0x10
	s_load_dwordx8 s[12:19], s[4:5], 0x40
	s_load_dwordx4 s[20:23], s[4:5], 0x80
	s_waitcnt lgkmcnt(0)
	s_cmp_eq_u64 s[0:1], 0
	s_cselect_b32 s10, -1, 0
	s_cmp_lg_u64 s[0:1], 0
	s_cselect_b32 s11, -1, 0
	s_and_b32 vcc_lo, exec_lo, s10
	s_cbranch_vccnz .LBB259_2
; %bb.1:
	s_mul_i32 s2, s23, s8
	s_mov_b32 s3, 0
	s_add_i32 s2, s2, s7
	s_lshl_b64 s[24:25], s[2:3], 2
	s_add_u32 s0, s0, s24
	s_addc_u32 s1, s1, s25
	s_load_dword s9, s[0:1], 0x0
	s_cbranch_execz .LBB259_3
	s_branch .LBB259_4
.LBB259_2:
                                        ; implicit-def: $sgpr9
.LBB259_3:
	s_load_dwordx2 s[0:1], s[4:5], 0x5c
	s_waitcnt lgkmcnt(0)
	s_mul_hi_u32 s0, s0, s7
	s_add_i32 s0, s7, s0
	s_lshr_b32 s9, s0, s1
.LBB259_4:
	s_load_dwordx4 s[24:27], s[4:5], 0x68
	s_andn2_b32 vcc_lo, exec_lo, s11
	s_mov_b32 s19, s7
	s_cbranch_vccnz .LBB259_6
; %bb.5:
	s_mul_hi_u32 s0, s13, s7
	s_add_i32 s0, s7, s0
	s_lshr_b32 s0, s0, s14
	s_mul_i32 s0, s0, s15
	s_sub_i32 s19, s7, s0
.LBB259_6:
	s_load_dword s15, s[4:5], 0x78
	v_cmp_gt_u32_e32 vcc_lo, 32, v0
	v_lshl_add_u32 v5, v0, 2, 0
	s_and_saveexec_b32 s0, vcc_lo
; %bb.7:
	v_mov_b32_e32 v1, 0
	ds_write_b32 v5, v1
; %bb.8:
	s_or_b32 exec_lo, exec_lo, s0
	v_mov_b32_e32 v6, 0
	v_mov_b32_e32 v7, 0
	;; [unrolled: 1-line block ×8, first 2 shown]
	s_and_b32 s0, exec_lo, s10
	s_mov_b32 s11, 0
	s_cselect_b32 s10, s8, 0
	s_mov_b32 s13, exec_lo
	s_waitcnt lgkmcnt(0)
	s_barrier
	buffer_gl0_inv
	v_cmpx_gt_i32_e64 s12, v0
	s_cbranch_execz .LBB259_12
; %bb.9:
	s_load_dwordx4 s[0:3], s[4:5], 0x0
	s_mul_hi_u32 s23, s27, s10
	s_mul_hi_i32 s29, s21, s10
	s_mul_i32 s28, s21, s10
	s_mul_i32 s8, s9, s24
	;; [unrolled: 1-line block ×4, first 2 shown]
	s_add_i32 s16, s10, s23
	s_lshl_b64 s[28:29], s[28:29], 2
	s_ashr_i32 s9, s8, 31
	s_ashr_i32 s25, s24, 31
	;; [unrolled: 1-line block ×3, first 2 shown]
	s_lshr_b32 s15, s16, s15
	s_mov_b32 s34, s17
	s_mul_hi_i32 s37, s15, s20
	s_mul_i32 s36, s15, s20
	v_lshlrev_b32_e32 v2, 3, v0
	v_lshlrev_b32_e32 v1, 2, v0
	v_mov_b32_e32 v12, 0
	v_mov_b32_e32 v13, v0
	s_waitcnt lgkmcnt(0)
	s_add_u32 s16, s2, s28
	s_addc_u32 s19, s3, s29
	s_lshl_b64 s[30:31], s[30:31], 2
	v_mov_b32_e32 v14, 0
	s_add_u32 s15, s16, s30
	s_addc_u32 s16, s19, s31
	s_lshl_b64 s[8:9], s[8:9], 1
	s_ashr_i32 s35, s17, 31
	s_add_i32 s19, s17, s17
	s_lshl_b32 s20, s17, 2
	s_lshl_b64 s[36:37], s[36:37], 1
	s_lshl_b64 s[24:25], s[24:25], 1
	s_add_u32 s0, s0, s8
	s_addc_u32 s1, s1, s9
	s_add_u32 s0, s0, s24
	s_addc_u32 s1, s1, s25
	;; [unrolled: 2-line block ×3, first 2 shown]
	s_lshl_b64 s[8:9], s[34:35], 3
	s_add_u32 s2, s2, s30
	s_addc_u32 s3, s3, s31
	s_add_u32 s2, s2, s28
	s_addc_u32 s3, s3, s29
	v_add_co_u32 v3, s2, s2, v2
	v_add_co_ci_u32_e64 v4, null, s3, 0, s2
	v_add_co_u32 v1, s0, s0, v1
	v_add_co_ci_u32_e64 v2, null, s1, 0, s0
	v_add_co_u32 v3, s0, v3, 4
	v_add_co_ci_u32_e64 v4, null, 0, v4, s0
	v_mov_b32_e32 v11, 0
	v_mov_b32_e32 v10, 0
	;; [unrolled: 1-line block ×6, first 2 shown]
	s_mul_i32 s14, s17, 3
	s_mul_i32 s1, s17, 5
	;; [unrolled: 1-line block ×4, first 2 shown]
.LBB259_10:                             ; =>This Inner Loop Header: Depth=1
	v_add_nc_u32_e32 v19, s19, v13
	v_add_nc_u32_e32 v21, s14, v13
	;; [unrolled: 1-line block ×5, first 2 shown]
	v_ashrrev_i32_e32 v20, 31, v19
	v_ashrrev_i32_e32 v22, 31, v21
	;; [unrolled: 1-line block ×3, first 2 shown]
	v_add_nc_u32_e32 v29, s3, v13
	v_ashrrev_i32_e32 v26, 31, v25
	v_lshlrev_b64 v[19:20], 3, v[19:20]
	v_lshlrev_b64 v[21:22], 3, v[21:22]
	v_ashrrev_i32_e32 v28, 31, v27
	v_add_co_u32 v17, s0, v3, s8
	v_lshlrev_b64 v[23:24], 3, v[23:24]
	v_ashrrev_i32_e32 v30, 31, v29
	v_add_co_ci_u32_e64 v18, null, s9, v4, s0
	v_lshlrev_b64 v[25:26], 3, v[25:26]
	v_add_co_u32 v19, s0, s15, v19
	v_lshlrev_b64 v[27:28], 3, v[27:28]
	v_add_co_ci_u32_e64 v20, null, s16, v20, s0
	v_add_co_u32 v21, s0, s15, v21
	v_lshlrev_b64 v[29:30], 3, v[29:30]
	v_add_co_ci_u32_e64 v22, null, s16, v22, s0
	v_add_co_u32 v23, s0, s15, v23
	v_add_co_ci_u32_e64 v24, null, s16, v24, s0
	v_add_co_u32 v25, s0, s15, v25
	;; [unrolled: 2-line block ×4, first 2 shown]
	v_add_co_ci_u32_e64 v30, null, s16, v30, s0
	global_load_dword v31, v[1:2], off
	s_clause 0x1
	global_load_dwordx2 v[15:16], v[3:4], off offset:-4
	global_load_dwordx2 v[17:18], v[17:18], off offset:-4
	s_clause 0x5
	global_load_dwordx2 v[19:20], v[19:20], off
	global_load_dwordx2 v[21:22], v[21:22], off
	;; [unrolled: 1-line block ×6, first 2 shown]
	v_add_nc_u32_e32 v13, 0x80, v13
	v_add_co_u32 v1, s0, 0x200, v1
	v_add_co_ci_u32_e64 v2, null, 0, v2, s0
	v_add_co_u32 v3, s0, 0x400, v3
	v_add_co_ci_u32_e64 v4, null, 0, v4, s0
	v_cmp_le_i32_e64 s0, s12, v13
	s_or_b32 s11, s0, s11
	s_waitcnt vmcnt(5)
	v_fma_mix_f32 v11, v19, v31, v11 op_sel_hi:[0,1,0]
	v_fma_mix_f32 v12, v15, v31, v12 op_sel_hi:[0,1,0]
	v_fma_mix_f32 v14, v17, v31, v14 op_sel_hi:[0,1,0]
	s_waitcnt vmcnt(4)
	v_fma_mix_f32 v10, v21, v31, v10 op_sel_hi:[0,1,0]
	s_waitcnt vmcnt(3)
	v_fma_mix_f32 v9, v23, v31, v9 op_sel_hi:[0,1,0]
	;; [unrolled: 2-line block ×5, first 2 shown]
	v_fma_mix_f32 v12, v16, v31, v12 op_sel:[0,1,0] op_sel_hi:[0,1,0]
	v_fma_mix_f32 v14, v18, v31, v14 op_sel:[0,1,0] op_sel_hi:[0,1,0]
	v_fma_mix_f32 v11, v20, v31, v11 op_sel:[0,1,0] op_sel_hi:[0,1,0]
	v_fma_mix_f32 v10, v22, v31, v10 op_sel:[0,1,0] op_sel_hi:[0,1,0]
	v_fma_mix_f32 v9, v24, v31, v9 op_sel:[0,1,0] op_sel_hi:[0,1,0]
	v_fma_mix_f32 v8, v26, v31, v8 op_sel:[0,1,0] op_sel_hi:[0,1,0]
	v_fma_mix_f32 v7, v28, v31, v7 op_sel:[0,1,0] op_sel_hi:[0,1,0]
	v_fma_mix_f32 v6, v30, v31, v6 op_sel:[0,1,0] op_sel_hi:[0,1,0]
	s_andn2_b32 exec_lo, exec_lo, s11
	s_cbranch_execnz .LBB259_10
; %bb.11:
	s_or_b32 exec_lo, exec_lo, s11
.LBB259_12:
	s_or_b32 exec_lo, exec_lo, s13
	v_mbcnt_lo_u32_b32 v2, -1, 0
	v_xor_b32_e32 v1, 16, v2
	v_xor_b32_e32 v3, 8, v2
	v_cmp_gt_i32_e64 s0, 32, v1
	v_cndmask_b32_e64 v1, v2, v1, s0
	v_cmp_gt_i32_e64 s0, 32, v3
	v_lshlrev_b32_e32 v1, 2, v1
	v_cndmask_b32_e64 v3, v2, v3, s0
	ds_bpermute_b32 v4, v1, v12
	v_lshlrev_b32_e32 v3, 2, v3
	s_waitcnt lgkmcnt(0)
	v_add_f32_e32 v12, v12, v4
	v_xor_b32_e32 v4, 4, v2
	ds_bpermute_b32 v13, v3, v12
	v_cmp_gt_i32_e64 s0, 32, v4
	v_cndmask_b32_e64 v4, v2, v4, s0
	v_lshlrev_b32_e32 v4, 2, v4
	s_waitcnt lgkmcnt(0)
	v_add_f32_e32 v13, v12, v13
	v_xor_b32_e32 v12, 2, v2
	ds_bpermute_b32 v15, v4, v13
	v_cmp_gt_i32_e64 s0, 32, v12
	v_cndmask_b32_e64 v12, v2, v12, s0
	v_lshlrev_b32_e32 v12, 2, v12
	s_waitcnt lgkmcnt(0)
	v_add_f32_e32 v15, v13, v15
	v_xor_b32_e32 v13, 1, v2
	ds_bpermute_b32 v16, v12, v15
	v_cmp_gt_i32_e64 s0, 32, v13
	v_cndmask_b32_e64 v2, v2, v13, s0
	v_lshlrev_b32_e32 v13, 2, v2
	s_waitcnt lgkmcnt(0)
	v_add_f32_e32 v2, v15, v16
	v_lshrrev_b32_e32 v15, 3, v0
	ds_bpermute_b32 v16, v13, v2
	v_and_b32_e32 v15, 0x7c, v15
	v_add_nc_u32_e32 v15, 0, v15
	s_waitcnt lgkmcnt(0)
	v_add_f32_e32 v2, v2, v16
	ds_write_b32 v15, v2
	s_waitcnt lgkmcnt(0)
	s_barrier
	buffer_gl0_inv
	s_and_saveexec_b32 s0, vcc_lo
	s_cbranch_execz .LBB259_14
; %bb.13:
	ds_read_b32 v2, v5
	s_waitcnt lgkmcnt(0)
	ds_bpermute_b32 v16, v1, v2
	s_waitcnt lgkmcnt(0)
	v_add_f32_e32 v2, v2, v16
	ds_bpermute_b32 v16, v3, v2
	s_waitcnt lgkmcnt(0)
	v_add_f32_e32 v2, v2, v16
	ds_bpermute_b32 v16, v4, v2
	s_waitcnt lgkmcnt(0)
	v_add_f32_e32 v2, v2, v16
	ds_bpermute_b32 v16, v12, v2
	s_waitcnt lgkmcnt(0)
	v_add_f32_e32 v2, v2, v16
	ds_bpermute_b32 v16, v13, v2
	s_waitcnt lgkmcnt(0)
	v_add_f32_e32 v2, v2, v16
.LBB259_14:
	s_or_b32 exec_lo, exec_lo, s0
	ds_bpermute_b32 v16, v1, v14
	s_waitcnt lgkmcnt(0)
	s_barrier
	buffer_gl0_inv
	v_add_f32_e32 v14, v14, v16
	ds_bpermute_b32 v16, v3, v14
	s_waitcnt lgkmcnt(0)
	v_add_f32_e32 v14, v14, v16
	ds_bpermute_b32 v16, v4, v14
	s_waitcnt lgkmcnt(0)
	v_add_f32_e32 v14, v14, v16
	ds_bpermute_b32 v16, v12, v14
	s_waitcnt lgkmcnt(0)
	v_add_f32_e32 v14, v14, v16
	ds_bpermute_b32 v16, v13, v14
	s_waitcnt lgkmcnt(0)
	v_add_f32_e32 v14, v14, v16
	ds_write_b32 v15, v14
	s_waitcnt lgkmcnt(0)
	s_barrier
	buffer_gl0_inv
	s_and_saveexec_b32 s0, vcc_lo
	s_cbranch_execz .LBB259_16
; %bb.15:
	ds_read_b32 v14, v5
	s_waitcnt lgkmcnt(0)
	ds_bpermute_b32 v16, v1, v14
	s_waitcnt lgkmcnt(0)
	v_add_f32_e32 v14, v14, v16
	ds_bpermute_b32 v16, v3, v14
	s_waitcnt lgkmcnt(0)
	v_add_f32_e32 v14, v14, v16
	ds_bpermute_b32 v16, v4, v14
	s_waitcnt lgkmcnt(0)
	v_add_f32_e32 v14, v14, v16
	ds_bpermute_b32 v16, v12, v14
	s_waitcnt lgkmcnt(0)
	v_add_f32_e32 v14, v14, v16
	ds_bpermute_b32 v16, v13, v14
	s_waitcnt lgkmcnt(0)
	v_add_f32_e32 v14, v14, v16
.LBB259_16:
	s_or_b32 exec_lo, exec_lo, s0
	ds_bpermute_b32 v16, v1, v11
	s_waitcnt lgkmcnt(0)
	s_barrier
	buffer_gl0_inv
	v_add_f32_e32 v11, v11, v16
	ds_bpermute_b32 v16, v3, v11
	s_waitcnt lgkmcnt(0)
	v_add_f32_e32 v11, v11, v16
	ds_bpermute_b32 v16, v4, v11
	s_waitcnt lgkmcnt(0)
	v_add_f32_e32 v11, v11, v16
	ds_bpermute_b32 v16, v12, v11
	s_waitcnt lgkmcnt(0)
	v_add_f32_e32 v11, v11, v16
	ds_bpermute_b32 v16, v13, v11
	;; [unrolled: 43-line block ×7, first 2 shown]
	s_waitcnt lgkmcnt(0)
	v_add_f32_e32 v6, v6, v16
	ds_write_b32 v15, v6
	s_waitcnt lgkmcnt(0)
	s_barrier
	buffer_gl0_inv
	s_and_saveexec_b32 s0, vcc_lo
	s_cbranch_execz .LBB259_28
; %bb.27:
	ds_read_b32 v5, v5
	s_waitcnt lgkmcnt(0)
	ds_bpermute_b32 v1, v1, v5
	s_waitcnt lgkmcnt(0)
	v_add_f32_e32 v1, v5, v1
	ds_bpermute_b32 v3, v3, v1
	s_waitcnt lgkmcnt(0)
	v_add_f32_e32 v1, v1, v3
	;; [unrolled: 3-line block ×5, first 2 shown]
.LBB259_28:
	s_or_b32 exec_lo, exec_lo, s0
	s_barrier
	buffer_gl0_inv
	s_mov_b32 s0, exec_lo
	v_cmpx_gt_u32_e32 8, v0
	s_cbranch_execz .LBB259_30
; %bb.29:
	v_cmp_eq_u32_e32 vcc_lo, 1, v0
	s_load_dwordx2 s[0:1], s[4:5], 0x38
	s_mul_hi_i32 s3, s22, s10
	s_mul_i32 s2, s22, s10
	s_mul_i32 s4, s26, s7
	v_cndmask_b32_e32 v1, v2, v14, vcc_lo
	v_cmp_eq_u32_e32 vcc_lo, 2, v0
	s_lshl_b64 s[2:3], s[2:3], 2
	s_ashr_i32 s5, s4, 31
	v_cndmask_b32_e32 v3, v1, v11, vcc_lo
	v_cmp_eq_u32_e32 vcc_lo, 3, v0
	v_mad_u64_u32 v[1:2], null, s18, v0, s[6:7]
	v_cndmask_b32_e32 v2, v3, v10, vcc_lo
	v_cmp_eq_u32_e32 vcc_lo, 4, v0
	s_waitcnt lgkmcnt(0)
	s_add_u32 s2, s0, s2
	s_addc_u32 s3, s1, s3
	v_cndmask_b32_e32 v3, v2, v9, vcc_lo
	v_cmp_eq_u32_e32 vcc_lo, 5, v0
	v_ashrrev_i32_e32 v2, 31, v1
	s_lshl_b64 s[0:1], s[4:5], 2
	s_add_u32 s0, s2, s0
	v_cndmask_b32_e32 v3, v3, v8, vcc_lo
	v_cmp_eq_u32_e32 vcc_lo, 6, v0
	v_lshlrev_b64 v[1:2], 2, v[1:2]
	s_addc_u32 s1, s3, s1
	v_cndmask_b32_e32 v3, v3, v7, vcc_lo
	v_cmp_eq_u32_e32 vcc_lo, 7, v0
	v_cndmask_b32_e32 v3, v3, v6, vcc_lo
	v_add_co_u32 v0, vcc_lo, s0, v1
	v_add_co_ci_u32_e64 v1, null, s1, v2, vcc_lo
	global_store_dword v[0:1], v3, off
.LBB259_30:
	s_endpgm
	.section	.rodata,"a",@progbits
	.p2align	6, 0x0
	.amdhsa_kernel _ZL13mul_mat_vec_fI6__halffLi8ELi128ELb0ELb0EEvPKT_PKfPKi31ggml_cuda_mm_fusion_args_devicePfi15HIP_vector_typeIjLj3EEiiiSB_iiiSB_iiii
		.amdhsa_group_segment_fixed_size 0
		.amdhsa_private_segment_fixed_size 0
		.amdhsa_kernarg_size 144
		.amdhsa_user_sgpr_count 6
		.amdhsa_user_sgpr_private_segment_buffer 1
		.amdhsa_user_sgpr_dispatch_ptr 0
		.amdhsa_user_sgpr_queue_ptr 0
		.amdhsa_user_sgpr_kernarg_segment_ptr 1
		.amdhsa_user_sgpr_dispatch_id 0
		.amdhsa_user_sgpr_flat_scratch_init 0
		.amdhsa_user_sgpr_private_segment_size 0
		.amdhsa_wavefront_size32 1
		.amdhsa_uses_dynamic_stack 0
		.amdhsa_system_sgpr_private_segment_wavefront_offset 0
		.amdhsa_system_sgpr_workgroup_id_x 1
		.amdhsa_system_sgpr_workgroup_id_y 1
		.amdhsa_system_sgpr_workgroup_id_z 1
		.amdhsa_system_sgpr_workgroup_info 0
		.amdhsa_system_vgpr_workitem_id 0
		.amdhsa_next_free_vgpr 32
		.amdhsa_next_free_sgpr 38
		.amdhsa_reserve_vcc 1
		.amdhsa_reserve_flat_scratch 0
		.amdhsa_float_round_mode_32 0
		.amdhsa_float_round_mode_16_64 0
		.amdhsa_float_denorm_mode_32 3
		.amdhsa_float_denorm_mode_16_64 3
		.amdhsa_dx10_clamp 1
		.amdhsa_ieee_mode 1
		.amdhsa_fp16_overflow 0
		.amdhsa_workgroup_processor_mode 1
		.amdhsa_memory_ordered 1
		.amdhsa_forward_progress 1
		.amdhsa_shared_vgpr_count 0
		.amdhsa_exception_fp_ieee_invalid_op 0
		.amdhsa_exception_fp_denorm_src 0
		.amdhsa_exception_fp_ieee_div_zero 0
		.amdhsa_exception_fp_ieee_overflow 0
		.amdhsa_exception_fp_ieee_underflow 0
		.amdhsa_exception_fp_ieee_inexact 0
		.amdhsa_exception_int_div_zero 0
	.end_amdhsa_kernel
	.section	.text._ZL13mul_mat_vec_fI6__halffLi8ELi128ELb0ELb0EEvPKT_PKfPKi31ggml_cuda_mm_fusion_args_devicePfi15HIP_vector_typeIjLj3EEiiiSB_iiiSB_iiii,"axG",@progbits,_ZL13mul_mat_vec_fI6__halffLi8ELi128ELb0ELb0EEvPKT_PKfPKi31ggml_cuda_mm_fusion_args_devicePfi15HIP_vector_typeIjLj3EEiiiSB_iiiSB_iiii,comdat
.Lfunc_end259:
	.size	_ZL13mul_mat_vec_fI6__halffLi8ELi128ELb0ELb0EEvPKT_PKfPKi31ggml_cuda_mm_fusion_args_devicePfi15HIP_vector_typeIjLj3EEiiiSB_iiiSB_iiii, .Lfunc_end259-_ZL13mul_mat_vec_fI6__halffLi8ELi128ELb0ELb0EEvPKT_PKfPKi31ggml_cuda_mm_fusion_args_devicePfi15HIP_vector_typeIjLj3EEiiiSB_iiiSB_iiii
                                        ; -- End function
	.set _ZL13mul_mat_vec_fI6__halffLi8ELi128ELb0ELb0EEvPKT_PKfPKi31ggml_cuda_mm_fusion_args_devicePfi15HIP_vector_typeIjLj3EEiiiSB_iiiSB_iiii.num_vgpr, 32
	.set _ZL13mul_mat_vec_fI6__halffLi8ELi128ELb0ELb0EEvPKT_PKfPKi31ggml_cuda_mm_fusion_args_devicePfi15HIP_vector_typeIjLj3EEiiiSB_iiiSB_iiii.num_agpr, 0
	.set _ZL13mul_mat_vec_fI6__halffLi8ELi128ELb0ELb0EEvPKT_PKfPKi31ggml_cuda_mm_fusion_args_devicePfi15HIP_vector_typeIjLj3EEiiiSB_iiiSB_iiii.numbered_sgpr, 38
	.set _ZL13mul_mat_vec_fI6__halffLi8ELi128ELb0ELb0EEvPKT_PKfPKi31ggml_cuda_mm_fusion_args_devicePfi15HIP_vector_typeIjLj3EEiiiSB_iiiSB_iiii.num_named_barrier, 0
	.set _ZL13mul_mat_vec_fI6__halffLi8ELi128ELb0ELb0EEvPKT_PKfPKi31ggml_cuda_mm_fusion_args_devicePfi15HIP_vector_typeIjLj3EEiiiSB_iiiSB_iiii.private_seg_size, 0
	.set _ZL13mul_mat_vec_fI6__halffLi8ELi128ELb0ELb0EEvPKT_PKfPKi31ggml_cuda_mm_fusion_args_devicePfi15HIP_vector_typeIjLj3EEiiiSB_iiiSB_iiii.uses_vcc, 1
	.set _ZL13mul_mat_vec_fI6__halffLi8ELi128ELb0ELb0EEvPKT_PKfPKi31ggml_cuda_mm_fusion_args_devicePfi15HIP_vector_typeIjLj3EEiiiSB_iiiSB_iiii.uses_flat_scratch, 0
	.set _ZL13mul_mat_vec_fI6__halffLi8ELi128ELb0ELb0EEvPKT_PKfPKi31ggml_cuda_mm_fusion_args_devicePfi15HIP_vector_typeIjLj3EEiiiSB_iiiSB_iiii.has_dyn_sized_stack, 0
	.set _ZL13mul_mat_vec_fI6__halffLi8ELi128ELb0ELb0EEvPKT_PKfPKi31ggml_cuda_mm_fusion_args_devicePfi15HIP_vector_typeIjLj3EEiiiSB_iiiSB_iiii.has_recursion, 0
	.set _ZL13mul_mat_vec_fI6__halffLi8ELi128ELb0ELb0EEvPKT_PKfPKi31ggml_cuda_mm_fusion_args_devicePfi15HIP_vector_typeIjLj3EEiiiSB_iiiSB_iiii.has_indirect_call, 0
	.section	.AMDGPU.csdata,"",@progbits
; Kernel info:
; codeLenInByte = 3132
; TotalNumSgprs: 40
; NumVgprs: 32
; ScratchSize: 0
; MemoryBound: 0
; FloatMode: 240
; IeeeMode: 1
; LDSByteSize: 0 bytes/workgroup (compile time only)
; SGPRBlocks: 0
; VGPRBlocks: 3
; NumSGPRsForWavesPerEU: 40
; NumVGPRsForWavesPerEU: 32
; Occupancy: 16
; WaveLimiterHint : 0
; COMPUTE_PGM_RSRC2:SCRATCH_EN: 0
; COMPUTE_PGM_RSRC2:USER_SGPR: 6
; COMPUTE_PGM_RSRC2:TRAP_HANDLER: 0
; COMPUTE_PGM_RSRC2:TGID_X_EN: 1
; COMPUTE_PGM_RSRC2:TGID_Y_EN: 1
; COMPUTE_PGM_RSRC2:TGID_Z_EN: 1
; COMPUTE_PGM_RSRC2:TIDIG_COMP_CNT: 0
	.section	.text._ZL13mul_mat_vec_fI6__halffLi8ELi160ELb0ELb0EEvPKT_PKfPKi31ggml_cuda_mm_fusion_args_devicePfi15HIP_vector_typeIjLj3EEiiiSB_iiiSB_iiii,"axG",@progbits,_ZL13mul_mat_vec_fI6__halffLi8ELi160ELb0ELb0EEvPKT_PKfPKi31ggml_cuda_mm_fusion_args_devicePfi15HIP_vector_typeIjLj3EEiiiSB_iiiSB_iiii,comdat
	.globl	_ZL13mul_mat_vec_fI6__halffLi8ELi160ELb0ELb0EEvPKT_PKfPKi31ggml_cuda_mm_fusion_args_devicePfi15HIP_vector_typeIjLj3EEiiiSB_iiiSB_iiii ; -- Begin function _ZL13mul_mat_vec_fI6__halffLi8ELi160ELb0ELb0EEvPKT_PKfPKi31ggml_cuda_mm_fusion_args_devicePfi15HIP_vector_typeIjLj3EEiiiSB_iiiSB_iiii
	.p2align	8
	.type	_ZL13mul_mat_vec_fI6__halffLi8ELi160ELb0ELb0EEvPKT_PKfPKi31ggml_cuda_mm_fusion_args_devicePfi15HIP_vector_typeIjLj3EEiiiSB_iiiSB_iiii,@function
_ZL13mul_mat_vec_fI6__halffLi8ELi160ELb0ELb0EEvPKT_PKfPKi31ggml_cuda_mm_fusion_args_devicePfi15HIP_vector_typeIjLj3EEiiiSB_iiiSB_iiii: ; @_ZL13mul_mat_vec_fI6__halffLi8ELi160ELb0ELb0EEvPKT_PKfPKi31ggml_cuda_mm_fusion_args_devicePfi15HIP_vector_typeIjLj3EEiiiSB_iiiSB_iiii
; %bb.0:
	s_clause 0x2
	s_load_dwordx2 s[0:1], s[4:5], 0x10
	s_load_dwordx8 s[12:19], s[4:5], 0x40
	s_load_dwordx4 s[20:23], s[4:5], 0x80
	s_waitcnt lgkmcnt(0)
	s_cmp_eq_u64 s[0:1], 0
	s_cselect_b32 s10, -1, 0
	s_cmp_lg_u64 s[0:1], 0
	s_cselect_b32 s11, -1, 0
	s_and_b32 vcc_lo, exec_lo, s10
	s_cbranch_vccnz .LBB260_2
; %bb.1:
	s_mul_i32 s2, s23, s8
	s_mov_b32 s3, 0
	s_add_i32 s2, s2, s7
	s_lshl_b64 s[24:25], s[2:3], 2
	s_add_u32 s0, s0, s24
	s_addc_u32 s1, s1, s25
	s_load_dword s9, s[0:1], 0x0
	s_cbranch_execz .LBB260_3
	s_branch .LBB260_4
.LBB260_2:
                                        ; implicit-def: $sgpr9
.LBB260_3:
	s_load_dwordx2 s[0:1], s[4:5], 0x5c
	s_waitcnt lgkmcnt(0)
	s_mul_hi_u32 s0, s0, s7
	s_add_i32 s0, s7, s0
	s_lshr_b32 s9, s0, s1
.LBB260_4:
	s_load_dwordx4 s[24:27], s[4:5], 0x68
	s_andn2_b32 vcc_lo, exec_lo, s11
	s_mov_b32 s19, s7
	s_cbranch_vccnz .LBB260_6
; %bb.5:
	s_mul_hi_u32 s0, s13, s7
	s_add_i32 s0, s7, s0
	s_lshr_b32 s0, s0, s14
	s_mul_i32 s0, s0, s15
	s_sub_i32 s19, s7, s0
.LBB260_6:
	s_load_dword s15, s[4:5], 0x78
	v_cmp_gt_u32_e32 vcc_lo, 32, v0
	v_lshl_add_u32 v5, v0, 2, 0
	s_and_saveexec_b32 s0, vcc_lo
; %bb.7:
	v_mov_b32_e32 v1, 0
	ds_write_b32 v5, v1
; %bb.8:
	s_or_b32 exec_lo, exec_lo, s0
	v_mov_b32_e32 v6, 0
	v_mov_b32_e32 v7, 0
	;; [unrolled: 1-line block ×8, first 2 shown]
	s_and_b32 s0, exec_lo, s10
	s_mov_b32 s11, 0
	s_cselect_b32 s10, s8, 0
	s_mov_b32 s13, exec_lo
	s_waitcnt lgkmcnt(0)
	s_barrier
	buffer_gl0_inv
	v_cmpx_gt_i32_e64 s12, v0
	s_cbranch_execz .LBB260_12
; %bb.9:
	s_load_dwordx4 s[0:3], s[4:5], 0x0
	s_mul_hi_u32 s23, s27, s10
	s_mul_hi_i32 s29, s21, s10
	s_mul_i32 s28, s21, s10
	s_mul_i32 s8, s9, s24
	;; [unrolled: 1-line block ×4, first 2 shown]
	s_add_i32 s16, s10, s23
	s_lshl_b64 s[28:29], s[28:29], 2
	s_ashr_i32 s9, s8, 31
	s_ashr_i32 s25, s24, 31
	;; [unrolled: 1-line block ×3, first 2 shown]
	s_lshr_b32 s15, s16, s15
	s_mov_b32 s34, s17
	s_mul_hi_i32 s37, s15, s20
	s_mul_i32 s36, s15, s20
	v_lshlrev_b32_e32 v2, 3, v0
	v_lshlrev_b32_e32 v1, 2, v0
	v_mov_b32_e32 v12, 0
	v_mov_b32_e32 v13, v0
	s_waitcnt lgkmcnt(0)
	s_add_u32 s16, s2, s28
	s_addc_u32 s19, s3, s29
	s_lshl_b64 s[30:31], s[30:31], 2
	v_mov_b32_e32 v14, 0
	s_add_u32 s15, s16, s30
	s_addc_u32 s16, s19, s31
	s_lshl_b64 s[8:9], s[8:9], 1
	s_ashr_i32 s35, s17, 31
	s_add_i32 s19, s17, s17
	s_lshl_b32 s20, s17, 2
	s_lshl_b64 s[36:37], s[36:37], 1
	s_lshl_b64 s[24:25], s[24:25], 1
	s_add_u32 s0, s0, s8
	s_addc_u32 s1, s1, s9
	s_add_u32 s0, s0, s24
	s_addc_u32 s1, s1, s25
	;; [unrolled: 2-line block ×3, first 2 shown]
	s_lshl_b64 s[8:9], s[34:35], 3
	s_add_u32 s2, s2, s30
	s_addc_u32 s3, s3, s31
	s_add_u32 s2, s2, s28
	s_addc_u32 s3, s3, s29
	v_add_co_u32 v3, s2, s2, v2
	v_add_co_ci_u32_e64 v4, null, s3, 0, s2
	v_add_co_u32 v1, s0, s0, v1
	v_add_co_ci_u32_e64 v2, null, s1, 0, s0
	;; [unrolled: 2-line block ×3, first 2 shown]
	v_mov_b32_e32 v11, 0
	v_mov_b32_e32 v10, 0
	v_mov_b32_e32 v9, 0
	v_mov_b32_e32 v8, 0
	v_mov_b32_e32 v7, 0
	v_mov_b32_e32 v6, 0
	s_mul_i32 s14, s17, 3
	s_mul_i32 s1, s17, 5
	;; [unrolled: 1-line block ×4, first 2 shown]
.LBB260_10:                             ; =>This Inner Loop Header: Depth=1
	v_add_nc_u32_e32 v19, s19, v13
	v_add_nc_u32_e32 v21, s14, v13
	;; [unrolled: 1-line block ×5, first 2 shown]
	v_ashrrev_i32_e32 v20, 31, v19
	v_ashrrev_i32_e32 v22, 31, v21
	;; [unrolled: 1-line block ×3, first 2 shown]
	v_add_nc_u32_e32 v29, s3, v13
	v_ashrrev_i32_e32 v26, 31, v25
	v_lshlrev_b64 v[19:20], 3, v[19:20]
	v_lshlrev_b64 v[21:22], 3, v[21:22]
	v_ashrrev_i32_e32 v28, 31, v27
	v_add_co_u32 v17, s0, v3, s8
	v_lshlrev_b64 v[23:24], 3, v[23:24]
	v_ashrrev_i32_e32 v30, 31, v29
	v_add_co_ci_u32_e64 v18, null, s9, v4, s0
	v_lshlrev_b64 v[25:26], 3, v[25:26]
	v_add_co_u32 v19, s0, s15, v19
	v_lshlrev_b64 v[27:28], 3, v[27:28]
	v_add_co_ci_u32_e64 v20, null, s16, v20, s0
	v_add_co_u32 v21, s0, s15, v21
	v_lshlrev_b64 v[29:30], 3, v[29:30]
	v_add_co_ci_u32_e64 v22, null, s16, v22, s0
	v_add_co_u32 v23, s0, s15, v23
	v_add_co_ci_u32_e64 v24, null, s16, v24, s0
	v_add_co_u32 v25, s0, s15, v25
	;; [unrolled: 2-line block ×4, first 2 shown]
	v_add_co_ci_u32_e64 v30, null, s16, v30, s0
	global_load_dword v31, v[1:2], off
	s_clause 0x1
	global_load_dwordx2 v[15:16], v[3:4], off offset:-4
	global_load_dwordx2 v[17:18], v[17:18], off offset:-4
	s_clause 0x5
	global_load_dwordx2 v[19:20], v[19:20], off
	global_load_dwordx2 v[21:22], v[21:22], off
	global_load_dwordx2 v[23:24], v[23:24], off
	global_load_dwordx2 v[25:26], v[25:26], off
	global_load_dwordx2 v[27:28], v[27:28], off
	global_load_dwordx2 v[29:30], v[29:30], off
	v_add_nc_u32_e32 v13, 0xa0, v13
	v_add_co_u32 v1, s0, 0x280, v1
	v_add_co_ci_u32_e64 v2, null, 0, v2, s0
	v_add_co_u32 v3, s0, 0x500, v3
	v_add_co_ci_u32_e64 v4, null, 0, v4, s0
	v_cmp_le_i32_e64 s0, s12, v13
	s_or_b32 s11, s0, s11
	s_waitcnt vmcnt(5)
	v_fma_mix_f32 v11, v19, v31, v11 op_sel_hi:[0,1,0]
	v_fma_mix_f32 v12, v15, v31, v12 op_sel_hi:[0,1,0]
	;; [unrolled: 1-line block ×3, first 2 shown]
	s_waitcnt vmcnt(4)
	v_fma_mix_f32 v10, v21, v31, v10 op_sel_hi:[0,1,0]
	s_waitcnt vmcnt(3)
	v_fma_mix_f32 v9, v23, v31, v9 op_sel_hi:[0,1,0]
	;; [unrolled: 2-line block ×5, first 2 shown]
	v_fma_mix_f32 v12, v16, v31, v12 op_sel:[0,1,0] op_sel_hi:[0,1,0]
	v_fma_mix_f32 v14, v18, v31, v14 op_sel:[0,1,0] op_sel_hi:[0,1,0]
	;; [unrolled: 1-line block ×8, first 2 shown]
	s_andn2_b32 exec_lo, exec_lo, s11
	s_cbranch_execnz .LBB260_10
; %bb.11:
	s_or_b32 exec_lo, exec_lo, s11
.LBB260_12:
	s_or_b32 exec_lo, exec_lo, s13
	v_mbcnt_lo_u32_b32 v2, -1, 0
	v_xor_b32_e32 v1, 16, v2
	v_xor_b32_e32 v3, 8, v2
	v_cmp_gt_i32_e64 s0, 32, v1
	v_cndmask_b32_e64 v1, v2, v1, s0
	v_cmp_gt_i32_e64 s0, 32, v3
	v_lshlrev_b32_e32 v1, 2, v1
	v_cndmask_b32_e64 v3, v2, v3, s0
	ds_bpermute_b32 v4, v1, v12
	v_lshlrev_b32_e32 v3, 2, v3
	s_waitcnt lgkmcnt(0)
	v_add_f32_e32 v12, v12, v4
	v_xor_b32_e32 v4, 4, v2
	ds_bpermute_b32 v13, v3, v12
	v_cmp_gt_i32_e64 s0, 32, v4
	v_cndmask_b32_e64 v4, v2, v4, s0
	v_lshlrev_b32_e32 v4, 2, v4
	s_waitcnt lgkmcnt(0)
	v_add_f32_e32 v13, v12, v13
	v_xor_b32_e32 v12, 2, v2
	ds_bpermute_b32 v15, v4, v13
	v_cmp_gt_i32_e64 s0, 32, v12
	v_cndmask_b32_e64 v12, v2, v12, s0
	;; [unrolled: 7-line block ×3, first 2 shown]
	v_lshlrev_b32_e32 v13, 2, v2
	s_waitcnt lgkmcnt(0)
	v_add_f32_e32 v2, v15, v16
	v_lshrrev_b32_e32 v15, 3, v0
	ds_bpermute_b32 v16, v13, v2
	v_and_b32_e32 v15, 0x7c, v15
	v_add_nc_u32_e32 v15, 0, v15
	s_waitcnt lgkmcnt(0)
	v_add_f32_e32 v2, v2, v16
	ds_write_b32 v15, v2
	s_waitcnt lgkmcnt(0)
	s_barrier
	buffer_gl0_inv
	s_and_saveexec_b32 s0, vcc_lo
	s_cbranch_execz .LBB260_14
; %bb.13:
	ds_read_b32 v2, v5
	s_waitcnt lgkmcnt(0)
	ds_bpermute_b32 v16, v1, v2
	s_waitcnt lgkmcnt(0)
	v_add_f32_e32 v2, v2, v16
	ds_bpermute_b32 v16, v3, v2
	s_waitcnt lgkmcnt(0)
	v_add_f32_e32 v2, v2, v16
	ds_bpermute_b32 v16, v4, v2
	s_waitcnt lgkmcnt(0)
	v_add_f32_e32 v2, v2, v16
	ds_bpermute_b32 v16, v12, v2
	s_waitcnt lgkmcnt(0)
	v_add_f32_e32 v2, v2, v16
	ds_bpermute_b32 v16, v13, v2
	s_waitcnt lgkmcnt(0)
	v_add_f32_e32 v2, v2, v16
.LBB260_14:
	s_or_b32 exec_lo, exec_lo, s0
	ds_bpermute_b32 v16, v1, v14
	s_waitcnt lgkmcnt(0)
	s_barrier
	buffer_gl0_inv
	v_add_f32_e32 v14, v14, v16
	ds_bpermute_b32 v16, v3, v14
	s_waitcnt lgkmcnt(0)
	v_add_f32_e32 v14, v14, v16
	ds_bpermute_b32 v16, v4, v14
	s_waitcnt lgkmcnt(0)
	v_add_f32_e32 v14, v14, v16
	ds_bpermute_b32 v16, v12, v14
	s_waitcnt lgkmcnt(0)
	v_add_f32_e32 v14, v14, v16
	ds_bpermute_b32 v16, v13, v14
	s_waitcnt lgkmcnt(0)
	v_add_f32_e32 v14, v14, v16
	ds_write_b32 v15, v14
	s_waitcnt lgkmcnt(0)
	s_barrier
	buffer_gl0_inv
	s_and_saveexec_b32 s0, vcc_lo
	s_cbranch_execz .LBB260_16
; %bb.15:
	ds_read_b32 v14, v5
	s_waitcnt lgkmcnt(0)
	ds_bpermute_b32 v16, v1, v14
	s_waitcnt lgkmcnt(0)
	v_add_f32_e32 v14, v14, v16
	ds_bpermute_b32 v16, v3, v14
	s_waitcnt lgkmcnt(0)
	v_add_f32_e32 v14, v14, v16
	ds_bpermute_b32 v16, v4, v14
	s_waitcnt lgkmcnt(0)
	v_add_f32_e32 v14, v14, v16
	ds_bpermute_b32 v16, v12, v14
	s_waitcnt lgkmcnt(0)
	v_add_f32_e32 v14, v14, v16
	ds_bpermute_b32 v16, v13, v14
	s_waitcnt lgkmcnt(0)
	v_add_f32_e32 v14, v14, v16
.LBB260_16:
	s_or_b32 exec_lo, exec_lo, s0
	ds_bpermute_b32 v16, v1, v11
	s_waitcnt lgkmcnt(0)
	s_barrier
	buffer_gl0_inv
	v_add_f32_e32 v11, v11, v16
	ds_bpermute_b32 v16, v3, v11
	s_waitcnt lgkmcnt(0)
	v_add_f32_e32 v11, v11, v16
	ds_bpermute_b32 v16, v4, v11
	s_waitcnt lgkmcnt(0)
	v_add_f32_e32 v11, v11, v16
	ds_bpermute_b32 v16, v12, v11
	s_waitcnt lgkmcnt(0)
	v_add_f32_e32 v11, v11, v16
	ds_bpermute_b32 v16, v13, v11
	;; [unrolled: 43-line block ×7, first 2 shown]
	s_waitcnt lgkmcnt(0)
	v_add_f32_e32 v6, v6, v16
	ds_write_b32 v15, v6
	s_waitcnt lgkmcnt(0)
	s_barrier
	buffer_gl0_inv
	s_and_saveexec_b32 s0, vcc_lo
	s_cbranch_execz .LBB260_28
; %bb.27:
	ds_read_b32 v5, v5
	s_waitcnt lgkmcnt(0)
	ds_bpermute_b32 v1, v1, v5
	s_waitcnt lgkmcnt(0)
	v_add_f32_e32 v1, v5, v1
	ds_bpermute_b32 v3, v3, v1
	s_waitcnt lgkmcnt(0)
	v_add_f32_e32 v1, v1, v3
	;; [unrolled: 3-line block ×5, first 2 shown]
.LBB260_28:
	s_or_b32 exec_lo, exec_lo, s0
	s_barrier
	buffer_gl0_inv
	s_mov_b32 s0, exec_lo
	v_cmpx_gt_u32_e32 8, v0
	s_cbranch_execz .LBB260_30
; %bb.29:
	v_cmp_eq_u32_e32 vcc_lo, 1, v0
	s_load_dwordx2 s[0:1], s[4:5], 0x38
	s_mul_hi_i32 s3, s22, s10
	s_mul_i32 s2, s22, s10
	s_mul_i32 s4, s26, s7
	v_cndmask_b32_e32 v1, v2, v14, vcc_lo
	v_cmp_eq_u32_e32 vcc_lo, 2, v0
	s_lshl_b64 s[2:3], s[2:3], 2
	s_ashr_i32 s5, s4, 31
	v_cndmask_b32_e32 v3, v1, v11, vcc_lo
	v_cmp_eq_u32_e32 vcc_lo, 3, v0
	v_mad_u64_u32 v[1:2], null, s18, v0, s[6:7]
	v_cndmask_b32_e32 v2, v3, v10, vcc_lo
	v_cmp_eq_u32_e32 vcc_lo, 4, v0
	s_waitcnt lgkmcnt(0)
	s_add_u32 s2, s0, s2
	s_addc_u32 s3, s1, s3
	v_cndmask_b32_e32 v3, v2, v9, vcc_lo
	v_cmp_eq_u32_e32 vcc_lo, 5, v0
	v_ashrrev_i32_e32 v2, 31, v1
	s_lshl_b64 s[0:1], s[4:5], 2
	s_add_u32 s0, s2, s0
	v_cndmask_b32_e32 v3, v3, v8, vcc_lo
	v_cmp_eq_u32_e32 vcc_lo, 6, v0
	v_lshlrev_b64 v[1:2], 2, v[1:2]
	s_addc_u32 s1, s3, s1
	v_cndmask_b32_e32 v3, v3, v7, vcc_lo
	v_cmp_eq_u32_e32 vcc_lo, 7, v0
	v_cndmask_b32_e32 v3, v3, v6, vcc_lo
	v_add_co_u32 v0, vcc_lo, s0, v1
	v_add_co_ci_u32_e64 v1, null, s1, v2, vcc_lo
	global_store_dword v[0:1], v3, off
.LBB260_30:
	s_endpgm
	.section	.rodata,"a",@progbits
	.p2align	6, 0x0
	.amdhsa_kernel _ZL13mul_mat_vec_fI6__halffLi8ELi160ELb0ELb0EEvPKT_PKfPKi31ggml_cuda_mm_fusion_args_devicePfi15HIP_vector_typeIjLj3EEiiiSB_iiiSB_iiii
		.amdhsa_group_segment_fixed_size 0
		.amdhsa_private_segment_fixed_size 0
		.amdhsa_kernarg_size 144
		.amdhsa_user_sgpr_count 6
		.amdhsa_user_sgpr_private_segment_buffer 1
		.amdhsa_user_sgpr_dispatch_ptr 0
		.amdhsa_user_sgpr_queue_ptr 0
		.amdhsa_user_sgpr_kernarg_segment_ptr 1
		.amdhsa_user_sgpr_dispatch_id 0
		.amdhsa_user_sgpr_flat_scratch_init 0
		.amdhsa_user_sgpr_private_segment_size 0
		.amdhsa_wavefront_size32 1
		.amdhsa_uses_dynamic_stack 0
		.amdhsa_system_sgpr_private_segment_wavefront_offset 0
		.amdhsa_system_sgpr_workgroup_id_x 1
		.amdhsa_system_sgpr_workgroup_id_y 1
		.amdhsa_system_sgpr_workgroup_id_z 1
		.amdhsa_system_sgpr_workgroup_info 0
		.amdhsa_system_vgpr_workitem_id 0
		.amdhsa_next_free_vgpr 32
		.amdhsa_next_free_sgpr 38
		.amdhsa_reserve_vcc 1
		.amdhsa_reserve_flat_scratch 0
		.amdhsa_float_round_mode_32 0
		.amdhsa_float_round_mode_16_64 0
		.amdhsa_float_denorm_mode_32 3
		.amdhsa_float_denorm_mode_16_64 3
		.amdhsa_dx10_clamp 1
		.amdhsa_ieee_mode 1
		.amdhsa_fp16_overflow 0
		.amdhsa_workgroup_processor_mode 1
		.amdhsa_memory_ordered 1
		.amdhsa_forward_progress 1
		.amdhsa_shared_vgpr_count 0
		.amdhsa_exception_fp_ieee_invalid_op 0
		.amdhsa_exception_fp_denorm_src 0
		.amdhsa_exception_fp_ieee_div_zero 0
		.amdhsa_exception_fp_ieee_overflow 0
		.amdhsa_exception_fp_ieee_underflow 0
		.amdhsa_exception_fp_ieee_inexact 0
		.amdhsa_exception_int_div_zero 0
	.end_amdhsa_kernel
	.section	.text._ZL13mul_mat_vec_fI6__halffLi8ELi160ELb0ELb0EEvPKT_PKfPKi31ggml_cuda_mm_fusion_args_devicePfi15HIP_vector_typeIjLj3EEiiiSB_iiiSB_iiii,"axG",@progbits,_ZL13mul_mat_vec_fI6__halffLi8ELi160ELb0ELb0EEvPKT_PKfPKi31ggml_cuda_mm_fusion_args_devicePfi15HIP_vector_typeIjLj3EEiiiSB_iiiSB_iiii,comdat
.Lfunc_end260:
	.size	_ZL13mul_mat_vec_fI6__halffLi8ELi160ELb0ELb0EEvPKT_PKfPKi31ggml_cuda_mm_fusion_args_devicePfi15HIP_vector_typeIjLj3EEiiiSB_iiiSB_iiii, .Lfunc_end260-_ZL13mul_mat_vec_fI6__halffLi8ELi160ELb0ELb0EEvPKT_PKfPKi31ggml_cuda_mm_fusion_args_devicePfi15HIP_vector_typeIjLj3EEiiiSB_iiiSB_iiii
                                        ; -- End function
	.set _ZL13mul_mat_vec_fI6__halffLi8ELi160ELb0ELb0EEvPKT_PKfPKi31ggml_cuda_mm_fusion_args_devicePfi15HIP_vector_typeIjLj3EEiiiSB_iiiSB_iiii.num_vgpr, 32
	.set _ZL13mul_mat_vec_fI6__halffLi8ELi160ELb0ELb0EEvPKT_PKfPKi31ggml_cuda_mm_fusion_args_devicePfi15HIP_vector_typeIjLj3EEiiiSB_iiiSB_iiii.num_agpr, 0
	.set _ZL13mul_mat_vec_fI6__halffLi8ELi160ELb0ELb0EEvPKT_PKfPKi31ggml_cuda_mm_fusion_args_devicePfi15HIP_vector_typeIjLj3EEiiiSB_iiiSB_iiii.numbered_sgpr, 38
	.set _ZL13mul_mat_vec_fI6__halffLi8ELi160ELb0ELb0EEvPKT_PKfPKi31ggml_cuda_mm_fusion_args_devicePfi15HIP_vector_typeIjLj3EEiiiSB_iiiSB_iiii.num_named_barrier, 0
	.set _ZL13mul_mat_vec_fI6__halffLi8ELi160ELb0ELb0EEvPKT_PKfPKi31ggml_cuda_mm_fusion_args_devicePfi15HIP_vector_typeIjLj3EEiiiSB_iiiSB_iiii.private_seg_size, 0
	.set _ZL13mul_mat_vec_fI6__halffLi8ELi160ELb0ELb0EEvPKT_PKfPKi31ggml_cuda_mm_fusion_args_devicePfi15HIP_vector_typeIjLj3EEiiiSB_iiiSB_iiii.uses_vcc, 1
	.set _ZL13mul_mat_vec_fI6__halffLi8ELi160ELb0ELb0EEvPKT_PKfPKi31ggml_cuda_mm_fusion_args_devicePfi15HIP_vector_typeIjLj3EEiiiSB_iiiSB_iiii.uses_flat_scratch, 0
	.set _ZL13mul_mat_vec_fI6__halffLi8ELi160ELb0ELb0EEvPKT_PKfPKi31ggml_cuda_mm_fusion_args_devicePfi15HIP_vector_typeIjLj3EEiiiSB_iiiSB_iiii.has_dyn_sized_stack, 0
	.set _ZL13mul_mat_vec_fI6__halffLi8ELi160ELb0ELb0EEvPKT_PKfPKi31ggml_cuda_mm_fusion_args_devicePfi15HIP_vector_typeIjLj3EEiiiSB_iiiSB_iiii.has_recursion, 0
	.set _ZL13mul_mat_vec_fI6__halffLi8ELi160ELb0ELb0EEvPKT_PKfPKi31ggml_cuda_mm_fusion_args_devicePfi15HIP_vector_typeIjLj3EEiiiSB_iiiSB_iiii.has_indirect_call, 0
	.section	.AMDGPU.csdata,"",@progbits
; Kernel info:
; codeLenInByte = 3132
; TotalNumSgprs: 40
; NumVgprs: 32
; ScratchSize: 0
; MemoryBound: 0
; FloatMode: 240
; IeeeMode: 1
; LDSByteSize: 0 bytes/workgroup (compile time only)
; SGPRBlocks: 0
; VGPRBlocks: 3
; NumSGPRsForWavesPerEU: 40
; NumVGPRsForWavesPerEU: 32
; Occupancy: 16
; WaveLimiterHint : 0
; COMPUTE_PGM_RSRC2:SCRATCH_EN: 0
; COMPUTE_PGM_RSRC2:USER_SGPR: 6
; COMPUTE_PGM_RSRC2:TRAP_HANDLER: 0
; COMPUTE_PGM_RSRC2:TGID_X_EN: 1
; COMPUTE_PGM_RSRC2:TGID_Y_EN: 1
; COMPUTE_PGM_RSRC2:TGID_Z_EN: 1
; COMPUTE_PGM_RSRC2:TIDIG_COMP_CNT: 0
	.section	.text._ZL13mul_mat_vec_fI6__halffLi8ELi192ELb0ELb0EEvPKT_PKfPKi31ggml_cuda_mm_fusion_args_devicePfi15HIP_vector_typeIjLj3EEiiiSB_iiiSB_iiii,"axG",@progbits,_ZL13mul_mat_vec_fI6__halffLi8ELi192ELb0ELb0EEvPKT_PKfPKi31ggml_cuda_mm_fusion_args_devicePfi15HIP_vector_typeIjLj3EEiiiSB_iiiSB_iiii,comdat
	.globl	_ZL13mul_mat_vec_fI6__halffLi8ELi192ELb0ELb0EEvPKT_PKfPKi31ggml_cuda_mm_fusion_args_devicePfi15HIP_vector_typeIjLj3EEiiiSB_iiiSB_iiii ; -- Begin function _ZL13mul_mat_vec_fI6__halffLi8ELi192ELb0ELb0EEvPKT_PKfPKi31ggml_cuda_mm_fusion_args_devicePfi15HIP_vector_typeIjLj3EEiiiSB_iiiSB_iiii
	.p2align	8
	.type	_ZL13mul_mat_vec_fI6__halffLi8ELi192ELb0ELb0EEvPKT_PKfPKi31ggml_cuda_mm_fusion_args_devicePfi15HIP_vector_typeIjLj3EEiiiSB_iiiSB_iiii,@function
_ZL13mul_mat_vec_fI6__halffLi8ELi192ELb0ELb0EEvPKT_PKfPKi31ggml_cuda_mm_fusion_args_devicePfi15HIP_vector_typeIjLj3EEiiiSB_iiiSB_iiii: ; @_ZL13mul_mat_vec_fI6__halffLi8ELi192ELb0ELb0EEvPKT_PKfPKi31ggml_cuda_mm_fusion_args_devicePfi15HIP_vector_typeIjLj3EEiiiSB_iiiSB_iiii
; %bb.0:
	s_clause 0x2
	s_load_dwordx2 s[0:1], s[4:5], 0x10
	s_load_dwordx8 s[12:19], s[4:5], 0x40
	s_load_dwordx4 s[20:23], s[4:5], 0x80
	s_waitcnt lgkmcnt(0)
	s_cmp_eq_u64 s[0:1], 0
	s_cselect_b32 s10, -1, 0
	s_cmp_lg_u64 s[0:1], 0
	s_cselect_b32 s11, -1, 0
	s_and_b32 vcc_lo, exec_lo, s10
	s_cbranch_vccnz .LBB261_2
; %bb.1:
	s_mul_i32 s2, s23, s8
	s_mov_b32 s3, 0
	s_add_i32 s2, s2, s7
	s_lshl_b64 s[24:25], s[2:3], 2
	s_add_u32 s0, s0, s24
	s_addc_u32 s1, s1, s25
	s_load_dword s9, s[0:1], 0x0
	s_cbranch_execz .LBB261_3
	s_branch .LBB261_4
.LBB261_2:
                                        ; implicit-def: $sgpr9
.LBB261_3:
	s_load_dwordx2 s[0:1], s[4:5], 0x5c
	s_waitcnt lgkmcnt(0)
	s_mul_hi_u32 s0, s0, s7
	s_add_i32 s0, s7, s0
	s_lshr_b32 s9, s0, s1
.LBB261_4:
	s_load_dwordx4 s[24:27], s[4:5], 0x68
	s_andn2_b32 vcc_lo, exec_lo, s11
	s_mov_b32 s19, s7
	s_cbranch_vccnz .LBB261_6
; %bb.5:
	s_mul_hi_u32 s0, s13, s7
	s_add_i32 s0, s7, s0
	s_lshr_b32 s0, s0, s14
	s_mul_i32 s0, s0, s15
	s_sub_i32 s19, s7, s0
.LBB261_6:
	s_load_dword s15, s[4:5], 0x78
	v_cmp_gt_u32_e32 vcc_lo, 32, v0
	v_lshl_add_u32 v5, v0, 2, 0
	s_and_saveexec_b32 s0, vcc_lo
; %bb.7:
	v_mov_b32_e32 v1, 0
	ds_write_b32 v5, v1
; %bb.8:
	s_or_b32 exec_lo, exec_lo, s0
	v_mov_b32_e32 v6, 0
	v_mov_b32_e32 v7, 0
	;; [unrolled: 1-line block ×8, first 2 shown]
	s_and_b32 s0, exec_lo, s10
	s_mov_b32 s11, 0
	s_cselect_b32 s10, s8, 0
	s_mov_b32 s13, exec_lo
	s_waitcnt lgkmcnt(0)
	s_barrier
	buffer_gl0_inv
	v_cmpx_gt_i32_e64 s12, v0
	s_cbranch_execz .LBB261_12
; %bb.9:
	s_load_dwordx4 s[0:3], s[4:5], 0x0
	s_mul_hi_u32 s23, s27, s10
	s_mul_hi_i32 s29, s21, s10
	s_mul_i32 s28, s21, s10
	s_mul_i32 s8, s9, s24
	;; [unrolled: 1-line block ×4, first 2 shown]
	s_add_i32 s16, s10, s23
	s_lshl_b64 s[28:29], s[28:29], 2
	s_ashr_i32 s9, s8, 31
	s_ashr_i32 s25, s24, 31
	;; [unrolled: 1-line block ×3, first 2 shown]
	s_lshr_b32 s15, s16, s15
	s_mov_b32 s34, s17
	s_mul_hi_i32 s37, s15, s20
	s_mul_i32 s36, s15, s20
	v_lshlrev_b32_e32 v2, 3, v0
	v_lshlrev_b32_e32 v1, 2, v0
	v_mov_b32_e32 v12, 0
	v_mov_b32_e32 v13, v0
	s_waitcnt lgkmcnt(0)
	s_add_u32 s16, s2, s28
	s_addc_u32 s19, s3, s29
	s_lshl_b64 s[30:31], s[30:31], 2
	v_mov_b32_e32 v14, 0
	s_add_u32 s15, s16, s30
	s_addc_u32 s16, s19, s31
	s_lshl_b64 s[8:9], s[8:9], 1
	s_ashr_i32 s35, s17, 31
	s_add_i32 s19, s17, s17
	s_lshl_b32 s20, s17, 2
	s_lshl_b64 s[36:37], s[36:37], 1
	s_lshl_b64 s[24:25], s[24:25], 1
	s_add_u32 s0, s0, s8
	s_addc_u32 s1, s1, s9
	s_add_u32 s0, s0, s24
	s_addc_u32 s1, s1, s25
	;; [unrolled: 2-line block ×3, first 2 shown]
	s_lshl_b64 s[8:9], s[34:35], 3
	s_add_u32 s2, s2, s30
	s_addc_u32 s3, s3, s31
	s_add_u32 s2, s2, s28
	s_addc_u32 s3, s3, s29
	v_add_co_u32 v3, s2, s2, v2
	v_add_co_ci_u32_e64 v4, null, s3, 0, s2
	v_add_co_u32 v1, s0, s0, v1
	v_add_co_ci_u32_e64 v2, null, s1, 0, s0
	;; [unrolled: 2-line block ×3, first 2 shown]
	v_mov_b32_e32 v11, 0
	v_mov_b32_e32 v10, 0
	;; [unrolled: 1-line block ×6, first 2 shown]
	s_mul_i32 s14, s17, 3
	s_mul_i32 s1, s17, 5
	;; [unrolled: 1-line block ×4, first 2 shown]
.LBB261_10:                             ; =>This Inner Loop Header: Depth=1
	v_add_nc_u32_e32 v19, s19, v13
	v_add_nc_u32_e32 v21, s14, v13
	;; [unrolled: 1-line block ×5, first 2 shown]
	v_ashrrev_i32_e32 v20, 31, v19
	v_ashrrev_i32_e32 v22, 31, v21
	v_ashrrev_i32_e32 v24, 31, v23
	v_add_nc_u32_e32 v29, s3, v13
	v_ashrrev_i32_e32 v26, 31, v25
	v_lshlrev_b64 v[19:20], 3, v[19:20]
	v_lshlrev_b64 v[21:22], 3, v[21:22]
	v_ashrrev_i32_e32 v28, 31, v27
	v_add_co_u32 v17, s0, v3, s8
	v_lshlrev_b64 v[23:24], 3, v[23:24]
	v_ashrrev_i32_e32 v30, 31, v29
	v_add_co_ci_u32_e64 v18, null, s9, v4, s0
	v_lshlrev_b64 v[25:26], 3, v[25:26]
	v_add_co_u32 v19, s0, s15, v19
	v_lshlrev_b64 v[27:28], 3, v[27:28]
	v_add_co_ci_u32_e64 v20, null, s16, v20, s0
	v_add_co_u32 v21, s0, s15, v21
	v_lshlrev_b64 v[29:30], 3, v[29:30]
	v_add_co_ci_u32_e64 v22, null, s16, v22, s0
	v_add_co_u32 v23, s0, s15, v23
	v_add_co_ci_u32_e64 v24, null, s16, v24, s0
	v_add_co_u32 v25, s0, s15, v25
	;; [unrolled: 2-line block ×4, first 2 shown]
	v_add_co_ci_u32_e64 v30, null, s16, v30, s0
	global_load_dword v31, v[1:2], off
	s_clause 0x1
	global_load_dwordx2 v[15:16], v[3:4], off offset:-4
	global_load_dwordx2 v[17:18], v[17:18], off offset:-4
	s_clause 0x5
	global_load_dwordx2 v[19:20], v[19:20], off
	global_load_dwordx2 v[21:22], v[21:22], off
	;; [unrolled: 1-line block ×6, first 2 shown]
	v_add_nc_u32_e32 v13, 0xc0, v13
	v_add_co_u32 v1, s0, 0x300, v1
	v_add_co_ci_u32_e64 v2, null, 0, v2, s0
	v_add_co_u32 v3, s0, 0x600, v3
	v_add_co_ci_u32_e64 v4, null, 0, v4, s0
	v_cmp_le_i32_e64 s0, s12, v13
	s_or_b32 s11, s0, s11
	s_waitcnt vmcnt(5)
	v_fma_mix_f32 v11, v19, v31, v11 op_sel_hi:[0,1,0]
	v_fma_mix_f32 v12, v15, v31, v12 op_sel_hi:[0,1,0]
	;; [unrolled: 1-line block ×3, first 2 shown]
	s_waitcnt vmcnt(4)
	v_fma_mix_f32 v10, v21, v31, v10 op_sel_hi:[0,1,0]
	s_waitcnt vmcnt(3)
	v_fma_mix_f32 v9, v23, v31, v9 op_sel_hi:[0,1,0]
	;; [unrolled: 2-line block ×5, first 2 shown]
	v_fma_mix_f32 v12, v16, v31, v12 op_sel:[0,1,0] op_sel_hi:[0,1,0]
	v_fma_mix_f32 v14, v18, v31, v14 op_sel:[0,1,0] op_sel_hi:[0,1,0]
	;; [unrolled: 1-line block ×8, first 2 shown]
	s_andn2_b32 exec_lo, exec_lo, s11
	s_cbranch_execnz .LBB261_10
; %bb.11:
	s_or_b32 exec_lo, exec_lo, s11
.LBB261_12:
	s_or_b32 exec_lo, exec_lo, s13
	v_mbcnt_lo_u32_b32 v2, -1, 0
	v_xor_b32_e32 v1, 16, v2
	v_xor_b32_e32 v3, 8, v2
	v_cmp_gt_i32_e64 s0, 32, v1
	v_cndmask_b32_e64 v1, v2, v1, s0
	v_cmp_gt_i32_e64 s0, 32, v3
	v_lshlrev_b32_e32 v1, 2, v1
	v_cndmask_b32_e64 v3, v2, v3, s0
	ds_bpermute_b32 v4, v1, v12
	v_lshlrev_b32_e32 v3, 2, v3
	s_waitcnt lgkmcnt(0)
	v_add_f32_e32 v12, v12, v4
	v_xor_b32_e32 v4, 4, v2
	ds_bpermute_b32 v13, v3, v12
	v_cmp_gt_i32_e64 s0, 32, v4
	v_cndmask_b32_e64 v4, v2, v4, s0
	v_lshlrev_b32_e32 v4, 2, v4
	s_waitcnt lgkmcnt(0)
	v_add_f32_e32 v13, v12, v13
	v_xor_b32_e32 v12, 2, v2
	ds_bpermute_b32 v15, v4, v13
	v_cmp_gt_i32_e64 s0, 32, v12
	v_cndmask_b32_e64 v12, v2, v12, s0
	;; [unrolled: 7-line block ×3, first 2 shown]
	v_lshlrev_b32_e32 v13, 2, v2
	s_waitcnt lgkmcnt(0)
	v_add_f32_e32 v2, v15, v16
	v_lshrrev_b32_e32 v15, 3, v0
	ds_bpermute_b32 v16, v13, v2
	v_and_b32_e32 v15, 0x7c, v15
	v_add_nc_u32_e32 v15, 0, v15
	s_waitcnt lgkmcnt(0)
	v_add_f32_e32 v2, v2, v16
	ds_write_b32 v15, v2
	s_waitcnt lgkmcnt(0)
	s_barrier
	buffer_gl0_inv
	s_and_saveexec_b32 s0, vcc_lo
	s_cbranch_execz .LBB261_14
; %bb.13:
	ds_read_b32 v2, v5
	s_waitcnt lgkmcnt(0)
	ds_bpermute_b32 v16, v1, v2
	s_waitcnt lgkmcnt(0)
	v_add_f32_e32 v2, v2, v16
	ds_bpermute_b32 v16, v3, v2
	s_waitcnt lgkmcnt(0)
	v_add_f32_e32 v2, v2, v16
	ds_bpermute_b32 v16, v4, v2
	s_waitcnt lgkmcnt(0)
	v_add_f32_e32 v2, v2, v16
	ds_bpermute_b32 v16, v12, v2
	s_waitcnt lgkmcnt(0)
	v_add_f32_e32 v2, v2, v16
	ds_bpermute_b32 v16, v13, v2
	s_waitcnt lgkmcnt(0)
	v_add_f32_e32 v2, v2, v16
.LBB261_14:
	s_or_b32 exec_lo, exec_lo, s0
	ds_bpermute_b32 v16, v1, v14
	s_waitcnt lgkmcnt(0)
	s_barrier
	buffer_gl0_inv
	v_add_f32_e32 v14, v14, v16
	ds_bpermute_b32 v16, v3, v14
	s_waitcnt lgkmcnt(0)
	v_add_f32_e32 v14, v14, v16
	ds_bpermute_b32 v16, v4, v14
	s_waitcnt lgkmcnt(0)
	v_add_f32_e32 v14, v14, v16
	ds_bpermute_b32 v16, v12, v14
	s_waitcnt lgkmcnt(0)
	v_add_f32_e32 v14, v14, v16
	ds_bpermute_b32 v16, v13, v14
	s_waitcnt lgkmcnt(0)
	v_add_f32_e32 v14, v14, v16
	ds_write_b32 v15, v14
	s_waitcnt lgkmcnt(0)
	s_barrier
	buffer_gl0_inv
	s_and_saveexec_b32 s0, vcc_lo
	s_cbranch_execz .LBB261_16
; %bb.15:
	ds_read_b32 v14, v5
	s_waitcnt lgkmcnt(0)
	ds_bpermute_b32 v16, v1, v14
	s_waitcnt lgkmcnt(0)
	v_add_f32_e32 v14, v14, v16
	ds_bpermute_b32 v16, v3, v14
	s_waitcnt lgkmcnt(0)
	v_add_f32_e32 v14, v14, v16
	ds_bpermute_b32 v16, v4, v14
	s_waitcnt lgkmcnt(0)
	v_add_f32_e32 v14, v14, v16
	ds_bpermute_b32 v16, v12, v14
	s_waitcnt lgkmcnt(0)
	v_add_f32_e32 v14, v14, v16
	ds_bpermute_b32 v16, v13, v14
	s_waitcnt lgkmcnt(0)
	v_add_f32_e32 v14, v14, v16
.LBB261_16:
	s_or_b32 exec_lo, exec_lo, s0
	ds_bpermute_b32 v16, v1, v11
	s_waitcnt lgkmcnt(0)
	s_barrier
	buffer_gl0_inv
	v_add_f32_e32 v11, v11, v16
	ds_bpermute_b32 v16, v3, v11
	s_waitcnt lgkmcnt(0)
	v_add_f32_e32 v11, v11, v16
	ds_bpermute_b32 v16, v4, v11
	s_waitcnt lgkmcnt(0)
	v_add_f32_e32 v11, v11, v16
	ds_bpermute_b32 v16, v12, v11
	s_waitcnt lgkmcnt(0)
	v_add_f32_e32 v11, v11, v16
	ds_bpermute_b32 v16, v13, v11
	;; [unrolled: 43-line block ×7, first 2 shown]
	s_waitcnt lgkmcnt(0)
	v_add_f32_e32 v6, v6, v16
	ds_write_b32 v15, v6
	s_waitcnt lgkmcnt(0)
	s_barrier
	buffer_gl0_inv
	s_and_saveexec_b32 s0, vcc_lo
	s_cbranch_execz .LBB261_28
; %bb.27:
	ds_read_b32 v5, v5
	s_waitcnt lgkmcnt(0)
	ds_bpermute_b32 v1, v1, v5
	s_waitcnt lgkmcnt(0)
	v_add_f32_e32 v1, v5, v1
	ds_bpermute_b32 v3, v3, v1
	s_waitcnt lgkmcnt(0)
	v_add_f32_e32 v1, v1, v3
	;; [unrolled: 3-line block ×5, first 2 shown]
.LBB261_28:
	s_or_b32 exec_lo, exec_lo, s0
	s_barrier
	buffer_gl0_inv
	s_mov_b32 s0, exec_lo
	v_cmpx_gt_u32_e32 8, v0
	s_cbranch_execz .LBB261_30
; %bb.29:
	v_cmp_eq_u32_e32 vcc_lo, 1, v0
	s_load_dwordx2 s[0:1], s[4:5], 0x38
	s_mul_hi_i32 s3, s22, s10
	s_mul_i32 s2, s22, s10
	s_mul_i32 s4, s26, s7
	v_cndmask_b32_e32 v1, v2, v14, vcc_lo
	v_cmp_eq_u32_e32 vcc_lo, 2, v0
	s_lshl_b64 s[2:3], s[2:3], 2
	s_ashr_i32 s5, s4, 31
	v_cndmask_b32_e32 v3, v1, v11, vcc_lo
	v_cmp_eq_u32_e32 vcc_lo, 3, v0
	v_mad_u64_u32 v[1:2], null, s18, v0, s[6:7]
	v_cndmask_b32_e32 v2, v3, v10, vcc_lo
	v_cmp_eq_u32_e32 vcc_lo, 4, v0
	s_waitcnt lgkmcnt(0)
	s_add_u32 s2, s0, s2
	s_addc_u32 s3, s1, s3
	v_cndmask_b32_e32 v3, v2, v9, vcc_lo
	v_cmp_eq_u32_e32 vcc_lo, 5, v0
	v_ashrrev_i32_e32 v2, 31, v1
	s_lshl_b64 s[0:1], s[4:5], 2
	s_add_u32 s0, s2, s0
	v_cndmask_b32_e32 v3, v3, v8, vcc_lo
	v_cmp_eq_u32_e32 vcc_lo, 6, v0
	v_lshlrev_b64 v[1:2], 2, v[1:2]
	s_addc_u32 s1, s3, s1
	v_cndmask_b32_e32 v3, v3, v7, vcc_lo
	v_cmp_eq_u32_e32 vcc_lo, 7, v0
	v_cndmask_b32_e32 v3, v3, v6, vcc_lo
	v_add_co_u32 v0, vcc_lo, s0, v1
	v_add_co_ci_u32_e64 v1, null, s1, v2, vcc_lo
	global_store_dword v[0:1], v3, off
.LBB261_30:
	s_endpgm
	.section	.rodata,"a",@progbits
	.p2align	6, 0x0
	.amdhsa_kernel _ZL13mul_mat_vec_fI6__halffLi8ELi192ELb0ELb0EEvPKT_PKfPKi31ggml_cuda_mm_fusion_args_devicePfi15HIP_vector_typeIjLj3EEiiiSB_iiiSB_iiii
		.amdhsa_group_segment_fixed_size 0
		.amdhsa_private_segment_fixed_size 0
		.amdhsa_kernarg_size 144
		.amdhsa_user_sgpr_count 6
		.amdhsa_user_sgpr_private_segment_buffer 1
		.amdhsa_user_sgpr_dispatch_ptr 0
		.amdhsa_user_sgpr_queue_ptr 0
		.amdhsa_user_sgpr_kernarg_segment_ptr 1
		.amdhsa_user_sgpr_dispatch_id 0
		.amdhsa_user_sgpr_flat_scratch_init 0
		.amdhsa_user_sgpr_private_segment_size 0
		.amdhsa_wavefront_size32 1
		.amdhsa_uses_dynamic_stack 0
		.amdhsa_system_sgpr_private_segment_wavefront_offset 0
		.amdhsa_system_sgpr_workgroup_id_x 1
		.amdhsa_system_sgpr_workgroup_id_y 1
		.amdhsa_system_sgpr_workgroup_id_z 1
		.amdhsa_system_sgpr_workgroup_info 0
		.amdhsa_system_vgpr_workitem_id 0
		.amdhsa_next_free_vgpr 32
		.amdhsa_next_free_sgpr 38
		.amdhsa_reserve_vcc 1
		.amdhsa_reserve_flat_scratch 0
		.amdhsa_float_round_mode_32 0
		.amdhsa_float_round_mode_16_64 0
		.amdhsa_float_denorm_mode_32 3
		.amdhsa_float_denorm_mode_16_64 3
		.amdhsa_dx10_clamp 1
		.amdhsa_ieee_mode 1
		.amdhsa_fp16_overflow 0
		.amdhsa_workgroup_processor_mode 1
		.amdhsa_memory_ordered 1
		.amdhsa_forward_progress 1
		.amdhsa_shared_vgpr_count 0
		.amdhsa_exception_fp_ieee_invalid_op 0
		.amdhsa_exception_fp_denorm_src 0
		.amdhsa_exception_fp_ieee_div_zero 0
		.amdhsa_exception_fp_ieee_overflow 0
		.amdhsa_exception_fp_ieee_underflow 0
		.amdhsa_exception_fp_ieee_inexact 0
		.amdhsa_exception_int_div_zero 0
	.end_amdhsa_kernel
	.section	.text._ZL13mul_mat_vec_fI6__halffLi8ELi192ELb0ELb0EEvPKT_PKfPKi31ggml_cuda_mm_fusion_args_devicePfi15HIP_vector_typeIjLj3EEiiiSB_iiiSB_iiii,"axG",@progbits,_ZL13mul_mat_vec_fI6__halffLi8ELi192ELb0ELb0EEvPKT_PKfPKi31ggml_cuda_mm_fusion_args_devicePfi15HIP_vector_typeIjLj3EEiiiSB_iiiSB_iiii,comdat
.Lfunc_end261:
	.size	_ZL13mul_mat_vec_fI6__halffLi8ELi192ELb0ELb0EEvPKT_PKfPKi31ggml_cuda_mm_fusion_args_devicePfi15HIP_vector_typeIjLj3EEiiiSB_iiiSB_iiii, .Lfunc_end261-_ZL13mul_mat_vec_fI6__halffLi8ELi192ELb0ELb0EEvPKT_PKfPKi31ggml_cuda_mm_fusion_args_devicePfi15HIP_vector_typeIjLj3EEiiiSB_iiiSB_iiii
                                        ; -- End function
	.set _ZL13mul_mat_vec_fI6__halffLi8ELi192ELb0ELb0EEvPKT_PKfPKi31ggml_cuda_mm_fusion_args_devicePfi15HIP_vector_typeIjLj3EEiiiSB_iiiSB_iiii.num_vgpr, 32
	.set _ZL13mul_mat_vec_fI6__halffLi8ELi192ELb0ELb0EEvPKT_PKfPKi31ggml_cuda_mm_fusion_args_devicePfi15HIP_vector_typeIjLj3EEiiiSB_iiiSB_iiii.num_agpr, 0
	.set _ZL13mul_mat_vec_fI6__halffLi8ELi192ELb0ELb0EEvPKT_PKfPKi31ggml_cuda_mm_fusion_args_devicePfi15HIP_vector_typeIjLj3EEiiiSB_iiiSB_iiii.numbered_sgpr, 38
	.set _ZL13mul_mat_vec_fI6__halffLi8ELi192ELb0ELb0EEvPKT_PKfPKi31ggml_cuda_mm_fusion_args_devicePfi15HIP_vector_typeIjLj3EEiiiSB_iiiSB_iiii.num_named_barrier, 0
	.set _ZL13mul_mat_vec_fI6__halffLi8ELi192ELb0ELb0EEvPKT_PKfPKi31ggml_cuda_mm_fusion_args_devicePfi15HIP_vector_typeIjLj3EEiiiSB_iiiSB_iiii.private_seg_size, 0
	.set _ZL13mul_mat_vec_fI6__halffLi8ELi192ELb0ELb0EEvPKT_PKfPKi31ggml_cuda_mm_fusion_args_devicePfi15HIP_vector_typeIjLj3EEiiiSB_iiiSB_iiii.uses_vcc, 1
	.set _ZL13mul_mat_vec_fI6__halffLi8ELi192ELb0ELb0EEvPKT_PKfPKi31ggml_cuda_mm_fusion_args_devicePfi15HIP_vector_typeIjLj3EEiiiSB_iiiSB_iiii.uses_flat_scratch, 0
	.set _ZL13mul_mat_vec_fI6__halffLi8ELi192ELb0ELb0EEvPKT_PKfPKi31ggml_cuda_mm_fusion_args_devicePfi15HIP_vector_typeIjLj3EEiiiSB_iiiSB_iiii.has_dyn_sized_stack, 0
	.set _ZL13mul_mat_vec_fI6__halffLi8ELi192ELb0ELb0EEvPKT_PKfPKi31ggml_cuda_mm_fusion_args_devicePfi15HIP_vector_typeIjLj3EEiiiSB_iiiSB_iiii.has_recursion, 0
	.set _ZL13mul_mat_vec_fI6__halffLi8ELi192ELb0ELb0EEvPKT_PKfPKi31ggml_cuda_mm_fusion_args_devicePfi15HIP_vector_typeIjLj3EEiiiSB_iiiSB_iiii.has_indirect_call, 0
	.section	.AMDGPU.csdata,"",@progbits
; Kernel info:
; codeLenInByte = 3132
; TotalNumSgprs: 40
; NumVgprs: 32
; ScratchSize: 0
; MemoryBound: 0
; FloatMode: 240
; IeeeMode: 1
; LDSByteSize: 0 bytes/workgroup (compile time only)
; SGPRBlocks: 0
; VGPRBlocks: 3
; NumSGPRsForWavesPerEU: 40
; NumVGPRsForWavesPerEU: 32
; Occupancy: 16
; WaveLimiterHint : 0
; COMPUTE_PGM_RSRC2:SCRATCH_EN: 0
; COMPUTE_PGM_RSRC2:USER_SGPR: 6
; COMPUTE_PGM_RSRC2:TRAP_HANDLER: 0
; COMPUTE_PGM_RSRC2:TGID_X_EN: 1
; COMPUTE_PGM_RSRC2:TGID_Y_EN: 1
; COMPUTE_PGM_RSRC2:TGID_Z_EN: 1
; COMPUTE_PGM_RSRC2:TIDIG_COMP_CNT: 0
	.section	.text._ZL13mul_mat_vec_fI6__halffLi8ELi224ELb0ELb0EEvPKT_PKfPKi31ggml_cuda_mm_fusion_args_devicePfi15HIP_vector_typeIjLj3EEiiiSB_iiiSB_iiii,"axG",@progbits,_ZL13mul_mat_vec_fI6__halffLi8ELi224ELb0ELb0EEvPKT_PKfPKi31ggml_cuda_mm_fusion_args_devicePfi15HIP_vector_typeIjLj3EEiiiSB_iiiSB_iiii,comdat
	.globl	_ZL13mul_mat_vec_fI6__halffLi8ELi224ELb0ELb0EEvPKT_PKfPKi31ggml_cuda_mm_fusion_args_devicePfi15HIP_vector_typeIjLj3EEiiiSB_iiiSB_iiii ; -- Begin function _ZL13mul_mat_vec_fI6__halffLi8ELi224ELb0ELb0EEvPKT_PKfPKi31ggml_cuda_mm_fusion_args_devicePfi15HIP_vector_typeIjLj3EEiiiSB_iiiSB_iiii
	.p2align	8
	.type	_ZL13mul_mat_vec_fI6__halffLi8ELi224ELb0ELb0EEvPKT_PKfPKi31ggml_cuda_mm_fusion_args_devicePfi15HIP_vector_typeIjLj3EEiiiSB_iiiSB_iiii,@function
_ZL13mul_mat_vec_fI6__halffLi8ELi224ELb0ELb0EEvPKT_PKfPKi31ggml_cuda_mm_fusion_args_devicePfi15HIP_vector_typeIjLj3EEiiiSB_iiiSB_iiii: ; @_ZL13mul_mat_vec_fI6__halffLi8ELi224ELb0ELb0EEvPKT_PKfPKi31ggml_cuda_mm_fusion_args_devicePfi15HIP_vector_typeIjLj3EEiiiSB_iiiSB_iiii
; %bb.0:
	s_clause 0x2
	s_load_dwordx2 s[0:1], s[4:5], 0x10
	s_load_dwordx8 s[12:19], s[4:5], 0x40
	s_load_dwordx4 s[20:23], s[4:5], 0x80
	s_waitcnt lgkmcnt(0)
	s_cmp_eq_u64 s[0:1], 0
	s_cselect_b32 s10, -1, 0
	s_cmp_lg_u64 s[0:1], 0
	s_cselect_b32 s11, -1, 0
	s_and_b32 vcc_lo, exec_lo, s10
	s_cbranch_vccnz .LBB262_2
; %bb.1:
	s_mul_i32 s2, s23, s8
	s_mov_b32 s3, 0
	s_add_i32 s2, s2, s7
	s_lshl_b64 s[24:25], s[2:3], 2
	s_add_u32 s0, s0, s24
	s_addc_u32 s1, s1, s25
	s_load_dword s9, s[0:1], 0x0
	s_cbranch_execz .LBB262_3
	s_branch .LBB262_4
.LBB262_2:
                                        ; implicit-def: $sgpr9
.LBB262_3:
	s_load_dwordx2 s[0:1], s[4:5], 0x5c
	s_waitcnt lgkmcnt(0)
	s_mul_hi_u32 s0, s0, s7
	s_add_i32 s0, s7, s0
	s_lshr_b32 s9, s0, s1
.LBB262_4:
	s_load_dwordx4 s[24:27], s[4:5], 0x68
	s_andn2_b32 vcc_lo, exec_lo, s11
	s_mov_b32 s19, s7
	s_cbranch_vccnz .LBB262_6
; %bb.5:
	s_mul_hi_u32 s0, s13, s7
	s_add_i32 s0, s7, s0
	s_lshr_b32 s0, s0, s14
	s_mul_i32 s0, s0, s15
	s_sub_i32 s19, s7, s0
.LBB262_6:
	s_load_dword s15, s[4:5], 0x78
	v_cmp_gt_u32_e32 vcc_lo, 32, v0
	v_lshl_add_u32 v5, v0, 2, 0
	s_and_saveexec_b32 s0, vcc_lo
; %bb.7:
	v_mov_b32_e32 v1, 0
	ds_write_b32 v5, v1
; %bb.8:
	s_or_b32 exec_lo, exec_lo, s0
	v_mov_b32_e32 v6, 0
	v_mov_b32_e32 v7, 0
	;; [unrolled: 1-line block ×8, first 2 shown]
	s_and_b32 s0, exec_lo, s10
	s_mov_b32 s11, 0
	s_cselect_b32 s10, s8, 0
	s_mov_b32 s13, exec_lo
	s_waitcnt lgkmcnt(0)
	s_barrier
	buffer_gl0_inv
	v_cmpx_gt_i32_e64 s12, v0
	s_cbranch_execz .LBB262_12
; %bb.9:
	s_load_dwordx4 s[0:3], s[4:5], 0x0
	s_mul_hi_u32 s23, s27, s10
	s_mul_hi_i32 s29, s21, s10
	s_mul_i32 s28, s21, s10
	s_mul_i32 s8, s9, s24
	;; [unrolled: 1-line block ×4, first 2 shown]
	s_add_i32 s16, s10, s23
	s_lshl_b64 s[28:29], s[28:29], 2
	s_ashr_i32 s9, s8, 31
	s_ashr_i32 s25, s24, 31
	;; [unrolled: 1-line block ×3, first 2 shown]
	s_lshr_b32 s15, s16, s15
	s_mov_b32 s34, s17
	s_mul_hi_i32 s37, s15, s20
	s_mul_i32 s36, s15, s20
	v_lshlrev_b32_e32 v2, 3, v0
	v_lshlrev_b32_e32 v1, 2, v0
	v_mov_b32_e32 v12, 0
	v_mov_b32_e32 v13, v0
	s_waitcnt lgkmcnt(0)
	s_add_u32 s16, s2, s28
	s_addc_u32 s19, s3, s29
	s_lshl_b64 s[30:31], s[30:31], 2
	v_mov_b32_e32 v14, 0
	s_add_u32 s15, s16, s30
	s_addc_u32 s16, s19, s31
	s_lshl_b64 s[8:9], s[8:9], 1
	s_ashr_i32 s35, s17, 31
	s_add_i32 s19, s17, s17
	s_lshl_b32 s20, s17, 2
	s_lshl_b64 s[36:37], s[36:37], 1
	s_lshl_b64 s[24:25], s[24:25], 1
	s_add_u32 s0, s0, s8
	s_addc_u32 s1, s1, s9
	s_add_u32 s0, s0, s24
	s_addc_u32 s1, s1, s25
	;; [unrolled: 2-line block ×3, first 2 shown]
	s_lshl_b64 s[8:9], s[34:35], 3
	s_add_u32 s2, s2, s30
	s_addc_u32 s3, s3, s31
	s_add_u32 s2, s2, s28
	s_addc_u32 s3, s3, s29
	v_add_co_u32 v3, s2, s2, v2
	v_add_co_ci_u32_e64 v4, null, s3, 0, s2
	v_add_co_u32 v1, s0, s0, v1
	v_add_co_ci_u32_e64 v2, null, s1, 0, s0
	;; [unrolled: 2-line block ×3, first 2 shown]
	v_mov_b32_e32 v11, 0
	v_mov_b32_e32 v10, 0
	;; [unrolled: 1-line block ×6, first 2 shown]
	s_mul_i32 s14, s17, 3
	s_mul_i32 s1, s17, 5
	;; [unrolled: 1-line block ×4, first 2 shown]
.LBB262_10:                             ; =>This Inner Loop Header: Depth=1
	v_add_nc_u32_e32 v19, s19, v13
	v_add_nc_u32_e32 v21, s14, v13
	;; [unrolled: 1-line block ×5, first 2 shown]
	v_ashrrev_i32_e32 v20, 31, v19
	v_ashrrev_i32_e32 v22, 31, v21
	;; [unrolled: 1-line block ×3, first 2 shown]
	v_add_nc_u32_e32 v29, s3, v13
	v_ashrrev_i32_e32 v26, 31, v25
	v_lshlrev_b64 v[19:20], 3, v[19:20]
	v_lshlrev_b64 v[21:22], 3, v[21:22]
	v_ashrrev_i32_e32 v28, 31, v27
	v_add_co_u32 v17, s0, v3, s8
	v_lshlrev_b64 v[23:24], 3, v[23:24]
	v_ashrrev_i32_e32 v30, 31, v29
	v_add_co_ci_u32_e64 v18, null, s9, v4, s0
	v_lshlrev_b64 v[25:26], 3, v[25:26]
	v_add_co_u32 v19, s0, s15, v19
	v_lshlrev_b64 v[27:28], 3, v[27:28]
	v_add_co_ci_u32_e64 v20, null, s16, v20, s0
	v_add_co_u32 v21, s0, s15, v21
	v_lshlrev_b64 v[29:30], 3, v[29:30]
	v_add_co_ci_u32_e64 v22, null, s16, v22, s0
	v_add_co_u32 v23, s0, s15, v23
	v_add_co_ci_u32_e64 v24, null, s16, v24, s0
	v_add_co_u32 v25, s0, s15, v25
	;; [unrolled: 2-line block ×4, first 2 shown]
	v_add_co_ci_u32_e64 v30, null, s16, v30, s0
	global_load_dword v31, v[1:2], off
	s_clause 0x1
	global_load_dwordx2 v[15:16], v[3:4], off offset:-4
	global_load_dwordx2 v[17:18], v[17:18], off offset:-4
	s_clause 0x5
	global_load_dwordx2 v[19:20], v[19:20], off
	global_load_dwordx2 v[21:22], v[21:22], off
	;; [unrolled: 1-line block ×6, first 2 shown]
	v_add_nc_u32_e32 v13, 0xe0, v13
	v_add_co_u32 v1, s0, 0x380, v1
	v_add_co_ci_u32_e64 v2, null, 0, v2, s0
	v_add_co_u32 v3, s0, 0x700, v3
	v_add_co_ci_u32_e64 v4, null, 0, v4, s0
	v_cmp_le_i32_e64 s0, s12, v13
	s_or_b32 s11, s0, s11
	s_waitcnt vmcnt(5)
	v_fma_mix_f32 v11, v19, v31, v11 op_sel_hi:[0,1,0]
	v_fma_mix_f32 v12, v15, v31, v12 op_sel_hi:[0,1,0]
	;; [unrolled: 1-line block ×3, first 2 shown]
	s_waitcnt vmcnt(4)
	v_fma_mix_f32 v10, v21, v31, v10 op_sel_hi:[0,1,0]
	s_waitcnt vmcnt(3)
	v_fma_mix_f32 v9, v23, v31, v9 op_sel_hi:[0,1,0]
	;; [unrolled: 2-line block ×5, first 2 shown]
	v_fma_mix_f32 v12, v16, v31, v12 op_sel:[0,1,0] op_sel_hi:[0,1,0]
	v_fma_mix_f32 v14, v18, v31, v14 op_sel:[0,1,0] op_sel_hi:[0,1,0]
	;; [unrolled: 1-line block ×8, first 2 shown]
	s_andn2_b32 exec_lo, exec_lo, s11
	s_cbranch_execnz .LBB262_10
; %bb.11:
	s_or_b32 exec_lo, exec_lo, s11
.LBB262_12:
	s_or_b32 exec_lo, exec_lo, s13
	v_mbcnt_lo_u32_b32 v2, -1, 0
	v_xor_b32_e32 v1, 16, v2
	v_xor_b32_e32 v3, 8, v2
	v_cmp_gt_i32_e64 s0, 32, v1
	v_cndmask_b32_e64 v1, v2, v1, s0
	v_cmp_gt_i32_e64 s0, 32, v3
	v_lshlrev_b32_e32 v1, 2, v1
	v_cndmask_b32_e64 v3, v2, v3, s0
	ds_bpermute_b32 v4, v1, v12
	v_lshlrev_b32_e32 v3, 2, v3
	s_waitcnt lgkmcnt(0)
	v_add_f32_e32 v12, v12, v4
	v_xor_b32_e32 v4, 4, v2
	ds_bpermute_b32 v13, v3, v12
	v_cmp_gt_i32_e64 s0, 32, v4
	v_cndmask_b32_e64 v4, v2, v4, s0
	v_lshlrev_b32_e32 v4, 2, v4
	s_waitcnt lgkmcnt(0)
	v_add_f32_e32 v13, v12, v13
	v_xor_b32_e32 v12, 2, v2
	ds_bpermute_b32 v15, v4, v13
	v_cmp_gt_i32_e64 s0, 32, v12
	v_cndmask_b32_e64 v12, v2, v12, s0
	;; [unrolled: 7-line block ×3, first 2 shown]
	v_lshlrev_b32_e32 v13, 2, v2
	s_waitcnt lgkmcnt(0)
	v_add_f32_e32 v2, v15, v16
	v_lshrrev_b32_e32 v15, 3, v0
	ds_bpermute_b32 v16, v13, v2
	v_and_b32_e32 v15, 0x7c, v15
	v_add_nc_u32_e32 v15, 0, v15
	s_waitcnt lgkmcnt(0)
	v_add_f32_e32 v2, v2, v16
	ds_write_b32 v15, v2
	s_waitcnt lgkmcnt(0)
	s_barrier
	buffer_gl0_inv
	s_and_saveexec_b32 s0, vcc_lo
	s_cbranch_execz .LBB262_14
; %bb.13:
	ds_read_b32 v2, v5
	s_waitcnt lgkmcnt(0)
	ds_bpermute_b32 v16, v1, v2
	s_waitcnt lgkmcnt(0)
	v_add_f32_e32 v2, v2, v16
	ds_bpermute_b32 v16, v3, v2
	s_waitcnt lgkmcnt(0)
	v_add_f32_e32 v2, v2, v16
	ds_bpermute_b32 v16, v4, v2
	s_waitcnt lgkmcnt(0)
	v_add_f32_e32 v2, v2, v16
	ds_bpermute_b32 v16, v12, v2
	s_waitcnt lgkmcnt(0)
	v_add_f32_e32 v2, v2, v16
	ds_bpermute_b32 v16, v13, v2
	s_waitcnt lgkmcnt(0)
	v_add_f32_e32 v2, v2, v16
.LBB262_14:
	s_or_b32 exec_lo, exec_lo, s0
	ds_bpermute_b32 v16, v1, v14
	s_waitcnt lgkmcnt(0)
	s_barrier
	buffer_gl0_inv
	v_add_f32_e32 v14, v14, v16
	ds_bpermute_b32 v16, v3, v14
	s_waitcnt lgkmcnt(0)
	v_add_f32_e32 v14, v14, v16
	ds_bpermute_b32 v16, v4, v14
	s_waitcnt lgkmcnt(0)
	v_add_f32_e32 v14, v14, v16
	ds_bpermute_b32 v16, v12, v14
	s_waitcnt lgkmcnt(0)
	v_add_f32_e32 v14, v14, v16
	ds_bpermute_b32 v16, v13, v14
	s_waitcnt lgkmcnt(0)
	v_add_f32_e32 v14, v14, v16
	ds_write_b32 v15, v14
	s_waitcnt lgkmcnt(0)
	s_barrier
	buffer_gl0_inv
	s_and_saveexec_b32 s0, vcc_lo
	s_cbranch_execz .LBB262_16
; %bb.15:
	ds_read_b32 v14, v5
	s_waitcnt lgkmcnt(0)
	ds_bpermute_b32 v16, v1, v14
	s_waitcnt lgkmcnt(0)
	v_add_f32_e32 v14, v14, v16
	ds_bpermute_b32 v16, v3, v14
	s_waitcnt lgkmcnt(0)
	v_add_f32_e32 v14, v14, v16
	ds_bpermute_b32 v16, v4, v14
	s_waitcnt lgkmcnt(0)
	v_add_f32_e32 v14, v14, v16
	ds_bpermute_b32 v16, v12, v14
	s_waitcnt lgkmcnt(0)
	v_add_f32_e32 v14, v14, v16
	ds_bpermute_b32 v16, v13, v14
	s_waitcnt lgkmcnt(0)
	v_add_f32_e32 v14, v14, v16
.LBB262_16:
	s_or_b32 exec_lo, exec_lo, s0
	ds_bpermute_b32 v16, v1, v11
	s_waitcnt lgkmcnt(0)
	s_barrier
	buffer_gl0_inv
	v_add_f32_e32 v11, v11, v16
	ds_bpermute_b32 v16, v3, v11
	s_waitcnt lgkmcnt(0)
	v_add_f32_e32 v11, v11, v16
	ds_bpermute_b32 v16, v4, v11
	s_waitcnt lgkmcnt(0)
	v_add_f32_e32 v11, v11, v16
	ds_bpermute_b32 v16, v12, v11
	s_waitcnt lgkmcnt(0)
	v_add_f32_e32 v11, v11, v16
	ds_bpermute_b32 v16, v13, v11
	;; [unrolled: 43-line block ×7, first 2 shown]
	s_waitcnt lgkmcnt(0)
	v_add_f32_e32 v6, v6, v16
	ds_write_b32 v15, v6
	s_waitcnt lgkmcnt(0)
	s_barrier
	buffer_gl0_inv
	s_and_saveexec_b32 s0, vcc_lo
	s_cbranch_execz .LBB262_28
; %bb.27:
	ds_read_b32 v5, v5
	s_waitcnt lgkmcnt(0)
	ds_bpermute_b32 v1, v1, v5
	s_waitcnt lgkmcnt(0)
	v_add_f32_e32 v1, v5, v1
	ds_bpermute_b32 v3, v3, v1
	s_waitcnt lgkmcnt(0)
	v_add_f32_e32 v1, v1, v3
	;; [unrolled: 3-line block ×5, first 2 shown]
.LBB262_28:
	s_or_b32 exec_lo, exec_lo, s0
	s_barrier
	buffer_gl0_inv
	s_mov_b32 s0, exec_lo
	v_cmpx_gt_u32_e32 8, v0
	s_cbranch_execz .LBB262_30
; %bb.29:
	v_cmp_eq_u32_e32 vcc_lo, 1, v0
	s_load_dwordx2 s[0:1], s[4:5], 0x38
	s_mul_hi_i32 s3, s22, s10
	s_mul_i32 s2, s22, s10
	s_mul_i32 s4, s26, s7
	v_cndmask_b32_e32 v1, v2, v14, vcc_lo
	v_cmp_eq_u32_e32 vcc_lo, 2, v0
	s_lshl_b64 s[2:3], s[2:3], 2
	s_ashr_i32 s5, s4, 31
	v_cndmask_b32_e32 v3, v1, v11, vcc_lo
	v_cmp_eq_u32_e32 vcc_lo, 3, v0
	v_mad_u64_u32 v[1:2], null, s18, v0, s[6:7]
	v_cndmask_b32_e32 v2, v3, v10, vcc_lo
	v_cmp_eq_u32_e32 vcc_lo, 4, v0
	s_waitcnt lgkmcnt(0)
	s_add_u32 s2, s0, s2
	s_addc_u32 s3, s1, s3
	v_cndmask_b32_e32 v3, v2, v9, vcc_lo
	v_cmp_eq_u32_e32 vcc_lo, 5, v0
	v_ashrrev_i32_e32 v2, 31, v1
	s_lshl_b64 s[0:1], s[4:5], 2
	s_add_u32 s0, s2, s0
	v_cndmask_b32_e32 v3, v3, v8, vcc_lo
	v_cmp_eq_u32_e32 vcc_lo, 6, v0
	v_lshlrev_b64 v[1:2], 2, v[1:2]
	s_addc_u32 s1, s3, s1
	v_cndmask_b32_e32 v3, v3, v7, vcc_lo
	v_cmp_eq_u32_e32 vcc_lo, 7, v0
	v_cndmask_b32_e32 v3, v3, v6, vcc_lo
	v_add_co_u32 v0, vcc_lo, s0, v1
	v_add_co_ci_u32_e64 v1, null, s1, v2, vcc_lo
	global_store_dword v[0:1], v3, off
.LBB262_30:
	s_endpgm
	.section	.rodata,"a",@progbits
	.p2align	6, 0x0
	.amdhsa_kernel _ZL13mul_mat_vec_fI6__halffLi8ELi224ELb0ELb0EEvPKT_PKfPKi31ggml_cuda_mm_fusion_args_devicePfi15HIP_vector_typeIjLj3EEiiiSB_iiiSB_iiii
		.amdhsa_group_segment_fixed_size 0
		.amdhsa_private_segment_fixed_size 0
		.amdhsa_kernarg_size 144
		.amdhsa_user_sgpr_count 6
		.amdhsa_user_sgpr_private_segment_buffer 1
		.amdhsa_user_sgpr_dispatch_ptr 0
		.amdhsa_user_sgpr_queue_ptr 0
		.amdhsa_user_sgpr_kernarg_segment_ptr 1
		.amdhsa_user_sgpr_dispatch_id 0
		.amdhsa_user_sgpr_flat_scratch_init 0
		.amdhsa_user_sgpr_private_segment_size 0
		.amdhsa_wavefront_size32 1
		.amdhsa_uses_dynamic_stack 0
		.amdhsa_system_sgpr_private_segment_wavefront_offset 0
		.amdhsa_system_sgpr_workgroup_id_x 1
		.amdhsa_system_sgpr_workgroup_id_y 1
		.amdhsa_system_sgpr_workgroup_id_z 1
		.amdhsa_system_sgpr_workgroup_info 0
		.amdhsa_system_vgpr_workitem_id 0
		.amdhsa_next_free_vgpr 32
		.amdhsa_next_free_sgpr 38
		.amdhsa_reserve_vcc 1
		.amdhsa_reserve_flat_scratch 0
		.amdhsa_float_round_mode_32 0
		.amdhsa_float_round_mode_16_64 0
		.amdhsa_float_denorm_mode_32 3
		.amdhsa_float_denorm_mode_16_64 3
		.amdhsa_dx10_clamp 1
		.amdhsa_ieee_mode 1
		.amdhsa_fp16_overflow 0
		.amdhsa_workgroup_processor_mode 1
		.amdhsa_memory_ordered 1
		.amdhsa_forward_progress 1
		.amdhsa_shared_vgpr_count 0
		.amdhsa_exception_fp_ieee_invalid_op 0
		.amdhsa_exception_fp_denorm_src 0
		.amdhsa_exception_fp_ieee_div_zero 0
		.amdhsa_exception_fp_ieee_overflow 0
		.amdhsa_exception_fp_ieee_underflow 0
		.amdhsa_exception_fp_ieee_inexact 0
		.amdhsa_exception_int_div_zero 0
	.end_amdhsa_kernel
	.section	.text._ZL13mul_mat_vec_fI6__halffLi8ELi224ELb0ELb0EEvPKT_PKfPKi31ggml_cuda_mm_fusion_args_devicePfi15HIP_vector_typeIjLj3EEiiiSB_iiiSB_iiii,"axG",@progbits,_ZL13mul_mat_vec_fI6__halffLi8ELi224ELb0ELb0EEvPKT_PKfPKi31ggml_cuda_mm_fusion_args_devicePfi15HIP_vector_typeIjLj3EEiiiSB_iiiSB_iiii,comdat
.Lfunc_end262:
	.size	_ZL13mul_mat_vec_fI6__halffLi8ELi224ELb0ELb0EEvPKT_PKfPKi31ggml_cuda_mm_fusion_args_devicePfi15HIP_vector_typeIjLj3EEiiiSB_iiiSB_iiii, .Lfunc_end262-_ZL13mul_mat_vec_fI6__halffLi8ELi224ELb0ELb0EEvPKT_PKfPKi31ggml_cuda_mm_fusion_args_devicePfi15HIP_vector_typeIjLj3EEiiiSB_iiiSB_iiii
                                        ; -- End function
	.set _ZL13mul_mat_vec_fI6__halffLi8ELi224ELb0ELb0EEvPKT_PKfPKi31ggml_cuda_mm_fusion_args_devicePfi15HIP_vector_typeIjLj3EEiiiSB_iiiSB_iiii.num_vgpr, 32
	.set _ZL13mul_mat_vec_fI6__halffLi8ELi224ELb0ELb0EEvPKT_PKfPKi31ggml_cuda_mm_fusion_args_devicePfi15HIP_vector_typeIjLj3EEiiiSB_iiiSB_iiii.num_agpr, 0
	.set _ZL13mul_mat_vec_fI6__halffLi8ELi224ELb0ELb0EEvPKT_PKfPKi31ggml_cuda_mm_fusion_args_devicePfi15HIP_vector_typeIjLj3EEiiiSB_iiiSB_iiii.numbered_sgpr, 38
	.set _ZL13mul_mat_vec_fI6__halffLi8ELi224ELb0ELb0EEvPKT_PKfPKi31ggml_cuda_mm_fusion_args_devicePfi15HIP_vector_typeIjLj3EEiiiSB_iiiSB_iiii.num_named_barrier, 0
	.set _ZL13mul_mat_vec_fI6__halffLi8ELi224ELb0ELb0EEvPKT_PKfPKi31ggml_cuda_mm_fusion_args_devicePfi15HIP_vector_typeIjLj3EEiiiSB_iiiSB_iiii.private_seg_size, 0
	.set _ZL13mul_mat_vec_fI6__halffLi8ELi224ELb0ELb0EEvPKT_PKfPKi31ggml_cuda_mm_fusion_args_devicePfi15HIP_vector_typeIjLj3EEiiiSB_iiiSB_iiii.uses_vcc, 1
	.set _ZL13mul_mat_vec_fI6__halffLi8ELi224ELb0ELb0EEvPKT_PKfPKi31ggml_cuda_mm_fusion_args_devicePfi15HIP_vector_typeIjLj3EEiiiSB_iiiSB_iiii.uses_flat_scratch, 0
	.set _ZL13mul_mat_vec_fI6__halffLi8ELi224ELb0ELb0EEvPKT_PKfPKi31ggml_cuda_mm_fusion_args_devicePfi15HIP_vector_typeIjLj3EEiiiSB_iiiSB_iiii.has_dyn_sized_stack, 0
	.set _ZL13mul_mat_vec_fI6__halffLi8ELi224ELb0ELb0EEvPKT_PKfPKi31ggml_cuda_mm_fusion_args_devicePfi15HIP_vector_typeIjLj3EEiiiSB_iiiSB_iiii.has_recursion, 0
	.set _ZL13mul_mat_vec_fI6__halffLi8ELi224ELb0ELb0EEvPKT_PKfPKi31ggml_cuda_mm_fusion_args_devicePfi15HIP_vector_typeIjLj3EEiiiSB_iiiSB_iiii.has_indirect_call, 0
	.section	.AMDGPU.csdata,"",@progbits
; Kernel info:
; codeLenInByte = 3132
; TotalNumSgprs: 40
; NumVgprs: 32
; ScratchSize: 0
; MemoryBound: 0
; FloatMode: 240
; IeeeMode: 1
; LDSByteSize: 0 bytes/workgroup (compile time only)
; SGPRBlocks: 0
; VGPRBlocks: 3
; NumSGPRsForWavesPerEU: 40
; NumVGPRsForWavesPerEU: 32
; Occupancy: 16
; WaveLimiterHint : 0
; COMPUTE_PGM_RSRC2:SCRATCH_EN: 0
; COMPUTE_PGM_RSRC2:USER_SGPR: 6
; COMPUTE_PGM_RSRC2:TRAP_HANDLER: 0
; COMPUTE_PGM_RSRC2:TGID_X_EN: 1
; COMPUTE_PGM_RSRC2:TGID_Y_EN: 1
; COMPUTE_PGM_RSRC2:TGID_Z_EN: 1
; COMPUTE_PGM_RSRC2:TIDIG_COMP_CNT: 0
	.section	.text._ZL13mul_mat_vec_fI6__halffLi8ELi256ELb0ELb0EEvPKT_PKfPKi31ggml_cuda_mm_fusion_args_devicePfi15HIP_vector_typeIjLj3EEiiiSB_iiiSB_iiii,"axG",@progbits,_ZL13mul_mat_vec_fI6__halffLi8ELi256ELb0ELb0EEvPKT_PKfPKi31ggml_cuda_mm_fusion_args_devicePfi15HIP_vector_typeIjLj3EEiiiSB_iiiSB_iiii,comdat
	.globl	_ZL13mul_mat_vec_fI6__halffLi8ELi256ELb0ELb0EEvPKT_PKfPKi31ggml_cuda_mm_fusion_args_devicePfi15HIP_vector_typeIjLj3EEiiiSB_iiiSB_iiii ; -- Begin function _ZL13mul_mat_vec_fI6__halffLi8ELi256ELb0ELb0EEvPKT_PKfPKi31ggml_cuda_mm_fusion_args_devicePfi15HIP_vector_typeIjLj3EEiiiSB_iiiSB_iiii
	.p2align	8
	.type	_ZL13mul_mat_vec_fI6__halffLi8ELi256ELb0ELb0EEvPKT_PKfPKi31ggml_cuda_mm_fusion_args_devicePfi15HIP_vector_typeIjLj3EEiiiSB_iiiSB_iiii,@function
_ZL13mul_mat_vec_fI6__halffLi8ELi256ELb0ELb0EEvPKT_PKfPKi31ggml_cuda_mm_fusion_args_devicePfi15HIP_vector_typeIjLj3EEiiiSB_iiiSB_iiii: ; @_ZL13mul_mat_vec_fI6__halffLi8ELi256ELb0ELb0EEvPKT_PKfPKi31ggml_cuda_mm_fusion_args_devicePfi15HIP_vector_typeIjLj3EEiiiSB_iiiSB_iiii
; %bb.0:
	s_clause 0x2
	s_load_dwordx2 s[0:1], s[4:5], 0x10
	s_load_dwordx8 s[12:19], s[4:5], 0x40
	s_load_dwordx4 s[20:23], s[4:5], 0x80
	s_waitcnt lgkmcnt(0)
	s_cmp_eq_u64 s[0:1], 0
	s_cselect_b32 s10, -1, 0
	s_cmp_lg_u64 s[0:1], 0
	s_cselect_b32 s11, -1, 0
	s_and_b32 vcc_lo, exec_lo, s10
	s_cbranch_vccnz .LBB263_2
; %bb.1:
	s_mul_i32 s2, s23, s8
	s_mov_b32 s3, 0
	s_add_i32 s2, s2, s7
	s_lshl_b64 s[24:25], s[2:3], 2
	s_add_u32 s0, s0, s24
	s_addc_u32 s1, s1, s25
	s_load_dword s9, s[0:1], 0x0
	s_cbranch_execz .LBB263_3
	s_branch .LBB263_4
.LBB263_2:
                                        ; implicit-def: $sgpr9
.LBB263_3:
	s_load_dwordx2 s[0:1], s[4:5], 0x5c
	s_waitcnt lgkmcnt(0)
	s_mul_hi_u32 s0, s0, s7
	s_add_i32 s0, s7, s0
	s_lshr_b32 s9, s0, s1
.LBB263_4:
	s_load_dwordx4 s[24:27], s[4:5], 0x68
	s_andn2_b32 vcc_lo, exec_lo, s11
	s_mov_b32 s19, s7
	s_cbranch_vccnz .LBB263_6
; %bb.5:
	s_mul_hi_u32 s0, s13, s7
	s_add_i32 s0, s7, s0
	s_lshr_b32 s0, s0, s14
	s_mul_i32 s0, s0, s15
	s_sub_i32 s19, s7, s0
.LBB263_6:
	s_load_dword s15, s[4:5], 0x78
	v_cmp_gt_u32_e32 vcc_lo, 32, v0
	v_lshl_add_u32 v5, v0, 2, 0
	s_and_saveexec_b32 s0, vcc_lo
; %bb.7:
	v_mov_b32_e32 v1, 0
	ds_write_b32 v5, v1
; %bb.8:
	s_or_b32 exec_lo, exec_lo, s0
	v_mov_b32_e32 v6, 0
	v_mov_b32_e32 v7, 0
	v_mov_b32_e32 v8, 0
	v_mov_b32_e32 v9, 0
	v_mov_b32_e32 v10, 0
	v_mov_b32_e32 v11, 0
	v_mov_b32_e32 v14, 0
	v_mov_b32_e32 v12, 0
	s_and_b32 s0, exec_lo, s10
	s_mov_b32 s11, 0
	s_cselect_b32 s10, s8, 0
	s_mov_b32 s13, exec_lo
	s_waitcnt lgkmcnt(0)
	s_barrier
	buffer_gl0_inv
	v_cmpx_gt_i32_e64 s12, v0
	s_cbranch_execz .LBB263_12
; %bb.9:
	s_load_dwordx4 s[0:3], s[4:5], 0x0
	s_mul_hi_u32 s23, s27, s10
	s_mul_hi_i32 s29, s21, s10
	s_mul_i32 s28, s21, s10
	s_mul_i32 s8, s9, s24
	;; [unrolled: 1-line block ×4, first 2 shown]
	s_add_i32 s16, s10, s23
	s_lshl_b64 s[28:29], s[28:29], 2
	s_ashr_i32 s9, s8, 31
	s_ashr_i32 s25, s24, 31
	;; [unrolled: 1-line block ×3, first 2 shown]
	s_lshr_b32 s15, s16, s15
	s_mov_b32 s34, s17
	s_mul_hi_i32 s37, s15, s20
	s_mul_i32 s36, s15, s20
	v_lshlrev_b32_e32 v2, 3, v0
	v_lshlrev_b32_e32 v1, 2, v0
	v_mov_b32_e32 v12, 0
	v_mov_b32_e32 v13, v0
	s_waitcnt lgkmcnt(0)
	s_add_u32 s16, s2, s28
	s_addc_u32 s19, s3, s29
	s_lshl_b64 s[30:31], s[30:31], 2
	v_mov_b32_e32 v14, 0
	s_add_u32 s15, s16, s30
	s_addc_u32 s16, s19, s31
	s_lshl_b64 s[8:9], s[8:9], 1
	s_ashr_i32 s35, s17, 31
	s_add_i32 s19, s17, s17
	s_lshl_b32 s20, s17, 2
	s_lshl_b64 s[36:37], s[36:37], 1
	s_lshl_b64 s[24:25], s[24:25], 1
	s_add_u32 s0, s0, s8
	s_addc_u32 s1, s1, s9
	s_add_u32 s0, s0, s24
	s_addc_u32 s1, s1, s25
	;; [unrolled: 2-line block ×3, first 2 shown]
	s_lshl_b64 s[8:9], s[34:35], 3
	s_add_u32 s2, s2, s30
	s_addc_u32 s3, s3, s31
	s_add_u32 s2, s2, s28
	s_addc_u32 s3, s3, s29
	v_add_co_u32 v3, s2, s2, v2
	v_add_co_ci_u32_e64 v4, null, s3, 0, s2
	v_add_co_u32 v1, s0, s0, v1
	v_add_co_ci_u32_e64 v2, null, s1, 0, s0
	;; [unrolled: 2-line block ×3, first 2 shown]
	v_mov_b32_e32 v11, 0
	v_mov_b32_e32 v10, 0
	;; [unrolled: 1-line block ×6, first 2 shown]
	s_mul_i32 s14, s17, 3
	s_mul_i32 s1, s17, 5
	;; [unrolled: 1-line block ×4, first 2 shown]
.LBB263_10:                             ; =>This Inner Loop Header: Depth=1
	v_add_nc_u32_e32 v19, s19, v13
	v_add_nc_u32_e32 v21, s14, v13
	;; [unrolled: 1-line block ×5, first 2 shown]
	v_ashrrev_i32_e32 v20, 31, v19
	v_ashrrev_i32_e32 v22, 31, v21
	;; [unrolled: 1-line block ×3, first 2 shown]
	v_add_nc_u32_e32 v29, s3, v13
	v_ashrrev_i32_e32 v26, 31, v25
	v_lshlrev_b64 v[19:20], 3, v[19:20]
	v_lshlrev_b64 v[21:22], 3, v[21:22]
	v_ashrrev_i32_e32 v28, 31, v27
	v_add_co_u32 v17, s0, v3, s8
	v_lshlrev_b64 v[23:24], 3, v[23:24]
	v_ashrrev_i32_e32 v30, 31, v29
	v_add_co_ci_u32_e64 v18, null, s9, v4, s0
	v_lshlrev_b64 v[25:26], 3, v[25:26]
	v_add_co_u32 v19, s0, s15, v19
	v_lshlrev_b64 v[27:28], 3, v[27:28]
	v_add_co_ci_u32_e64 v20, null, s16, v20, s0
	v_add_co_u32 v21, s0, s15, v21
	v_lshlrev_b64 v[29:30], 3, v[29:30]
	v_add_co_ci_u32_e64 v22, null, s16, v22, s0
	v_add_co_u32 v23, s0, s15, v23
	v_add_co_ci_u32_e64 v24, null, s16, v24, s0
	v_add_co_u32 v25, s0, s15, v25
	;; [unrolled: 2-line block ×4, first 2 shown]
	v_add_co_ci_u32_e64 v30, null, s16, v30, s0
	global_load_dword v31, v[1:2], off
	s_clause 0x1
	global_load_dwordx2 v[15:16], v[3:4], off offset:-4
	global_load_dwordx2 v[17:18], v[17:18], off offset:-4
	s_clause 0x5
	global_load_dwordx2 v[19:20], v[19:20], off
	global_load_dwordx2 v[21:22], v[21:22], off
	global_load_dwordx2 v[23:24], v[23:24], off
	global_load_dwordx2 v[25:26], v[25:26], off
	global_load_dwordx2 v[27:28], v[27:28], off
	global_load_dwordx2 v[29:30], v[29:30], off
	v_add_nc_u32_e32 v13, 0x100, v13
	v_add_co_u32 v1, s0, 0x400, v1
	v_add_co_ci_u32_e64 v2, null, 0, v2, s0
	v_add_co_u32 v3, s0, 0x800, v3
	v_add_co_ci_u32_e64 v4, null, 0, v4, s0
	v_cmp_le_i32_e64 s0, s12, v13
	s_or_b32 s11, s0, s11
	s_waitcnt vmcnt(5)
	v_fma_mix_f32 v11, v19, v31, v11 op_sel_hi:[0,1,0]
	v_fma_mix_f32 v12, v15, v31, v12 op_sel_hi:[0,1,0]
	;; [unrolled: 1-line block ×3, first 2 shown]
	s_waitcnt vmcnt(4)
	v_fma_mix_f32 v10, v21, v31, v10 op_sel_hi:[0,1,0]
	s_waitcnt vmcnt(3)
	v_fma_mix_f32 v9, v23, v31, v9 op_sel_hi:[0,1,0]
	;; [unrolled: 2-line block ×5, first 2 shown]
	v_fma_mix_f32 v12, v16, v31, v12 op_sel:[0,1,0] op_sel_hi:[0,1,0]
	v_fma_mix_f32 v14, v18, v31, v14 op_sel:[0,1,0] op_sel_hi:[0,1,0]
	;; [unrolled: 1-line block ×8, first 2 shown]
	s_andn2_b32 exec_lo, exec_lo, s11
	s_cbranch_execnz .LBB263_10
; %bb.11:
	s_or_b32 exec_lo, exec_lo, s11
.LBB263_12:
	s_or_b32 exec_lo, exec_lo, s13
	v_mbcnt_lo_u32_b32 v2, -1, 0
	v_xor_b32_e32 v1, 16, v2
	v_xor_b32_e32 v3, 8, v2
	v_cmp_gt_i32_e64 s0, 32, v1
	v_cndmask_b32_e64 v1, v2, v1, s0
	v_cmp_gt_i32_e64 s0, 32, v3
	v_lshlrev_b32_e32 v1, 2, v1
	v_cndmask_b32_e64 v3, v2, v3, s0
	ds_bpermute_b32 v4, v1, v12
	v_lshlrev_b32_e32 v3, 2, v3
	s_waitcnt lgkmcnt(0)
	v_add_f32_e32 v12, v12, v4
	v_xor_b32_e32 v4, 4, v2
	ds_bpermute_b32 v13, v3, v12
	v_cmp_gt_i32_e64 s0, 32, v4
	v_cndmask_b32_e64 v4, v2, v4, s0
	v_lshlrev_b32_e32 v4, 2, v4
	s_waitcnt lgkmcnt(0)
	v_add_f32_e32 v13, v12, v13
	v_xor_b32_e32 v12, 2, v2
	ds_bpermute_b32 v15, v4, v13
	v_cmp_gt_i32_e64 s0, 32, v12
	v_cndmask_b32_e64 v12, v2, v12, s0
	;; [unrolled: 7-line block ×3, first 2 shown]
	v_lshlrev_b32_e32 v13, 2, v2
	s_waitcnt lgkmcnt(0)
	v_add_f32_e32 v2, v15, v16
	v_lshrrev_b32_e32 v15, 3, v0
	ds_bpermute_b32 v16, v13, v2
	v_and_b32_e32 v15, 0x7c, v15
	v_add_nc_u32_e32 v15, 0, v15
	s_waitcnt lgkmcnt(0)
	v_add_f32_e32 v2, v2, v16
	ds_write_b32 v15, v2
	s_waitcnt lgkmcnt(0)
	s_barrier
	buffer_gl0_inv
	s_and_saveexec_b32 s0, vcc_lo
	s_cbranch_execz .LBB263_14
; %bb.13:
	ds_read_b32 v2, v5
	s_waitcnt lgkmcnt(0)
	ds_bpermute_b32 v16, v1, v2
	s_waitcnt lgkmcnt(0)
	v_add_f32_e32 v2, v2, v16
	ds_bpermute_b32 v16, v3, v2
	s_waitcnt lgkmcnt(0)
	v_add_f32_e32 v2, v2, v16
	ds_bpermute_b32 v16, v4, v2
	s_waitcnt lgkmcnt(0)
	v_add_f32_e32 v2, v2, v16
	ds_bpermute_b32 v16, v12, v2
	s_waitcnt lgkmcnt(0)
	v_add_f32_e32 v2, v2, v16
	ds_bpermute_b32 v16, v13, v2
	s_waitcnt lgkmcnt(0)
	v_add_f32_e32 v2, v2, v16
.LBB263_14:
	s_or_b32 exec_lo, exec_lo, s0
	ds_bpermute_b32 v16, v1, v14
	s_waitcnt lgkmcnt(0)
	s_barrier
	buffer_gl0_inv
	v_add_f32_e32 v14, v14, v16
	ds_bpermute_b32 v16, v3, v14
	s_waitcnt lgkmcnt(0)
	v_add_f32_e32 v14, v14, v16
	ds_bpermute_b32 v16, v4, v14
	s_waitcnt lgkmcnt(0)
	v_add_f32_e32 v14, v14, v16
	ds_bpermute_b32 v16, v12, v14
	s_waitcnt lgkmcnt(0)
	v_add_f32_e32 v14, v14, v16
	ds_bpermute_b32 v16, v13, v14
	s_waitcnt lgkmcnt(0)
	v_add_f32_e32 v14, v14, v16
	ds_write_b32 v15, v14
	s_waitcnt lgkmcnt(0)
	s_barrier
	buffer_gl0_inv
	s_and_saveexec_b32 s0, vcc_lo
	s_cbranch_execz .LBB263_16
; %bb.15:
	ds_read_b32 v14, v5
	s_waitcnt lgkmcnt(0)
	ds_bpermute_b32 v16, v1, v14
	s_waitcnt lgkmcnt(0)
	v_add_f32_e32 v14, v14, v16
	ds_bpermute_b32 v16, v3, v14
	s_waitcnt lgkmcnt(0)
	v_add_f32_e32 v14, v14, v16
	ds_bpermute_b32 v16, v4, v14
	s_waitcnt lgkmcnt(0)
	v_add_f32_e32 v14, v14, v16
	ds_bpermute_b32 v16, v12, v14
	s_waitcnt lgkmcnt(0)
	v_add_f32_e32 v14, v14, v16
	ds_bpermute_b32 v16, v13, v14
	s_waitcnt lgkmcnt(0)
	v_add_f32_e32 v14, v14, v16
.LBB263_16:
	s_or_b32 exec_lo, exec_lo, s0
	ds_bpermute_b32 v16, v1, v11
	s_waitcnt lgkmcnt(0)
	s_barrier
	buffer_gl0_inv
	v_add_f32_e32 v11, v11, v16
	ds_bpermute_b32 v16, v3, v11
	s_waitcnt lgkmcnt(0)
	v_add_f32_e32 v11, v11, v16
	ds_bpermute_b32 v16, v4, v11
	s_waitcnt lgkmcnt(0)
	v_add_f32_e32 v11, v11, v16
	ds_bpermute_b32 v16, v12, v11
	s_waitcnt lgkmcnt(0)
	v_add_f32_e32 v11, v11, v16
	ds_bpermute_b32 v16, v13, v11
	s_waitcnt lgkmcnt(0)
	v_add_f32_e32 v11, v11, v16
	ds_write_b32 v15, v11
	s_waitcnt lgkmcnt(0)
	s_barrier
	buffer_gl0_inv
	s_and_saveexec_b32 s0, vcc_lo
	s_cbranch_execz .LBB263_18
; %bb.17:
	ds_read_b32 v11, v5
	s_waitcnt lgkmcnt(0)
	ds_bpermute_b32 v16, v1, v11
	s_waitcnt lgkmcnt(0)
	v_add_f32_e32 v11, v11, v16
	ds_bpermute_b32 v16, v3, v11
	s_waitcnt lgkmcnt(0)
	v_add_f32_e32 v11, v11, v16
	ds_bpermute_b32 v16, v4, v11
	s_waitcnt lgkmcnt(0)
	v_add_f32_e32 v11, v11, v16
	ds_bpermute_b32 v16, v12, v11
	s_waitcnt lgkmcnt(0)
	v_add_f32_e32 v11, v11, v16
	ds_bpermute_b32 v16, v13, v11
	s_waitcnt lgkmcnt(0)
	v_add_f32_e32 v11, v11, v16
.LBB263_18:
	s_or_b32 exec_lo, exec_lo, s0
	ds_bpermute_b32 v16, v1, v10
	s_waitcnt lgkmcnt(0)
	s_barrier
	buffer_gl0_inv
	v_add_f32_e32 v10, v10, v16
	ds_bpermute_b32 v16, v3, v10
	s_waitcnt lgkmcnt(0)
	v_add_f32_e32 v10, v10, v16
	ds_bpermute_b32 v16, v4, v10
	s_waitcnt lgkmcnt(0)
	v_add_f32_e32 v10, v10, v16
	ds_bpermute_b32 v16, v12, v10
	s_waitcnt lgkmcnt(0)
	v_add_f32_e32 v10, v10, v16
	ds_bpermute_b32 v16, v13, v10
	s_waitcnt lgkmcnt(0)
	v_add_f32_e32 v10, v10, v16
	ds_write_b32 v15, v10
	s_waitcnt lgkmcnt(0)
	s_barrier
	buffer_gl0_inv
	s_and_saveexec_b32 s0, vcc_lo
	s_cbranch_execz .LBB263_20
; %bb.19:
	ds_read_b32 v10, v5
	s_waitcnt lgkmcnt(0)
	ds_bpermute_b32 v16, v1, v10
	s_waitcnt lgkmcnt(0)
	v_add_f32_e32 v10, v10, v16
	ds_bpermute_b32 v16, v3, v10
	s_waitcnt lgkmcnt(0)
	v_add_f32_e32 v10, v10, v16
	ds_bpermute_b32 v16, v4, v10
	s_waitcnt lgkmcnt(0)
	v_add_f32_e32 v10, v10, v16
	ds_bpermute_b32 v16, v12, v10
	s_waitcnt lgkmcnt(0)
	v_add_f32_e32 v10, v10, v16
	ds_bpermute_b32 v16, v13, v10
	s_waitcnt lgkmcnt(0)
	v_add_f32_e32 v10, v10, v16
.LBB263_20:
	s_or_b32 exec_lo, exec_lo, s0
	ds_bpermute_b32 v16, v1, v9
	s_waitcnt lgkmcnt(0)
	s_barrier
	buffer_gl0_inv
	v_add_f32_e32 v9, v9, v16
	ds_bpermute_b32 v16, v3, v9
	s_waitcnt lgkmcnt(0)
	v_add_f32_e32 v9, v9, v16
	ds_bpermute_b32 v16, v4, v9
	s_waitcnt lgkmcnt(0)
	v_add_f32_e32 v9, v9, v16
	ds_bpermute_b32 v16, v12, v9
	s_waitcnt lgkmcnt(0)
	v_add_f32_e32 v9, v9, v16
	ds_bpermute_b32 v16, v13, v9
	s_waitcnt lgkmcnt(0)
	v_add_f32_e32 v9, v9, v16
	ds_write_b32 v15, v9
	s_waitcnt lgkmcnt(0)
	s_barrier
	buffer_gl0_inv
	s_and_saveexec_b32 s0, vcc_lo
	s_cbranch_execz .LBB263_22
; %bb.21:
	ds_read_b32 v9, v5
	s_waitcnt lgkmcnt(0)
	ds_bpermute_b32 v16, v1, v9
	s_waitcnt lgkmcnt(0)
	v_add_f32_e32 v9, v9, v16
	ds_bpermute_b32 v16, v3, v9
	s_waitcnt lgkmcnt(0)
	v_add_f32_e32 v9, v9, v16
	ds_bpermute_b32 v16, v4, v9
	s_waitcnt lgkmcnt(0)
	v_add_f32_e32 v9, v9, v16
	ds_bpermute_b32 v16, v12, v9
	s_waitcnt lgkmcnt(0)
	v_add_f32_e32 v9, v9, v16
	ds_bpermute_b32 v16, v13, v9
	s_waitcnt lgkmcnt(0)
	v_add_f32_e32 v9, v9, v16
.LBB263_22:
	s_or_b32 exec_lo, exec_lo, s0
	ds_bpermute_b32 v16, v1, v8
	s_waitcnt lgkmcnt(0)
	s_barrier
	buffer_gl0_inv
	v_add_f32_e32 v8, v8, v16
	ds_bpermute_b32 v16, v3, v8
	s_waitcnt lgkmcnt(0)
	v_add_f32_e32 v8, v8, v16
	ds_bpermute_b32 v16, v4, v8
	s_waitcnt lgkmcnt(0)
	v_add_f32_e32 v8, v8, v16
	ds_bpermute_b32 v16, v12, v8
	s_waitcnt lgkmcnt(0)
	v_add_f32_e32 v8, v8, v16
	ds_bpermute_b32 v16, v13, v8
	s_waitcnt lgkmcnt(0)
	v_add_f32_e32 v8, v8, v16
	ds_write_b32 v15, v8
	s_waitcnt lgkmcnt(0)
	s_barrier
	buffer_gl0_inv
	s_and_saveexec_b32 s0, vcc_lo
	s_cbranch_execz .LBB263_24
; %bb.23:
	ds_read_b32 v8, v5
	s_waitcnt lgkmcnt(0)
	ds_bpermute_b32 v16, v1, v8
	s_waitcnt lgkmcnt(0)
	v_add_f32_e32 v8, v8, v16
	ds_bpermute_b32 v16, v3, v8
	s_waitcnt lgkmcnt(0)
	v_add_f32_e32 v8, v8, v16
	ds_bpermute_b32 v16, v4, v8
	s_waitcnt lgkmcnt(0)
	v_add_f32_e32 v8, v8, v16
	ds_bpermute_b32 v16, v12, v8
	s_waitcnt lgkmcnt(0)
	v_add_f32_e32 v8, v8, v16
	ds_bpermute_b32 v16, v13, v8
	s_waitcnt lgkmcnt(0)
	v_add_f32_e32 v8, v8, v16
.LBB263_24:
	s_or_b32 exec_lo, exec_lo, s0
	ds_bpermute_b32 v16, v1, v7
	s_waitcnt lgkmcnt(0)
	s_barrier
	buffer_gl0_inv
	v_add_f32_e32 v7, v7, v16
	ds_bpermute_b32 v16, v3, v7
	s_waitcnt lgkmcnt(0)
	v_add_f32_e32 v7, v7, v16
	ds_bpermute_b32 v16, v4, v7
	s_waitcnt lgkmcnt(0)
	v_add_f32_e32 v7, v7, v16
	ds_bpermute_b32 v16, v12, v7
	s_waitcnt lgkmcnt(0)
	v_add_f32_e32 v7, v7, v16
	ds_bpermute_b32 v16, v13, v7
	s_waitcnt lgkmcnt(0)
	v_add_f32_e32 v7, v7, v16
	ds_write_b32 v15, v7
	s_waitcnt lgkmcnt(0)
	s_barrier
	buffer_gl0_inv
	s_and_saveexec_b32 s0, vcc_lo
	s_cbranch_execz .LBB263_26
; %bb.25:
	ds_read_b32 v7, v5
	s_waitcnt lgkmcnt(0)
	ds_bpermute_b32 v16, v1, v7
	s_waitcnt lgkmcnt(0)
	v_add_f32_e32 v7, v7, v16
	ds_bpermute_b32 v16, v3, v7
	s_waitcnt lgkmcnt(0)
	v_add_f32_e32 v7, v7, v16
	ds_bpermute_b32 v16, v4, v7
	s_waitcnt lgkmcnt(0)
	v_add_f32_e32 v7, v7, v16
	ds_bpermute_b32 v16, v12, v7
	s_waitcnt lgkmcnt(0)
	v_add_f32_e32 v7, v7, v16
	ds_bpermute_b32 v16, v13, v7
	s_waitcnt lgkmcnt(0)
	v_add_f32_e32 v7, v7, v16
.LBB263_26:
	s_or_b32 exec_lo, exec_lo, s0
	ds_bpermute_b32 v16, v1, v6
	s_waitcnt lgkmcnt(0)
	s_barrier
	buffer_gl0_inv
	v_add_f32_e32 v6, v6, v16
	ds_bpermute_b32 v16, v3, v6
	s_waitcnt lgkmcnt(0)
	v_add_f32_e32 v6, v6, v16
	ds_bpermute_b32 v16, v4, v6
	s_waitcnt lgkmcnt(0)
	v_add_f32_e32 v6, v6, v16
	ds_bpermute_b32 v16, v12, v6
	s_waitcnt lgkmcnt(0)
	v_add_f32_e32 v6, v6, v16
	ds_bpermute_b32 v16, v13, v6
	s_waitcnt lgkmcnt(0)
	v_add_f32_e32 v6, v6, v16
	ds_write_b32 v15, v6
	s_waitcnt lgkmcnt(0)
	s_barrier
	buffer_gl0_inv
	s_and_saveexec_b32 s0, vcc_lo
	s_cbranch_execz .LBB263_28
; %bb.27:
	ds_read_b32 v5, v5
	s_waitcnt lgkmcnt(0)
	ds_bpermute_b32 v1, v1, v5
	s_waitcnt lgkmcnt(0)
	v_add_f32_e32 v1, v5, v1
	ds_bpermute_b32 v3, v3, v1
	s_waitcnt lgkmcnt(0)
	v_add_f32_e32 v1, v1, v3
	ds_bpermute_b32 v3, v4, v1
	s_waitcnt lgkmcnt(0)
	v_add_f32_e32 v1, v1, v3
	ds_bpermute_b32 v3, v12, v1
	s_waitcnt lgkmcnt(0)
	v_add_f32_e32 v1, v1, v3
	ds_bpermute_b32 v3, v13, v1
	s_waitcnt lgkmcnt(0)
	v_add_f32_e32 v6, v1, v3
.LBB263_28:
	s_or_b32 exec_lo, exec_lo, s0
	s_barrier
	buffer_gl0_inv
	s_mov_b32 s0, exec_lo
	v_cmpx_gt_u32_e32 8, v0
	s_cbranch_execz .LBB263_30
; %bb.29:
	v_cmp_eq_u32_e32 vcc_lo, 1, v0
	s_load_dwordx2 s[0:1], s[4:5], 0x38
	s_mul_hi_i32 s3, s22, s10
	s_mul_i32 s2, s22, s10
	s_mul_i32 s4, s26, s7
	v_cndmask_b32_e32 v1, v2, v14, vcc_lo
	v_cmp_eq_u32_e32 vcc_lo, 2, v0
	s_lshl_b64 s[2:3], s[2:3], 2
	s_ashr_i32 s5, s4, 31
	v_cndmask_b32_e32 v3, v1, v11, vcc_lo
	v_cmp_eq_u32_e32 vcc_lo, 3, v0
	v_mad_u64_u32 v[1:2], null, s18, v0, s[6:7]
	v_cndmask_b32_e32 v2, v3, v10, vcc_lo
	v_cmp_eq_u32_e32 vcc_lo, 4, v0
	s_waitcnt lgkmcnt(0)
	s_add_u32 s2, s0, s2
	s_addc_u32 s3, s1, s3
	v_cndmask_b32_e32 v3, v2, v9, vcc_lo
	v_cmp_eq_u32_e32 vcc_lo, 5, v0
	v_ashrrev_i32_e32 v2, 31, v1
	s_lshl_b64 s[0:1], s[4:5], 2
	s_add_u32 s0, s2, s0
	v_cndmask_b32_e32 v3, v3, v8, vcc_lo
	v_cmp_eq_u32_e32 vcc_lo, 6, v0
	v_lshlrev_b64 v[1:2], 2, v[1:2]
	s_addc_u32 s1, s3, s1
	v_cndmask_b32_e32 v3, v3, v7, vcc_lo
	v_cmp_eq_u32_e32 vcc_lo, 7, v0
	v_cndmask_b32_e32 v3, v3, v6, vcc_lo
	v_add_co_u32 v0, vcc_lo, s0, v1
	v_add_co_ci_u32_e64 v1, null, s1, v2, vcc_lo
	global_store_dword v[0:1], v3, off
.LBB263_30:
	s_endpgm
	.section	.rodata,"a",@progbits
	.p2align	6, 0x0
	.amdhsa_kernel _ZL13mul_mat_vec_fI6__halffLi8ELi256ELb0ELb0EEvPKT_PKfPKi31ggml_cuda_mm_fusion_args_devicePfi15HIP_vector_typeIjLj3EEiiiSB_iiiSB_iiii
		.amdhsa_group_segment_fixed_size 0
		.amdhsa_private_segment_fixed_size 0
		.amdhsa_kernarg_size 144
		.amdhsa_user_sgpr_count 6
		.amdhsa_user_sgpr_private_segment_buffer 1
		.amdhsa_user_sgpr_dispatch_ptr 0
		.amdhsa_user_sgpr_queue_ptr 0
		.amdhsa_user_sgpr_kernarg_segment_ptr 1
		.amdhsa_user_sgpr_dispatch_id 0
		.amdhsa_user_sgpr_flat_scratch_init 0
		.amdhsa_user_sgpr_private_segment_size 0
		.amdhsa_wavefront_size32 1
		.amdhsa_uses_dynamic_stack 0
		.amdhsa_system_sgpr_private_segment_wavefront_offset 0
		.amdhsa_system_sgpr_workgroup_id_x 1
		.amdhsa_system_sgpr_workgroup_id_y 1
		.amdhsa_system_sgpr_workgroup_id_z 1
		.amdhsa_system_sgpr_workgroup_info 0
		.amdhsa_system_vgpr_workitem_id 0
		.amdhsa_next_free_vgpr 32
		.amdhsa_next_free_sgpr 38
		.amdhsa_reserve_vcc 1
		.amdhsa_reserve_flat_scratch 0
		.amdhsa_float_round_mode_32 0
		.amdhsa_float_round_mode_16_64 0
		.amdhsa_float_denorm_mode_32 3
		.amdhsa_float_denorm_mode_16_64 3
		.amdhsa_dx10_clamp 1
		.amdhsa_ieee_mode 1
		.amdhsa_fp16_overflow 0
		.amdhsa_workgroup_processor_mode 1
		.amdhsa_memory_ordered 1
		.amdhsa_forward_progress 1
		.amdhsa_shared_vgpr_count 0
		.amdhsa_exception_fp_ieee_invalid_op 0
		.amdhsa_exception_fp_denorm_src 0
		.amdhsa_exception_fp_ieee_div_zero 0
		.amdhsa_exception_fp_ieee_overflow 0
		.amdhsa_exception_fp_ieee_underflow 0
		.amdhsa_exception_fp_ieee_inexact 0
		.amdhsa_exception_int_div_zero 0
	.end_amdhsa_kernel
	.section	.text._ZL13mul_mat_vec_fI6__halffLi8ELi256ELb0ELb0EEvPKT_PKfPKi31ggml_cuda_mm_fusion_args_devicePfi15HIP_vector_typeIjLj3EEiiiSB_iiiSB_iiii,"axG",@progbits,_ZL13mul_mat_vec_fI6__halffLi8ELi256ELb0ELb0EEvPKT_PKfPKi31ggml_cuda_mm_fusion_args_devicePfi15HIP_vector_typeIjLj3EEiiiSB_iiiSB_iiii,comdat
.Lfunc_end263:
	.size	_ZL13mul_mat_vec_fI6__halffLi8ELi256ELb0ELb0EEvPKT_PKfPKi31ggml_cuda_mm_fusion_args_devicePfi15HIP_vector_typeIjLj3EEiiiSB_iiiSB_iiii, .Lfunc_end263-_ZL13mul_mat_vec_fI6__halffLi8ELi256ELb0ELb0EEvPKT_PKfPKi31ggml_cuda_mm_fusion_args_devicePfi15HIP_vector_typeIjLj3EEiiiSB_iiiSB_iiii
                                        ; -- End function
	.set _ZL13mul_mat_vec_fI6__halffLi8ELi256ELb0ELb0EEvPKT_PKfPKi31ggml_cuda_mm_fusion_args_devicePfi15HIP_vector_typeIjLj3EEiiiSB_iiiSB_iiii.num_vgpr, 32
	.set _ZL13mul_mat_vec_fI6__halffLi8ELi256ELb0ELb0EEvPKT_PKfPKi31ggml_cuda_mm_fusion_args_devicePfi15HIP_vector_typeIjLj3EEiiiSB_iiiSB_iiii.num_agpr, 0
	.set _ZL13mul_mat_vec_fI6__halffLi8ELi256ELb0ELb0EEvPKT_PKfPKi31ggml_cuda_mm_fusion_args_devicePfi15HIP_vector_typeIjLj3EEiiiSB_iiiSB_iiii.numbered_sgpr, 38
	.set _ZL13mul_mat_vec_fI6__halffLi8ELi256ELb0ELb0EEvPKT_PKfPKi31ggml_cuda_mm_fusion_args_devicePfi15HIP_vector_typeIjLj3EEiiiSB_iiiSB_iiii.num_named_barrier, 0
	.set _ZL13mul_mat_vec_fI6__halffLi8ELi256ELb0ELb0EEvPKT_PKfPKi31ggml_cuda_mm_fusion_args_devicePfi15HIP_vector_typeIjLj3EEiiiSB_iiiSB_iiii.private_seg_size, 0
	.set _ZL13mul_mat_vec_fI6__halffLi8ELi256ELb0ELb0EEvPKT_PKfPKi31ggml_cuda_mm_fusion_args_devicePfi15HIP_vector_typeIjLj3EEiiiSB_iiiSB_iiii.uses_vcc, 1
	.set _ZL13mul_mat_vec_fI6__halffLi8ELi256ELb0ELb0EEvPKT_PKfPKi31ggml_cuda_mm_fusion_args_devicePfi15HIP_vector_typeIjLj3EEiiiSB_iiiSB_iiii.uses_flat_scratch, 0
	.set _ZL13mul_mat_vec_fI6__halffLi8ELi256ELb0ELb0EEvPKT_PKfPKi31ggml_cuda_mm_fusion_args_devicePfi15HIP_vector_typeIjLj3EEiiiSB_iiiSB_iiii.has_dyn_sized_stack, 0
	.set _ZL13mul_mat_vec_fI6__halffLi8ELi256ELb0ELb0EEvPKT_PKfPKi31ggml_cuda_mm_fusion_args_devicePfi15HIP_vector_typeIjLj3EEiiiSB_iiiSB_iiii.has_recursion, 0
	.set _ZL13mul_mat_vec_fI6__halffLi8ELi256ELb0ELb0EEvPKT_PKfPKi31ggml_cuda_mm_fusion_args_devicePfi15HIP_vector_typeIjLj3EEiiiSB_iiiSB_iiii.has_indirect_call, 0
	.section	.AMDGPU.csdata,"",@progbits
; Kernel info:
; codeLenInByte = 3132
; TotalNumSgprs: 40
; NumVgprs: 32
; ScratchSize: 0
; MemoryBound: 0
; FloatMode: 240
; IeeeMode: 1
; LDSByteSize: 0 bytes/workgroup (compile time only)
; SGPRBlocks: 0
; VGPRBlocks: 3
; NumSGPRsForWavesPerEU: 40
; NumVGPRsForWavesPerEU: 32
; Occupancy: 16
; WaveLimiterHint : 0
; COMPUTE_PGM_RSRC2:SCRATCH_EN: 0
; COMPUTE_PGM_RSRC2:USER_SGPR: 6
; COMPUTE_PGM_RSRC2:TRAP_HANDLER: 0
; COMPUTE_PGM_RSRC2:TGID_X_EN: 1
; COMPUTE_PGM_RSRC2:TGID_Y_EN: 1
; COMPUTE_PGM_RSRC2:TGID_Z_EN: 1
; COMPUTE_PGM_RSRC2:TIDIG_COMP_CNT: 0
	.section	.text._ZL13mul_mat_vec_fI14__hip_bfloat16fLi1ELi32ELb1ELb1EEvPKT_PKfPKi31ggml_cuda_mm_fusion_args_devicePfi15HIP_vector_typeIjLj3EEiiiSB_iiiSB_iiii,"axG",@progbits,_ZL13mul_mat_vec_fI14__hip_bfloat16fLi1ELi32ELb1ELb1EEvPKT_PKfPKi31ggml_cuda_mm_fusion_args_devicePfi15HIP_vector_typeIjLj3EEiiiSB_iiiSB_iiii,comdat
	.globl	_ZL13mul_mat_vec_fI14__hip_bfloat16fLi1ELi32ELb1ELb1EEvPKT_PKfPKi31ggml_cuda_mm_fusion_args_devicePfi15HIP_vector_typeIjLj3EEiiiSB_iiiSB_iiii ; -- Begin function _ZL13mul_mat_vec_fI14__hip_bfloat16fLi1ELi32ELb1ELb1EEvPKT_PKfPKi31ggml_cuda_mm_fusion_args_devicePfi15HIP_vector_typeIjLj3EEiiiSB_iiiSB_iiii
	.p2align	8
	.type	_ZL13mul_mat_vec_fI14__hip_bfloat16fLi1ELi32ELb1ELb1EEvPKT_PKfPKi31ggml_cuda_mm_fusion_args_devicePfi15HIP_vector_typeIjLj3EEiiiSB_iiiSB_iiii,@function
_ZL13mul_mat_vec_fI14__hip_bfloat16fLi1ELi32ELb1ELb1EEvPKT_PKfPKi31ggml_cuda_mm_fusion_args_devicePfi15HIP_vector_typeIjLj3EEiiiSB_iiiSB_iiii: ; @_ZL13mul_mat_vec_fI14__hip_bfloat16fLi1ELi32ELb1ELb1EEvPKT_PKfPKi31ggml_cuda_mm_fusion_args_devicePfi15HIP_vector_typeIjLj3EEiiiSB_iiiSB_iiii
; %bb.0:
	s_clause 0x3
	s_load_dword s1, s[4:5], 0x8c
	s_load_dwordx8 s[20:27], s[4:5], 0x0
	s_load_dwordx4 s[36:39], s[4:5], 0x20
	s_load_dwordx8 s[12:19], s[4:5], 0x40
	v_mov_b32_e32 v7, 0
	v_mov_b32_e32 v8, 0
	s_mov_b32 s0, s7
	s_waitcnt lgkmcnt(0)
	s_mul_i32 s1, s1, s8
	s_add_i32 s2, s1, s7
	s_mov_b32 s7, exec_lo
	s_ashr_i32 s3, s2, 31
	s_lshl_b64 s[2:3], s[2:3], 2
	s_add_u32 s2, s24, s2
	s_addc_u32 s3, s25, s3
	s_load_dwordx4 s[28:31], s[4:5], 0x68
	s_load_dword s3, s[2:3], 0x0
	s_cmp_lg_u64 s[36:37], 0
	s_cselect_b32 s1, -1, 0
	v_cmpx_gt_i32_e64 s12, v0
	s_cbranch_execz .LBB264_6
; %bb.1:
	s_mul_hi_u32 s2, s13, s0
	s_waitcnt lgkmcnt(0)
	s_mul_i32 s9, s3, s28
	s_add_i32 s2, s0, s2
	s_mul_i32 s10, s16, s6
	s_lshr_b32 s2, s2, s14
	s_ashr_i32 s11, s9, 31
	s_mul_i32 s2, s2, s15
	s_ashr_i32 s13, s10, 31
	s_sub_i32 s2, s0, s2
	s_add_u32 s10, s9, s10
	s_mul_i32 s9, s8, s17
	s_addc_u32 s11, s11, s13
	s_mul_i32 s14, s2, s29
	s_lshl_b32 s16, s9, 1
	s_ashr_i32 s15, s14, 31
	s_ashr_i32 s17, s16, 31
	s_and_b32 s2, s1, exec_lo
	s_cselect_b32 s29, s11, 0
	s_cselect_b32 s28, s10, 0
	v_lshlrev_b32_e32 v5, 2, v0
	s_cselect_b32 s2, s37, 0
	s_cselect_b32 s9, s36, 0
	s_lshl_b64 s[28:29], s[28:29], 1
	v_lshlrev_b32_e32 v3, 3, v0
	s_add_u32 s9, s9, s28
	s_addc_u32 s2, s2, s29
	v_add_co_u32 v1, s9, s9, v5
	s_lshl_b64 s[14:15], s[14:15], 2
	s_lshl_b64 s[16:17], s[16:17], 2
	v_add_co_ci_u32_e64 v2, null, s2, 0, s9
	s_add_u32 s2, s22, s14
	s_addc_u32 s9, s23, s15
	s_add_u32 s2, s2, s16
	s_addc_u32 s9, s9, s17
	v_add_co_u32 v3, s2, s2, v3
	s_lshl_b64 s[10:11], s[10:11], 1
	v_add_co_ci_u32_e64 v4, null, s9, 0, s2
	s_add_u32 s2, s20, s10
	v_add_co_u32 v3, vcc_lo, v3, 4
	s_addc_u32 s9, s21, s11
	v_add_co_u32 v5, s2, s2, v5
	v_mov_b32_e32 v7, 0
	v_add_co_ci_u32_e64 v4, null, 0, v4, vcc_lo
	v_add_co_ci_u32_e64 v6, null, s9, 0, s2
	v_mov_b32_e32 v9, v0
	v_mov_b32_e32 v8, 0
	s_mov_b32 s9, 0
	s_inst_prefetch 0x1
	s_branch .LBB264_3
	.p2align	6
.LBB264_2:                              ;   in Loop: Header=BB264_3 Depth=1
	global_load_dwordx2 v[13:14], v[3:4], off offset:-4
	s_waitcnt vmcnt(1)
	v_lshlrev_b32_e32 v15, 16, v12
	v_add_nc_u32_e32 v9, 32, v9
	v_add_co_u32 v1, vcc_lo, 0x80, v1
	v_and_b32_e32 v12, 0xffff0000, v12
	v_add_co_ci_u32_e64 v2, null, 0, v2, vcc_lo
	v_add_co_u32 v3, vcc_lo, 0x100, v3
	v_add_co_ci_u32_e64 v4, null, 0, v4, vcc_lo
	v_cmp_le_i32_e32 vcc_lo, s12, v9
	v_add_co_u32 v5, s2, 0x80, v5
	v_add_co_ci_u32_e64 v6, null, 0, v6, s2
	s_or_b32 s9, vcc_lo, s9
	s_waitcnt vmcnt(0)
	v_fma_f32 v11, v11, v13, v7
	v_fmac_f32_e32 v8, v13, v15
	v_fmac_f32_e32 v11, v10, v14
	;; [unrolled: 1-line block ×3, first 2 shown]
	v_cndmask_b32_e64 v7, v7, v11, s1
	s_andn2_b32 exec_lo, exec_lo, s9
	s_cbranch_execz .LBB264_5
.LBB264_3:                              ; =>This Inner Loop Header: Depth=1
	global_load_dword v12, v[5:6], off
	v_mov_b32_e32 v10, 0
	v_mov_b32_e32 v11, 0
	s_andn2_b32 vcc_lo, exec_lo, s1
	s_cbranch_vccnz .LBB264_2
; %bb.4:                                ;   in Loop: Header=BB264_3 Depth=1
	global_load_dword v10, v[1:2], off
	s_waitcnt vmcnt(0)
	v_lshlrev_b32_e32 v11, 16, v10
	v_and_b32_e32 v10, 0xffff0000, v10
	s_branch .LBB264_2
.LBB264_5:
	s_inst_prefetch 0x2
	s_or_b32 exec_lo, exec_lo, s9
.LBB264_6:
	s_or_b32 exec_lo, exec_lo, s7
	v_mbcnt_lo_u32_b32 v2, -1, 0
	s_load_dword s9, s[4:5], 0x30
	v_xor_b32_e32 v1, 16, v2
	v_xor_b32_e32 v4, 8, v2
	;; [unrolled: 1-line block ×3, first 2 shown]
	v_cmp_gt_i32_e32 vcc_lo, 32, v1
	v_cndmask_b32_e32 v1, v2, v1, vcc_lo
	v_cmp_gt_i32_e32 vcc_lo, 32, v4
	v_lshlrev_b32_e32 v1, 2, v1
	v_cndmask_b32_e32 v4, v2, v4, vcc_lo
	v_cmp_gt_i32_e32 vcc_lo, 32, v5
	ds_bpermute_b32 v3, v1, v8
	v_lshlrev_b32_e32 v4, 2, v4
	v_cndmask_b32_e32 v5, v2, v5, vcc_lo
	v_lshlrev_b32_e32 v5, 2, v5
	s_waitcnt lgkmcnt(0)
	v_add_f32_e32 v3, v8, v3
	ds_bpermute_b32 v6, v4, v3
	s_waitcnt lgkmcnt(0)
	v_add_f32_e32 v3, v3, v6
	v_xor_b32_e32 v6, 2, v2
	ds_bpermute_b32 v8, v5, v3
	v_cmp_gt_i32_e32 vcc_lo, 32, v6
	v_cndmask_b32_e32 v6, v2, v6, vcc_lo
	v_lshlrev_b32_e32 v6, 2, v6
	s_waitcnt lgkmcnt(0)
	v_add_f32_e32 v3, v3, v8
	v_xor_b32_e32 v8, 1, v2
	ds_bpermute_b32 v9, v6, v3
	v_cmp_gt_i32_e32 vcc_lo, 32, v8
	v_cndmask_b32_e32 v2, v2, v8, vcc_lo
	s_and_b32 vcc_lo, exec_lo, s1
	v_lshlrev_b32_e32 v8, 2, v2
	s_waitcnt lgkmcnt(0)
	v_add_f32_e32 v2, v3, v9
	ds_bpermute_b32 v3, v8, v2
	s_cbranch_vccz .LBB264_8
; %bb.7:
	ds_bpermute_b32 v1, v1, v7
	s_waitcnt lgkmcnt(0)
	v_add_f32_e32 v1, v7, v1
	ds_bpermute_b32 v4, v4, v1
	s_waitcnt lgkmcnt(0)
	v_add_f32_e32 v1, v1, v4
	;; [unrolled: 3-line block ×5, first 2 shown]
.LBB264_8:
	s_mov_b32 s2, exec_lo
	v_cmpx_eq_u32_e32 0, v0
	s_cbranch_execz .LBB264_32
; %bb.9:
	s_cmp_eq_u64 s[26:27], 0
	s_waitcnt lgkmcnt(0)
	v_add_f32_e32 v0, v2, v3
	s_cselect_b32 s7, -1, 0
	s_cmp_eq_u64 s[24:25], 0
	s_cselect_b32 s2, s0, s3
	s_mul_i32 s2, s2, s30
	s_ashr_i32 s3, s2, 31
	s_and_b32 vcc_lo, exec_lo, s7
	s_cbranch_vccnz .LBB264_11
; %bb.10:
	s_cselect_b32 s7, 0, s27
	s_cselect_b32 s12, 0, s26
	s_lshl_b64 s[10:11], s[2:3], 2
	s_add_u32 s12, s12, s10
	s_addc_u32 s13, s7, s11
	s_ashr_i32 s7, s6, 31
	s_lshl_b64 s[10:11], s[6:7], 2
	s_add_u32 s10, s12, s10
	s_addc_u32 s11, s13, s11
	s_load_dword s7, s[10:11], 0x0
	s_waitcnt lgkmcnt(0)
	v_add_f32_e32 v0, s7, v0
.LBB264_11:
	s_andn2_b32 vcc_lo, exec_lo, s1
	s_cbranch_vccnz .LBB264_31
; %bb.12:
	s_cmp_lg_u64 s[38:39], 0
	s_cselect_b32 s7, -1, 0
	s_and_b32 s1, s7, s1
	s_andn2_b32 vcc_lo, exec_lo, s1
	s_cbranch_vccnz .LBB264_14
; %bb.13:
	s_and_b32 s1, s1, exec_lo
	s_cselect_b32 s3, s3, 0
	s_cselect_b32 s2, s2, 0
	s_and_b32 s1, s7, exec_lo
	s_cselect_b32 s1, s39, 0
	s_cselect_b32 s7, s38, 0
	s_lshl_b64 s[2:3], s[2:3], 2
	s_add_u32 s10, s7, s2
	s_addc_u32 s1, s1, s3
	s_ashr_i32 s7, s6, 31
	s_lshl_b64 s[2:3], s[6:7], 2
	s_add_u32 s2, s10, s2
	s_addc_u32 s3, s1, s3
	s_load_dword s1, s[2:3], 0x0
	s_waitcnt lgkmcnt(0)
	v_add_f32_e32 v7, s1, v7
.LBB264_14:
	s_cmp_lt_i32 s9, 2
	s_cbranch_scc1 .LBB264_19
; %bb.15:
	s_cmp_lt_i32 s9, 3
	s_cbranch_scc1 .LBB264_20
; %bb.16:
	v_mov_b32_e32 v1, v0
	s_cmp_eq_u32 s9, 3
	s_cbranch_scc0 .LBB264_18
; %bb.17:
	v_max_f32_e32 v1, v7, v7
	v_min_f32_e32 v1, 0x40e00000, v1
	v_mul_f32_e32 v2, 0xbfd9db23, v1
	v_mul_f32_e32 v3, 0x3fb8aa3b, v2
	v_cmp_ngt_f32_e32 vcc_lo, 0xc2ce8ed0, v2
	v_fma_f32 v4, 0x3fb8aa3b, v2, -v3
	v_rndne_f32_e32 v5, v3
	v_fmamk_f32 v4, v2, 0x32a5705f, v4
	v_sub_f32_e32 v3, v3, v5
	v_add_f32_e32 v3, v3, v4
	v_cvt_i32_f32_e32 v4, v5
	v_exp_f32_e32 v3, v3
	v_ldexp_f32 v3, v3, v4
	v_cndmask_b32_e32 v3, 0, v3, vcc_lo
	v_cmp_nlt_f32_e32 vcc_lo, 0x42b17218, v2
	v_cndmask_b32_e32 v2, 0x7f800000, v3, vcc_lo
	v_add_f32_e32 v2, 1.0, v2
	v_div_scale_f32 v3, null, v2, v2, v1
	v_div_scale_f32 v6, vcc_lo, v1, v2, v1
	v_rcp_f32_e32 v4, v3
	v_fma_f32 v5, -v3, v4, 1.0
	v_fmac_f32_e32 v4, v5, v4
	v_mul_f32_e32 v5, v6, v4
	v_fma_f32 v8, -v3, v5, v6
	v_fmac_f32_e32 v5, v8, v4
	v_max_f32_e32 v8, v0, v0
	v_fma_f32 v3, -v3, v5, v6
	v_min_f32_e32 v6, 0x40e00000, v8
	v_div_fmas_f32 v3, v3, v4, v5
	v_max_f32_e32 v4, 0xc0e00000, v6
	v_div_fixup_f32 v1, v3, v2, v1
	v_add_f32_e32 v2, 1.0, v4
	v_mul_f32_e32 v1, v2, v1
.LBB264_18:
	s_cbranch_execz .LBB264_21
	s_branch .LBB264_22
.LBB264_19:
                                        ; implicit-def: $vgpr1
	s_branch .LBB264_23
.LBB264_20:
                                        ; implicit-def: $vgpr1
.LBB264_21:
	v_mul_f32_e32 v1, 0xbfb8aa3b, v7
	v_cmp_nlt_f32_e32 vcc_lo, 0x42ce8ed0, v7
	v_rndne_f32_e32 v2, v1
	v_fma_f32 v3, 0xbfb8aa3b, v7, -v1
	v_sub_f32_e32 v1, v1, v2
	v_fmamk_f32 v3, v7, 0xb2a5705f, v3
	v_cvt_i32_f32_e32 v2, v2
	v_add_f32_e32 v1, v1, v3
	v_exp_f32_e32 v1, v1
	v_ldexp_f32 v1, v1, v2
	v_cndmask_b32_e32 v1, 0, v1, vcc_lo
	v_cmp_ngt_f32_e32 vcc_lo, 0xc2b17218, v7
	v_cndmask_b32_e32 v1, 0x7f800000, v1, vcc_lo
	v_add_f32_e32 v1, 1.0, v1
	v_div_scale_f32 v2, null, v1, v1, v7
	v_rcp_f32_e32 v3, v2
	v_fma_f32 v4, -v2, v3, 1.0
	v_fmac_f32_e32 v3, v4, v3
	v_div_scale_f32 v4, vcc_lo, v7, v1, v7
	v_mul_f32_e32 v5, v4, v3
	v_fma_f32 v6, -v2, v5, v4
	v_fmac_f32_e32 v5, v6, v3
	v_fma_f32 v2, -v2, v5, v4
	v_div_fmas_f32 v2, v2, v3, v5
	v_div_fixup_f32 v1, v2, v1, v7
	v_mul_f32_e32 v1, v0, v1
.LBB264_22:
	s_cbranch_execnz .LBB264_30
.LBB264_23:
	s_cmp_eq_u32 s9, 1
	s_cbranch_scc0 .LBB264_29
; %bb.24:
	v_mul_f32_e32 v1, 0x3d372713, v7
	v_mul_f32_e32 v2, 0x3f4c422a, v7
	v_fma_f32 v1, v7, v1, 1.0
	v_mul_f32_e32 v1, v2, v1
                                        ; implicit-def: $vgpr2
	v_cmp_ngt_f32_e64 s1, 0x3f200000, |v1|
	s_and_saveexec_b32 s2, s1
	s_xor_b32 s1, exec_lo, s2
	s_cbranch_execz .LBB264_26
; %bb.25:
	v_add_f32_e64 v2, |v1|, |v1|
	v_mul_f32_e32 v3, 0x3fb8aa3b, v2
	v_cmp_ngt_f32_e32 vcc_lo, 0xc2ce8ed0, v2
	v_rndne_f32_e32 v4, v3
	v_fma_f32 v5, 0x3fb8aa3b, v2, -v3
	v_sub_f32_e32 v3, v3, v4
	v_fmamk_f32 v5, v2, 0x32a5705f, v5
	v_cvt_i32_f32_e32 v4, v4
	v_add_f32_e32 v3, v3, v5
	v_exp_f32_e32 v3, v3
	v_ldexp_f32 v3, v3, v4
	v_cndmask_b32_e32 v3, 0, v3, vcc_lo
	v_cmp_nlt_f32_e32 vcc_lo, 0x42b17218, v2
	v_cndmask_b32_e32 v2, 0x7f800000, v3, vcc_lo
	v_add_f32_e32 v2, 1.0, v2
	v_rcp_f32_e32 v2, v2
	v_fma_f32 v2, v2, -2.0, 1.0
.LBB264_26:
	s_andn2_saveexec_b32 s1, s1
	s_cbranch_execz .LBB264_28
; %bb.27:
	v_mul_f32_e32 v2, v1, v1
	s_mov_b32 s2, 0xbbbac73d
	v_fmaak_f32 v3, s2, v2, 0x3ca908c9
	v_fmaak_f32 v3, v2, v3, 0xbd5c1c4e
	;; [unrolled: 1-line block ×4, first 2 shown]
	v_mul_f32_e64 v3, |v1|, v3
	v_fma_f32 v2, v2, v3, |v1|
.LBB264_28:
	s_or_b32 exec_lo, exec_lo, s1
	v_bfi_b32 v1, 0x7fffffff, v2, v1
	v_mul_f32_e32 v2, 0.5, v7
	v_add_f32_e32 v1, 1.0, v1
	v_mul_f32_e32 v1, v2, v1
	v_mul_f32_e32 v0, v0, v1
.LBB264_29:
	v_mov_b32_e32 v1, v0
.LBB264_30:
	v_mov_b32_e32 v0, v1
.LBB264_31:
	s_load_dwordx2 s[2:3], s[4:5], 0x38
	s_mul_i32 s0, s30, s0
	s_mul_i32 s4, s18, s8
	s_ashr_i32 s1, s0, 31
	s_ashr_i32 s5, s4, 31
	s_lshl_b64 s[0:1], s[0:1], 2
	v_mov_b32_e32 v1, 0
	s_waitcnt lgkmcnt(0)
	s_add_u32 s2, s2, s0
	s_addc_u32 s3, s3, s1
	s_lshl_b64 s[0:1], s[4:5], 2
	s_add_u32 s2, s2, s0
	s_addc_u32 s3, s3, s1
	s_ashr_i32 s7, s6, 31
	s_lshl_b64 s[0:1], s[6:7], 2
	s_add_u32 s0, s2, s0
	s_addc_u32 s1, s3, s1
	global_store_dword v1, v0, s[0:1]
.LBB264_32:
	s_endpgm
	.section	.rodata,"a",@progbits
	.p2align	6, 0x0
	.amdhsa_kernel _ZL13mul_mat_vec_fI14__hip_bfloat16fLi1ELi32ELb1ELb1EEvPKT_PKfPKi31ggml_cuda_mm_fusion_args_devicePfi15HIP_vector_typeIjLj3EEiiiSB_iiiSB_iiii
		.amdhsa_group_segment_fixed_size 0
		.amdhsa_private_segment_fixed_size 0
		.amdhsa_kernarg_size 144
		.amdhsa_user_sgpr_count 6
		.amdhsa_user_sgpr_private_segment_buffer 1
		.amdhsa_user_sgpr_dispatch_ptr 0
		.amdhsa_user_sgpr_queue_ptr 0
		.amdhsa_user_sgpr_kernarg_segment_ptr 1
		.amdhsa_user_sgpr_dispatch_id 0
		.amdhsa_user_sgpr_flat_scratch_init 0
		.amdhsa_user_sgpr_private_segment_size 0
		.amdhsa_wavefront_size32 1
		.amdhsa_uses_dynamic_stack 0
		.amdhsa_system_sgpr_private_segment_wavefront_offset 0
		.amdhsa_system_sgpr_workgroup_id_x 1
		.amdhsa_system_sgpr_workgroup_id_y 1
		.amdhsa_system_sgpr_workgroup_id_z 1
		.amdhsa_system_sgpr_workgroup_info 0
		.amdhsa_system_vgpr_workitem_id 0
		.amdhsa_next_free_vgpr 16
		.amdhsa_next_free_sgpr 40
		.amdhsa_reserve_vcc 1
		.amdhsa_reserve_flat_scratch 0
		.amdhsa_float_round_mode_32 0
		.amdhsa_float_round_mode_16_64 0
		.amdhsa_float_denorm_mode_32 3
		.amdhsa_float_denorm_mode_16_64 3
		.amdhsa_dx10_clamp 1
		.amdhsa_ieee_mode 1
		.amdhsa_fp16_overflow 0
		.amdhsa_workgroup_processor_mode 1
		.amdhsa_memory_ordered 1
		.amdhsa_forward_progress 1
		.amdhsa_shared_vgpr_count 0
		.amdhsa_exception_fp_ieee_invalid_op 0
		.amdhsa_exception_fp_denorm_src 0
		.amdhsa_exception_fp_ieee_div_zero 0
		.amdhsa_exception_fp_ieee_overflow 0
		.amdhsa_exception_fp_ieee_underflow 0
		.amdhsa_exception_fp_ieee_inexact 0
		.amdhsa_exception_int_div_zero 0
	.end_amdhsa_kernel
	.section	.text._ZL13mul_mat_vec_fI14__hip_bfloat16fLi1ELi32ELb1ELb1EEvPKT_PKfPKi31ggml_cuda_mm_fusion_args_devicePfi15HIP_vector_typeIjLj3EEiiiSB_iiiSB_iiii,"axG",@progbits,_ZL13mul_mat_vec_fI14__hip_bfloat16fLi1ELi32ELb1ELb1EEvPKT_PKfPKi31ggml_cuda_mm_fusion_args_devicePfi15HIP_vector_typeIjLj3EEiiiSB_iiiSB_iiii,comdat
.Lfunc_end264:
	.size	_ZL13mul_mat_vec_fI14__hip_bfloat16fLi1ELi32ELb1ELb1EEvPKT_PKfPKi31ggml_cuda_mm_fusion_args_devicePfi15HIP_vector_typeIjLj3EEiiiSB_iiiSB_iiii, .Lfunc_end264-_ZL13mul_mat_vec_fI14__hip_bfloat16fLi1ELi32ELb1ELb1EEvPKT_PKfPKi31ggml_cuda_mm_fusion_args_devicePfi15HIP_vector_typeIjLj3EEiiiSB_iiiSB_iiii
                                        ; -- End function
	.set _ZL13mul_mat_vec_fI14__hip_bfloat16fLi1ELi32ELb1ELb1EEvPKT_PKfPKi31ggml_cuda_mm_fusion_args_devicePfi15HIP_vector_typeIjLj3EEiiiSB_iiiSB_iiii.num_vgpr, 16
	.set _ZL13mul_mat_vec_fI14__hip_bfloat16fLi1ELi32ELb1ELb1EEvPKT_PKfPKi31ggml_cuda_mm_fusion_args_devicePfi15HIP_vector_typeIjLj3EEiiiSB_iiiSB_iiii.num_agpr, 0
	.set _ZL13mul_mat_vec_fI14__hip_bfloat16fLi1ELi32ELb1ELb1EEvPKT_PKfPKi31ggml_cuda_mm_fusion_args_devicePfi15HIP_vector_typeIjLj3EEiiiSB_iiiSB_iiii.numbered_sgpr, 40
	.set _ZL13mul_mat_vec_fI14__hip_bfloat16fLi1ELi32ELb1ELb1EEvPKT_PKfPKi31ggml_cuda_mm_fusion_args_devicePfi15HIP_vector_typeIjLj3EEiiiSB_iiiSB_iiii.num_named_barrier, 0
	.set _ZL13mul_mat_vec_fI14__hip_bfloat16fLi1ELi32ELb1ELb1EEvPKT_PKfPKi31ggml_cuda_mm_fusion_args_devicePfi15HIP_vector_typeIjLj3EEiiiSB_iiiSB_iiii.private_seg_size, 0
	.set _ZL13mul_mat_vec_fI14__hip_bfloat16fLi1ELi32ELb1ELb1EEvPKT_PKfPKi31ggml_cuda_mm_fusion_args_devicePfi15HIP_vector_typeIjLj3EEiiiSB_iiiSB_iiii.uses_vcc, 1
	.set _ZL13mul_mat_vec_fI14__hip_bfloat16fLi1ELi32ELb1ELb1EEvPKT_PKfPKi31ggml_cuda_mm_fusion_args_devicePfi15HIP_vector_typeIjLj3EEiiiSB_iiiSB_iiii.uses_flat_scratch, 0
	.set _ZL13mul_mat_vec_fI14__hip_bfloat16fLi1ELi32ELb1ELb1EEvPKT_PKfPKi31ggml_cuda_mm_fusion_args_devicePfi15HIP_vector_typeIjLj3EEiiiSB_iiiSB_iiii.has_dyn_sized_stack, 0
	.set _ZL13mul_mat_vec_fI14__hip_bfloat16fLi1ELi32ELb1ELb1EEvPKT_PKfPKi31ggml_cuda_mm_fusion_args_devicePfi15HIP_vector_typeIjLj3EEiiiSB_iiiSB_iiii.has_recursion, 0
	.set _ZL13mul_mat_vec_fI14__hip_bfloat16fLi1ELi32ELb1ELb1EEvPKT_PKfPKi31ggml_cuda_mm_fusion_args_devicePfi15HIP_vector_typeIjLj3EEiiiSB_iiiSB_iiii.has_indirect_call, 0
	.section	.AMDGPU.csdata,"",@progbits
; Kernel info:
; codeLenInByte = 1816
; TotalNumSgprs: 42
; NumVgprs: 16
; ScratchSize: 0
; MemoryBound: 0
; FloatMode: 240
; IeeeMode: 1
; LDSByteSize: 0 bytes/workgroup (compile time only)
; SGPRBlocks: 0
; VGPRBlocks: 1
; NumSGPRsForWavesPerEU: 42
; NumVGPRsForWavesPerEU: 16
; Occupancy: 16
; WaveLimiterHint : 1
; COMPUTE_PGM_RSRC2:SCRATCH_EN: 0
; COMPUTE_PGM_RSRC2:USER_SGPR: 6
; COMPUTE_PGM_RSRC2:TRAP_HANDLER: 0
; COMPUTE_PGM_RSRC2:TGID_X_EN: 1
; COMPUTE_PGM_RSRC2:TGID_Y_EN: 1
; COMPUTE_PGM_RSRC2:TGID_Z_EN: 1
; COMPUTE_PGM_RSRC2:TIDIG_COMP_CNT: 0
	.section	.text._ZL13mul_mat_vec_fI14__hip_bfloat16fLi1ELi32ELb0ELb1EEvPKT_PKfPKi31ggml_cuda_mm_fusion_args_devicePfi15HIP_vector_typeIjLj3EEiiiSB_iiiSB_iiii,"axG",@progbits,_ZL13mul_mat_vec_fI14__hip_bfloat16fLi1ELi32ELb0ELb1EEvPKT_PKfPKi31ggml_cuda_mm_fusion_args_devicePfi15HIP_vector_typeIjLj3EEiiiSB_iiiSB_iiii,comdat
	.globl	_ZL13mul_mat_vec_fI14__hip_bfloat16fLi1ELi32ELb0ELb1EEvPKT_PKfPKi31ggml_cuda_mm_fusion_args_devicePfi15HIP_vector_typeIjLj3EEiiiSB_iiiSB_iiii ; -- Begin function _ZL13mul_mat_vec_fI14__hip_bfloat16fLi1ELi32ELb0ELb1EEvPKT_PKfPKi31ggml_cuda_mm_fusion_args_devicePfi15HIP_vector_typeIjLj3EEiiiSB_iiiSB_iiii
	.p2align	8
	.type	_ZL13mul_mat_vec_fI14__hip_bfloat16fLi1ELi32ELb0ELb1EEvPKT_PKfPKi31ggml_cuda_mm_fusion_args_devicePfi15HIP_vector_typeIjLj3EEiiiSB_iiiSB_iiii,@function
_ZL13mul_mat_vec_fI14__hip_bfloat16fLi1ELi32ELb0ELb1EEvPKT_PKfPKi31ggml_cuda_mm_fusion_args_devicePfi15HIP_vector_typeIjLj3EEiiiSB_iiiSB_iiii: ; @_ZL13mul_mat_vec_fI14__hip_bfloat16fLi1ELi32ELb0ELb1EEvPKT_PKfPKi31ggml_cuda_mm_fusion_args_devicePfi15HIP_vector_typeIjLj3EEiiiSB_iiiSB_iiii
; %bb.0:
	s_clause 0x1
	s_load_dwordx8 s[12:19], s[4:5], 0x40
	s_load_dwordx4 s[0:3], s[4:5], 0x68
	v_mov_b32_e32 v5, 0
	s_waitcnt lgkmcnt(0)
	s_mov_b32 s3, exec_lo
	v_cmpx_gt_i32_e64 s12, v0
	s_cbranch_execz .LBB265_4
; %bb.1:
	s_clause 0x1
	s_load_dword s9, s[4:5], 0x8c
	s_load_dwordx2 s[10:11], s[4:5], 0x10
	v_lshlrev_b32_e32 v1, 3, v0
	v_lshlrev_b32_e32 v3, 2, v0
	v_mov_b32_e32 v5, 0
	v_mov_b32_e32 v6, v0
	s_waitcnt lgkmcnt(0)
	s_mul_i32 s9, s9, s8
	s_add_i32 s20, s9, s7
	s_ashr_i32 s21, s20, 31
	s_lshl_b64 s[20:21], s[20:21], 2
	s_add_u32 s10, s10, s20
	s_addc_u32 s11, s11, s21
	s_load_dword s9, s[10:11], 0x0
	s_load_dwordx4 s[20:23], s[4:5], 0x0
	s_mul_hi_u32 s11, s13, s7
	s_mul_i32 s13, s8, s17
	s_add_i32 s11, s7, s11
	s_mul_i32 s10, s16, s6
	s_lshr_b32 s14, s11, s14
	s_ashr_i32 s11, s10, 31
	s_mul_i32 s15, s14, s15
	s_lshl_b32 s14, s13, 1
	s_sub_i32 s13, s7, s15
	s_ashr_i32 s15, s14, 31
	s_mul_i32 s16, s13, s1
	s_lshl_b64 s[14:15], s[14:15], 2
	s_ashr_i32 s17, s16, 31
	s_lshl_b64 s[16:17], s[16:17], 2
	s_waitcnt lgkmcnt(0)
	s_mul_i32 s0, s9, s0
	s_ashr_i32 s1, s0, 31
	s_add_u32 s9, s22, s16
	s_addc_u32 s13, s23, s17
	s_add_u32 s9, s9, s14
	s_addc_u32 s13, s13, s15
	s_lshl_b64 s[0:1], s[0:1], 1
	s_lshl_b64 s[10:11], s[10:11], 1
	v_add_co_u32 v1, s9, s9, v1
	s_add_u32 s0, s20, s0
	v_add_co_ci_u32_e64 v2, null, s13, 0, s9
	s_addc_u32 s1, s21, s1
	s_add_u32 s0, s0, s10
	s_addc_u32 s1, s1, s11
	v_add_co_u32 v1, vcc_lo, v1, 4
	v_add_co_u32 v3, s0, s0, v3
	v_add_co_ci_u32_e64 v2, null, 0, v2, vcc_lo
	v_add_co_ci_u32_e64 v4, null, s1, 0, s0
	s_mov_b32 s1, 0
	.p2align	6
.LBB265_2:                              ; =>This Inner Loop Header: Depth=1
	global_load_dword v9, v[3:4], off
	global_load_dwordx2 v[7:8], v[1:2], off offset:-4
	v_add_nc_u32_e32 v6, 32, v6
	v_add_co_u32 v1, vcc_lo, 0x100, v1
	v_add_co_ci_u32_e64 v2, null, 0, v2, vcc_lo
	v_add_co_u32 v3, vcc_lo, 0x80, v3
	v_cmp_le_i32_e64 s0, s12, v6
	v_add_co_ci_u32_e64 v4, null, 0, v4, vcc_lo
	s_or_b32 s1, s0, s1
	s_waitcnt vmcnt(1)
	v_lshlrev_b32_e32 v10, 16, v9
	v_and_b32_e32 v9, 0xffff0000, v9
	s_waitcnt vmcnt(0)
	v_fmac_f32_e32 v5, v7, v10
	v_fmac_f32_e32 v5, v8, v9
	s_andn2_b32 exec_lo, exec_lo, s1
	s_cbranch_execnz .LBB265_2
; %bb.3:
	s_or_b32 exec_lo, exec_lo, s1
.LBB265_4:
	s_or_b32 exec_lo, exec_lo, s3
	v_mbcnt_lo_u32_b32 v1, -1, 0
	s_mov_b32 s0, exec_lo
	v_xor_b32_e32 v2, 16, v1
	v_xor_b32_e32 v3, 8, v1
	;; [unrolled: 1-line block ×3, first 2 shown]
	v_cmp_gt_i32_e32 vcc_lo, 32, v2
	v_cndmask_b32_e32 v2, v1, v2, vcc_lo
	v_cmp_gt_i32_e32 vcc_lo, 32, v3
	v_lshlrev_b32_e32 v2, 2, v2
	v_cndmask_b32_e32 v3, v1, v3, vcc_lo
	v_cmp_gt_i32_e32 vcc_lo, 32, v4
	ds_bpermute_b32 v2, v2, v5
	v_lshlrev_b32_e32 v3, 2, v3
	v_cndmask_b32_e32 v4, v1, v4, vcc_lo
	v_lshlrev_b32_e32 v4, 2, v4
	s_waitcnt lgkmcnt(0)
	v_add_f32_e32 v2, v5, v2
	ds_bpermute_b32 v3, v3, v2
	s_waitcnt lgkmcnt(0)
	v_add_f32_e32 v2, v2, v3
	ds_bpermute_b32 v3, v4, v2
	v_xor_b32_e32 v4, 2, v1
	v_cmp_gt_i32_e32 vcc_lo, 32, v4
	v_cndmask_b32_e32 v4, v1, v4, vcc_lo
	v_lshlrev_b32_e32 v4, 2, v4
	s_waitcnt lgkmcnt(0)
	v_add_f32_e32 v2, v2, v3
	ds_bpermute_b32 v3, v4, v2
	v_xor_b32_e32 v4, 1, v1
	v_cmp_gt_i32_e32 vcc_lo, 32, v4
	v_cndmask_b32_e32 v1, v1, v4, vcc_lo
	v_lshlrev_b32_e32 v4, 2, v1
	s_waitcnt lgkmcnt(0)
	v_add_f32_e32 v1, v2, v3
	ds_bpermute_b32 v2, v4, v1
	v_cmpx_eq_u32_e32 0, v0
	s_cbranch_execz .LBB265_6
; %bb.5:
	s_load_dwordx2 s[0:1], s[4:5], 0x38
	s_mul_i32 s2, s2, s7
	s_mul_i32 s4, s18, s8
	s_ashr_i32 s3, s2, 31
	s_waitcnt lgkmcnt(0)
	v_add_f32_e32 v0, v1, v2
	s_lshl_b64 s[2:3], s[2:3], 2
	v_mov_b32_e32 v1, 0
	s_add_u32 s2, s0, s2
	s_addc_u32 s3, s1, s3
	s_ashr_i32 s5, s4, 31
	s_lshl_b64 s[0:1], s[4:5], 2
	s_add_u32 s2, s2, s0
	s_addc_u32 s3, s3, s1
	s_ashr_i32 s7, s6, 31
	s_lshl_b64 s[0:1], s[6:7], 2
	s_add_u32 s0, s2, s0
	s_addc_u32 s1, s3, s1
	global_store_dword v1, v0, s[0:1]
.LBB265_6:
	s_endpgm
	.section	.rodata,"a",@progbits
	.p2align	6, 0x0
	.amdhsa_kernel _ZL13mul_mat_vec_fI14__hip_bfloat16fLi1ELi32ELb0ELb1EEvPKT_PKfPKi31ggml_cuda_mm_fusion_args_devicePfi15HIP_vector_typeIjLj3EEiiiSB_iiiSB_iiii
		.amdhsa_group_segment_fixed_size 0
		.amdhsa_private_segment_fixed_size 0
		.amdhsa_kernarg_size 144
		.amdhsa_user_sgpr_count 6
		.amdhsa_user_sgpr_private_segment_buffer 1
		.amdhsa_user_sgpr_dispatch_ptr 0
		.amdhsa_user_sgpr_queue_ptr 0
		.amdhsa_user_sgpr_kernarg_segment_ptr 1
		.amdhsa_user_sgpr_dispatch_id 0
		.amdhsa_user_sgpr_flat_scratch_init 0
		.amdhsa_user_sgpr_private_segment_size 0
		.amdhsa_wavefront_size32 1
		.amdhsa_uses_dynamic_stack 0
		.amdhsa_system_sgpr_private_segment_wavefront_offset 0
		.amdhsa_system_sgpr_workgroup_id_x 1
		.amdhsa_system_sgpr_workgroup_id_y 1
		.amdhsa_system_sgpr_workgroup_id_z 1
		.amdhsa_system_sgpr_workgroup_info 0
		.amdhsa_system_vgpr_workitem_id 0
		.amdhsa_next_free_vgpr 11
		.amdhsa_next_free_sgpr 24
		.amdhsa_reserve_vcc 1
		.amdhsa_reserve_flat_scratch 0
		.amdhsa_float_round_mode_32 0
		.amdhsa_float_round_mode_16_64 0
		.amdhsa_float_denorm_mode_32 3
		.amdhsa_float_denorm_mode_16_64 3
		.amdhsa_dx10_clamp 1
		.amdhsa_ieee_mode 1
		.amdhsa_fp16_overflow 0
		.amdhsa_workgroup_processor_mode 1
		.amdhsa_memory_ordered 1
		.amdhsa_forward_progress 1
		.amdhsa_shared_vgpr_count 0
		.amdhsa_exception_fp_ieee_invalid_op 0
		.amdhsa_exception_fp_denorm_src 0
		.amdhsa_exception_fp_ieee_div_zero 0
		.amdhsa_exception_fp_ieee_overflow 0
		.amdhsa_exception_fp_ieee_underflow 0
		.amdhsa_exception_fp_ieee_inexact 0
		.amdhsa_exception_int_div_zero 0
	.end_amdhsa_kernel
	.section	.text._ZL13mul_mat_vec_fI14__hip_bfloat16fLi1ELi32ELb0ELb1EEvPKT_PKfPKi31ggml_cuda_mm_fusion_args_devicePfi15HIP_vector_typeIjLj3EEiiiSB_iiiSB_iiii,"axG",@progbits,_ZL13mul_mat_vec_fI14__hip_bfloat16fLi1ELi32ELb0ELb1EEvPKT_PKfPKi31ggml_cuda_mm_fusion_args_devicePfi15HIP_vector_typeIjLj3EEiiiSB_iiiSB_iiii,comdat
.Lfunc_end265:
	.size	_ZL13mul_mat_vec_fI14__hip_bfloat16fLi1ELi32ELb0ELb1EEvPKT_PKfPKi31ggml_cuda_mm_fusion_args_devicePfi15HIP_vector_typeIjLj3EEiiiSB_iiiSB_iiii, .Lfunc_end265-_ZL13mul_mat_vec_fI14__hip_bfloat16fLi1ELi32ELb0ELb1EEvPKT_PKfPKi31ggml_cuda_mm_fusion_args_devicePfi15HIP_vector_typeIjLj3EEiiiSB_iiiSB_iiii
                                        ; -- End function
	.set _ZL13mul_mat_vec_fI14__hip_bfloat16fLi1ELi32ELb0ELb1EEvPKT_PKfPKi31ggml_cuda_mm_fusion_args_devicePfi15HIP_vector_typeIjLj3EEiiiSB_iiiSB_iiii.num_vgpr, 11
	.set _ZL13mul_mat_vec_fI14__hip_bfloat16fLi1ELi32ELb0ELb1EEvPKT_PKfPKi31ggml_cuda_mm_fusion_args_devicePfi15HIP_vector_typeIjLj3EEiiiSB_iiiSB_iiii.num_agpr, 0
	.set _ZL13mul_mat_vec_fI14__hip_bfloat16fLi1ELi32ELb0ELb1EEvPKT_PKfPKi31ggml_cuda_mm_fusion_args_devicePfi15HIP_vector_typeIjLj3EEiiiSB_iiiSB_iiii.numbered_sgpr, 24
	.set _ZL13mul_mat_vec_fI14__hip_bfloat16fLi1ELi32ELb0ELb1EEvPKT_PKfPKi31ggml_cuda_mm_fusion_args_devicePfi15HIP_vector_typeIjLj3EEiiiSB_iiiSB_iiii.num_named_barrier, 0
	.set _ZL13mul_mat_vec_fI14__hip_bfloat16fLi1ELi32ELb0ELb1EEvPKT_PKfPKi31ggml_cuda_mm_fusion_args_devicePfi15HIP_vector_typeIjLj3EEiiiSB_iiiSB_iiii.private_seg_size, 0
	.set _ZL13mul_mat_vec_fI14__hip_bfloat16fLi1ELi32ELb0ELb1EEvPKT_PKfPKi31ggml_cuda_mm_fusion_args_devicePfi15HIP_vector_typeIjLj3EEiiiSB_iiiSB_iiii.uses_vcc, 1
	.set _ZL13mul_mat_vec_fI14__hip_bfloat16fLi1ELi32ELb0ELb1EEvPKT_PKfPKi31ggml_cuda_mm_fusion_args_devicePfi15HIP_vector_typeIjLj3EEiiiSB_iiiSB_iiii.uses_flat_scratch, 0
	.set _ZL13mul_mat_vec_fI14__hip_bfloat16fLi1ELi32ELb0ELb1EEvPKT_PKfPKi31ggml_cuda_mm_fusion_args_devicePfi15HIP_vector_typeIjLj3EEiiiSB_iiiSB_iiii.has_dyn_sized_stack, 0
	.set _ZL13mul_mat_vec_fI14__hip_bfloat16fLi1ELi32ELb0ELb1EEvPKT_PKfPKi31ggml_cuda_mm_fusion_args_devicePfi15HIP_vector_typeIjLj3EEiiiSB_iiiSB_iiii.has_recursion, 0
	.set _ZL13mul_mat_vec_fI14__hip_bfloat16fLi1ELi32ELb0ELb1EEvPKT_PKfPKi31ggml_cuda_mm_fusion_args_devicePfi15HIP_vector_typeIjLj3EEiiiSB_iiiSB_iiii.has_indirect_call, 0
	.section	.AMDGPU.csdata,"",@progbits
; Kernel info:
; codeLenInByte = 696
; TotalNumSgprs: 26
; NumVgprs: 11
; ScratchSize: 0
; MemoryBound: 0
; FloatMode: 240
; IeeeMode: 1
; LDSByteSize: 0 bytes/workgroup (compile time only)
; SGPRBlocks: 0
; VGPRBlocks: 1
; NumSGPRsForWavesPerEU: 26
; NumVGPRsForWavesPerEU: 11
; Occupancy: 16
; WaveLimiterHint : 1
; COMPUTE_PGM_RSRC2:SCRATCH_EN: 0
; COMPUTE_PGM_RSRC2:USER_SGPR: 6
; COMPUTE_PGM_RSRC2:TRAP_HANDLER: 0
; COMPUTE_PGM_RSRC2:TGID_X_EN: 1
; COMPUTE_PGM_RSRC2:TGID_Y_EN: 1
; COMPUTE_PGM_RSRC2:TGID_Z_EN: 1
; COMPUTE_PGM_RSRC2:TIDIG_COMP_CNT: 0
	.section	.text._ZL13mul_mat_vec_fI14__hip_bfloat16fLi1ELi64ELb1ELb1EEvPKT_PKfPKi31ggml_cuda_mm_fusion_args_devicePfi15HIP_vector_typeIjLj3EEiiiSB_iiiSB_iiii,"axG",@progbits,_ZL13mul_mat_vec_fI14__hip_bfloat16fLi1ELi64ELb1ELb1EEvPKT_PKfPKi31ggml_cuda_mm_fusion_args_devicePfi15HIP_vector_typeIjLj3EEiiiSB_iiiSB_iiii,comdat
	.globl	_ZL13mul_mat_vec_fI14__hip_bfloat16fLi1ELi64ELb1ELb1EEvPKT_PKfPKi31ggml_cuda_mm_fusion_args_devicePfi15HIP_vector_typeIjLj3EEiiiSB_iiiSB_iiii ; -- Begin function _ZL13mul_mat_vec_fI14__hip_bfloat16fLi1ELi64ELb1ELb1EEvPKT_PKfPKi31ggml_cuda_mm_fusion_args_devicePfi15HIP_vector_typeIjLj3EEiiiSB_iiiSB_iiii
	.p2align	8
	.type	_ZL13mul_mat_vec_fI14__hip_bfloat16fLi1ELi64ELb1ELb1EEvPKT_PKfPKi31ggml_cuda_mm_fusion_args_devicePfi15HIP_vector_typeIjLj3EEiiiSB_iiiSB_iiii,@function
_ZL13mul_mat_vec_fI14__hip_bfloat16fLi1ELi64ELb1ELb1EEvPKT_PKfPKi31ggml_cuda_mm_fusion_args_devicePfi15HIP_vector_typeIjLj3EEiiiSB_iiiSB_iiii: ; @_ZL13mul_mat_vec_fI14__hip_bfloat16fLi1ELi64ELb1ELb1EEvPKT_PKfPKi31ggml_cuda_mm_fusion_args_devicePfi15HIP_vector_typeIjLj3EEiiiSB_iiiSB_iiii
; %bb.0:
	s_clause 0x3
	s_load_dword s1, s[4:5], 0x8c
	s_load_dwordx8 s[20:27], s[4:5], 0x0
	s_load_dwordx4 s[36:39], s[4:5], 0x20
	s_load_dwordx8 s[12:19], s[4:5], 0x40
	v_lshl_add_u32 v8, v0, 2, 0
	s_mov_b32 s0, s7
	s_waitcnt lgkmcnt(0)
	s_mul_i32 s1, s1, s8
	s_add_i32 s2, s1, s7
	s_ashr_i32 s3, s2, 31
	s_lshl_b64 s[2:3], s[2:3], 2
	s_add_u32 s10, s24, s2
	s_addc_u32 s11, s25, s3
	s_cmp_lg_u64 s[36:37], 0
	v_cmp_gt_u32_e64 s2, 32, v0
	s_cselect_b32 s1, -1, 0
	s_cmp_eq_u64 s[36:37], 0
	s_cselect_b32 s19, -1, 0
	s_and_saveexec_b32 s3, s2
	s_cbranch_execz .LBB266_3
; %bb.1:
	v_mov_b32_e32 v1, 0
	s_andn2_b32 vcc_lo, exec_lo, s1
	ds_write_b32 v8, v1
	s_cbranch_vccnz .LBB266_3
; %bb.2:
	ds_write_b32 v8, v1 offset:128
.LBB266_3:
	s_or_b32 exec_lo, exec_lo, s3
	s_load_dword s7, s[10:11], 0x0
	s_load_dwordx4 s[28:31], s[4:5], 0x68
	v_mov_b32_e32 v7, 0
	v_mov_b32_e32 v9, 0
	s_mov_b32 s9, exec_lo
	s_waitcnt lgkmcnt(0)
	s_barrier
	buffer_gl0_inv
	v_cmpx_gt_i32_e64 s12, v0
	s_cbranch_execz .LBB266_9
; %bb.4:
	s_mul_hi_u32 s3, s13, s0
	s_mul_i32 s10, s7, s28
	s_add_i32 s3, s0, s3
	s_mul_i32 s11, s16, s6
	s_lshr_b32 s3, s3, s14
	s_ashr_i32 s13, s10, 31
	s_mul_i32 s3, s3, s15
	s_ashr_i32 s14, s11, 31
	s_sub_i32 s3, s0, s3
	s_add_u32 s10, s10, s11
	s_addc_u32 s11, s13, s14
	s_mul_i32 s13, s8, s17
	s_mul_i32 s14, s3, s29
	s_lshl_b32 s16, s13, 1
	s_ashr_i32 s15, s14, 31
	s_ashr_i32 s17, s16, 31
	s_and_b32 s3, s1, exec_lo
	s_cselect_b32 s29, s11, 0
	s_cselect_b32 s28, s10, 0
	v_lshlrev_b32_e32 v5, 2, v0
	s_cselect_b32 s3, s37, 0
	s_cselect_b32 s13, s36, 0
	s_lshl_b64 s[28:29], s[28:29], 1
	v_lshlrev_b32_e32 v3, 3, v0
	s_add_u32 s13, s13, s28
	s_addc_u32 s3, s3, s29
	v_add_co_u32 v1, s13, s13, v5
	s_lshl_b64 s[14:15], s[14:15], 2
	s_lshl_b64 s[16:17], s[16:17], 2
	v_add_co_ci_u32_e64 v2, null, s3, 0, s13
	s_add_u32 s3, s22, s14
	s_addc_u32 s13, s23, s15
	s_add_u32 s3, s3, s16
	s_addc_u32 s13, s13, s17
	v_add_co_u32 v3, s3, s3, v3
	s_lshl_b64 s[10:11], s[10:11], 1
	v_add_co_ci_u32_e64 v4, null, s13, 0, s3
	s_add_u32 s3, s20, s10
	v_add_co_u32 v3, vcc_lo, v3, 4
	s_addc_u32 s10, s21, s11
	v_add_co_u32 v5, s3, s3, v5
	v_mov_b32_e32 v7, 0
	v_add_co_ci_u32_e64 v4, null, 0, v4, vcc_lo
	v_add_co_ci_u32_e64 v6, null, s10, 0, s3
	v_mov_b32_e32 v10, v0
	v_mov_b32_e32 v9, 0
	s_mov_b32 s10, 0
	s_inst_prefetch 0x1
	s_branch .LBB266_6
	.p2align	6
.LBB266_5:                              ;   in Loop: Header=BB266_6 Depth=1
	global_load_dwordx2 v[14:15], v[3:4], off offset:-4
	s_waitcnt vmcnt(1)
	v_lshlrev_b32_e32 v16, 16, v13
	v_add_nc_u32_e32 v10, 64, v10
	v_add_co_u32 v1, vcc_lo, 0x100, v1
	v_and_b32_e32 v13, 0xffff0000, v13
	v_add_co_ci_u32_e64 v2, null, 0, v2, vcc_lo
	v_add_co_u32 v3, vcc_lo, 0x200, v3
	v_add_co_ci_u32_e64 v4, null, 0, v4, vcc_lo
	v_cmp_le_i32_e32 vcc_lo, s12, v10
	v_add_co_u32 v5, s3, 0x100, v5
	v_add_co_ci_u32_e64 v6, null, 0, v6, s3
	s_or_b32 s10, vcc_lo, s10
	s_waitcnt vmcnt(0)
	v_fma_f32 v12, v12, v14, v7
	v_fmac_f32_e32 v9, v14, v16
	v_fmac_f32_e32 v12, v11, v15
	;; [unrolled: 1-line block ×3, first 2 shown]
	v_cndmask_b32_e64 v7, v7, v12, s1
	s_andn2_b32 exec_lo, exec_lo, s10
	s_cbranch_execz .LBB266_8
.LBB266_6:                              ; =>This Inner Loop Header: Depth=1
	global_load_dword v13, v[5:6], off
	v_mov_b32_e32 v11, 0
	v_mov_b32_e32 v12, 0
	s_andn2_b32 vcc_lo, exec_lo, s1
	s_cbranch_vccnz .LBB266_5
; %bb.7:                                ;   in Loop: Header=BB266_6 Depth=1
	global_load_dword v11, v[1:2], off
	s_waitcnt vmcnt(0)
	v_lshlrev_b32_e32 v12, 16, v11
	v_and_b32_e32 v11, 0xffff0000, v11
	s_branch .LBB266_5
.LBB266_8:
	s_inst_prefetch 0x2
	s_or_b32 exec_lo, exec_lo, s10
.LBB266_9:
	s_or_b32 exec_lo, exec_lo, s9
	v_mbcnt_lo_u32_b32 v1, -1, 0
	s_load_dword s9, s[4:5], 0x30
	s_mov_b32 s3, -1
	v_xor_b32_e32 v2, 16, v1
	v_xor_b32_e32 v3, 8, v1
	v_cmp_gt_i32_e32 vcc_lo, 32, v2
	v_cndmask_b32_e32 v2, v1, v2, vcc_lo
	v_cmp_gt_i32_e32 vcc_lo, 32, v3
	v_lshlrev_b32_e32 v2, 2, v2
	v_cndmask_b32_e32 v3, v1, v3, vcc_lo
	ds_bpermute_b32 v4, v2, v9
	v_lshlrev_b32_e32 v3, 2, v3
	s_waitcnt lgkmcnt(0)
	v_add_f32_e32 v5, v9, v4
	v_xor_b32_e32 v4, 4, v1
	ds_bpermute_b32 v6, v3, v5
	v_cmp_gt_i32_e32 vcc_lo, 32, v4
	v_cndmask_b32_e32 v4, v1, v4, vcc_lo
	v_lshlrev_b32_e32 v4, 2, v4
	s_waitcnt lgkmcnt(0)
	v_add_f32_e32 v6, v5, v6
	v_xor_b32_e32 v5, 2, v1
	ds_bpermute_b32 v9, v4, v6
	v_cmp_gt_i32_e32 vcc_lo, 32, v5
	v_cndmask_b32_e32 v5, v1, v5, vcc_lo
	;; [unrolled: 7-line block ×3, first 2 shown]
	s_and_b32 vcc_lo, exec_lo, s19
	v_lshlrev_b32_e32 v6, 2, v1
	s_waitcnt lgkmcnt(0)
	v_add_f32_e32 v1, v9, v10
	v_lshrrev_b32_e32 v10, 5, v0
	ds_bpermute_b32 v9, v6, v1
	s_waitcnt lgkmcnt(0)
	v_add_f32_e32 v1, v1, v9
	v_lshl_add_u32 v9, v10, 2, 0
	s_cbranch_vccz .LBB266_11
; %bb.10:
	s_mov_b32 s3, 0
	ds_write_b32 v9, v1
.LBB266_11:
	s_andn2_b32 vcc_lo, exec_lo, s3
	s_cbranch_vccnz .LBB266_13
; %bb.12:
	ds_bpermute_b32 v10, v2, v7
	s_waitcnt lgkmcnt(0)
	v_add_f32_e32 v7, v7, v10
	ds_bpermute_b32 v10, v3, v7
	s_waitcnt lgkmcnt(0)
	v_add_f32_e32 v7, v7, v10
	;; [unrolled: 3-line block ×5, first 2 shown]
	ds_write2_b32 v9, v1, v7 offset1:32
.LBB266_13:
	s_waitcnt lgkmcnt(0)
	s_barrier
	buffer_gl0_inv
	s_and_saveexec_b32 s3, s2
	s_cbranch_execz .LBB266_17
; %bb.14:
	ds_read_b32 v1, v8
	s_andn2_b32 vcc_lo, exec_lo, s1
	s_waitcnt lgkmcnt(0)
	ds_bpermute_b32 v9, v2, v1
	s_waitcnt lgkmcnt(0)
	v_add_f32_e32 v1, v1, v9
	ds_bpermute_b32 v9, v3, v1
	s_waitcnt lgkmcnt(0)
	v_add_f32_e32 v1, v1, v9
	;; [unrolled: 3-line block ×4, first 2 shown]
	ds_bpermute_b32 v9, v6, v1
	s_cbranch_vccnz .LBB266_16
; %bb.15:
	ds_read_b32 v7, v8 offset:128
	s_waitcnt lgkmcnt(0)
	ds_bpermute_b32 v2, v2, v7
	s_waitcnt lgkmcnt(0)
	v_add_f32_e32 v2, v7, v2
	ds_bpermute_b32 v3, v3, v2
	s_waitcnt lgkmcnt(0)
	v_add_f32_e32 v2, v2, v3
	ds_bpermute_b32 v3, v4, v2
	s_waitcnt lgkmcnt(0)
	v_add_f32_e32 v2, v2, v3
	ds_bpermute_b32 v3, v5, v2
	s_waitcnt lgkmcnt(0)
	v_add_f32_e32 v2, v2, v3
	ds_bpermute_b32 v3, v6, v2
	s_waitcnt lgkmcnt(0)
	v_add_f32_e32 v7, v2, v3
.LBB266_16:
	s_waitcnt lgkmcnt(0)
	v_add_f32_e32 v1, v1, v9
.LBB266_17:
	s_or_b32 exec_lo, exec_lo, s3
	s_barrier
	buffer_gl0_inv
	s_mov_b32 s2, exec_lo
	v_cmpx_eq_u32_e32 0, v0
	s_cbranch_execz .LBB266_41
; %bb.18:
	s_cmp_eq_u64 s[26:27], 0
	s_cselect_b32 s10, -1, 0
	s_cmp_eq_u64 s[24:25], 0
	s_cselect_b32 s2, s0, s7
	s_mul_i32 s2, s2, s30
	s_ashr_i32 s3, s2, 31
	s_and_b32 vcc_lo, exec_lo, s10
	s_cbranch_vccnz .LBB266_20
; %bb.19:
	s_cselect_b32 s7, 0, s27
	s_cselect_b32 s12, 0, s26
	s_lshl_b64 s[10:11], s[2:3], 2
	s_add_u32 s12, s12, s10
	s_addc_u32 s13, s7, s11
	s_ashr_i32 s7, s6, 31
	s_lshl_b64 s[10:11], s[6:7], 2
	s_add_u32 s10, s12, s10
	s_addc_u32 s11, s13, s11
	s_load_dword s7, s[10:11], 0x0
	s_waitcnt lgkmcnt(0)
	v_add_f32_e32 v1, s7, v1
.LBB266_20:
	s_andn2_b32 vcc_lo, exec_lo, s1
	s_cbranch_vccnz .LBB266_40
; %bb.21:
	s_cmp_lg_u64 s[38:39], 0
	s_cselect_b32 s7, -1, 0
	s_and_b32 s1, s7, s1
	s_andn2_b32 vcc_lo, exec_lo, s1
	s_cbranch_vccnz .LBB266_23
; %bb.22:
	s_and_b32 s7, s7, exec_lo
	s_cselect_b32 s7, s39, 0
	s_cselect_b32 s10, s38, 0
	s_and_b32 s1, s1, exec_lo
	s_cselect_b32 s3, s3, 0
	s_cselect_b32 s2, s2, 0
	s_lshl_b64 s[2:3], s[2:3], 2
	s_add_u32 s1, s10, s2
	s_addc_u32 s10, s7, s3
	s_ashr_i32 s7, s6, 31
	s_lshl_b64 s[2:3], s[6:7], 2
	s_add_u32 s2, s1, s2
	s_addc_u32 s3, s10, s3
	s_load_dword s1, s[2:3], 0x0
	s_waitcnt lgkmcnt(0)
	v_add_f32_e32 v7, s1, v7
.LBB266_23:
	s_cmp_lt_i32 s9, 2
	s_cbranch_scc1 .LBB266_28
; %bb.24:
	s_cmp_lt_i32 s9, 3
	s_cbranch_scc1 .LBB266_29
; %bb.25:
	v_mov_b32_e32 v0, v1
	s_cmp_eq_u32 s9, 3
	s_cbranch_scc0 .LBB266_27
; %bb.26:
	v_max_f32_e32 v0, v7, v7
	v_min_f32_e32 v0, 0x40e00000, v0
	v_mul_f32_e32 v2, 0xbfd9db23, v0
	v_mul_f32_e32 v3, 0x3fb8aa3b, v2
	v_cmp_ngt_f32_e32 vcc_lo, 0xc2ce8ed0, v2
	v_fma_f32 v4, 0x3fb8aa3b, v2, -v3
	v_rndne_f32_e32 v5, v3
	v_fmamk_f32 v4, v2, 0x32a5705f, v4
	v_sub_f32_e32 v3, v3, v5
	v_add_f32_e32 v3, v3, v4
	v_cvt_i32_f32_e32 v4, v5
	v_exp_f32_e32 v3, v3
	v_ldexp_f32 v3, v3, v4
	v_cndmask_b32_e32 v3, 0, v3, vcc_lo
	v_cmp_nlt_f32_e32 vcc_lo, 0x42b17218, v2
	v_cndmask_b32_e32 v2, 0x7f800000, v3, vcc_lo
	v_add_f32_e32 v2, 1.0, v2
	v_div_scale_f32 v3, null, v2, v2, v0
	v_div_scale_f32 v6, vcc_lo, v0, v2, v0
	v_rcp_f32_e32 v4, v3
	v_fma_f32 v5, -v3, v4, 1.0
	v_fmac_f32_e32 v4, v5, v4
	v_mul_f32_e32 v5, v6, v4
	v_fma_f32 v8, -v3, v5, v6
	v_fmac_f32_e32 v5, v8, v4
	v_max_f32_e32 v8, v1, v1
	v_fma_f32 v3, -v3, v5, v6
	v_min_f32_e32 v6, 0x40e00000, v8
	v_div_fmas_f32 v3, v3, v4, v5
	v_max_f32_e32 v4, 0xc0e00000, v6
	v_div_fixup_f32 v0, v3, v2, v0
	v_add_f32_e32 v2, 1.0, v4
	v_mul_f32_e32 v0, v2, v0
.LBB266_27:
	s_cbranch_execz .LBB266_30
	s_branch .LBB266_31
.LBB266_28:
                                        ; implicit-def: $vgpr0
	s_branch .LBB266_32
.LBB266_29:
                                        ; implicit-def: $vgpr0
.LBB266_30:
	v_mul_f32_e32 v0, 0xbfb8aa3b, v7
	v_cmp_nlt_f32_e32 vcc_lo, 0x42ce8ed0, v7
	v_rndne_f32_e32 v2, v0
	v_fma_f32 v3, 0xbfb8aa3b, v7, -v0
	v_sub_f32_e32 v0, v0, v2
	v_fmamk_f32 v3, v7, 0xb2a5705f, v3
	v_cvt_i32_f32_e32 v2, v2
	v_add_f32_e32 v0, v0, v3
	v_exp_f32_e32 v0, v0
	v_ldexp_f32 v0, v0, v2
	v_cndmask_b32_e32 v0, 0, v0, vcc_lo
	v_cmp_ngt_f32_e32 vcc_lo, 0xc2b17218, v7
	v_cndmask_b32_e32 v0, 0x7f800000, v0, vcc_lo
	v_add_f32_e32 v0, 1.0, v0
	v_div_scale_f32 v2, null, v0, v0, v7
	v_rcp_f32_e32 v3, v2
	v_fma_f32 v4, -v2, v3, 1.0
	v_fmac_f32_e32 v3, v4, v3
	v_div_scale_f32 v4, vcc_lo, v7, v0, v7
	v_mul_f32_e32 v5, v4, v3
	v_fma_f32 v6, -v2, v5, v4
	v_fmac_f32_e32 v5, v6, v3
	v_fma_f32 v2, -v2, v5, v4
	v_div_fmas_f32 v2, v2, v3, v5
	v_div_fixup_f32 v0, v2, v0, v7
	v_mul_f32_e32 v0, v1, v0
.LBB266_31:
	s_cbranch_execnz .LBB266_39
.LBB266_32:
	s_cmp_eq_u32 s9, 1
	s_cbranch_scc0 .LBB266_38
; %bb.33:
	v_mul_f32_e32 v0, 0x3d372713, v7
	v_mul_f32_e32 v2, 0x3f4c422a, v7
	v_fma_f32 v0, v7, v0, 1.0
	v_mul_f32_e32 v0, v2, v0
                                        ; implicit-def: $vgpr2
	v_cmp_ngt_f32_e64 s1, 0x3f200000, |v0|
	s_and_saveexec_b32 s2, s1
	s_xor_b32 s1, exec_lo, s2
	s_cbranch_execz .LBB266_35
; %bb.34:
	v_add_f32_e64 v2, |v0|, |v0|
	v_mul_f32_e32 v3, 0x3fb8aa3b, v2
	v_cmp_ngt_f32_e32 vcc_lo, 0xc2ce8ed0, v2
	v_rndne_f32_e32 v4, v3
	v_fma_f32 v5, 0x3fb8aa3b, v2, -v3
	v_sub_f32_e32 v3, v3, v4
	v_fmamk_f32 v5, v2, 0x32a5705f, v5
	v_cvt_i32_f32_e32 v4, v4
	v_add_f32_e32 v3, v3, v5
	v_exp_f32_e32 v3, v3
	v_ldexp_f32 v3, v3, v4
	v_cndmask_b32_e32 v3, 0, v3, vcc_lo
	v_cmp_nlt_f32_e32 vcc_lo, 0x42b17218, v2
	v_cndmask_b32_e32 v2, 0x7f800000, v3, vcc_lo
	v_add_f32_e32 v2, 1.0, v2
	v_rcp_f32_e32 v2, v2
	v_fma_f32 v2, v2, -2.0, 1.0
.LBB266_35:
	s_andn2_saveexec_b32 s1, s1
	s_cbranch_execz .LBB266_37
; %bb.36:
	v_mul_f32_e32 v2, v0, v0
	s_mov_b32 s2, 0xbbbac73d
	v_fmaak_f32 v3, s2, v2, 0x3ca908c9
	v_fmaak_f32 v3, v2, v3, 0xbd5c1c4e
	;; [unrolled: 1-line block ×4, first 2 shown]
	v_mul_f32_e64 v3, |v0|, v3
	v_fma_f32 v2, v2, v3, |v0|
.LBB266_37:
	s_or_b32 exec_lo, exec_lo, s1
	v_bfi_b32 v0, 0x7fffffff, v2, v0
	v_mul_f32_e32 v2, 0.5, v7
	v_add_f32_e32 v0, 1.0, v0
	v_mul_f32_e32 v0, v2, v0
	v_mul_f32_e32 v1, v1, v0
.LBB266_38:
	v_mov_b32_e32 v0, v1
.LBB266_39:
	v_mov_b32_e32 v1, v0
.LBB266_40:
	s_load_dwordx2 s[2:3], s[4:5], 0x38
	s_mul_i32 s0, s30, s0
	s_mul_i32 s4, s18, s8
	s_ashr_i32 s1, s0, 31
	v_mov_b32_e32 v0, 0
	s_lshl_b64 s[0:1], s[0:1], 2
	s_waitcnt lgkmcnt(0)
	s_add_u32 s2, s2, s0
	s_addc_u32 s3, s3, s1
	s_ashr_i32 s5, s4, 31
	s_lshl_b64 s[0:1], s[4:5], 2
	s_add_u32 s2, s2, s0
	s_addc_u32 s3, s3, s1
	s_ashr_i32 s7, s6, 31
	s_lshl_b64 s[0:1], s[6:7], 2
	s_add_u32 s0, s2, s0
	s_addc_u32 s1, s3, s1
	global_store_dword v0, v1, s[0:1]
.LBB266_41:
	s_endpgm
	.section	.rodata,"a",@progbits
	.p2align	6, 0x0
	.amdhsa_kernel _ZL13mul_mat_vec_fI14__hip_bfloat16fLi1ELi64ELb1ELb1EEvPKT_PKfPKi31ggml_cuda_mm_fusion_args_devicePfi15HIP_vector_typeIjLj3EEiiiSB_iiiSB_iiii
		.amdhsa_group_segment_fixed_size 0
		.amdhsa_private_segment_fixed_size 0
		.amdhsa_kernarg_size 144
		.amdhsa_user_sgpr_count 6
		.amdhsa_user_sgpr_private_segment_buffer 1
		.amdhsa_user_sgpr_dispatch_ptr 0
		.amdhsa_user_sgpr_queue_ptr 0
		.amdhsa_user_sgpr_kernarg_segment_ptr 1
		.amdhsa_user_sgpr_dispatch_id 0
		.amdhsa_user_sgpr_flat_scratch_init 0
		.amdhsa_user_sgpr_private_segment_size 0
		.amdhsa_wavefront_size32 1
		.amdhsa_uses_dynamic_stack 0
		.amdhsa_system_sgpr_private_segment_wavefront_offset 0
		.amdhsa_system_sgpr_workgroup_id_x 1
		.amdhsa_system_sgpr_workgroup_id_y 1
		.amdhsa_system_sgpr_workgroup_id_z 1
		.amdhsa_system_sgpr_workgroup_info 0
		.amdhsa_system_vgpr_workitem_id 0
		.amdhsa_next_free_vgpr 17
		.amdhsa_next_free_sgpr 40
		.amdhsa_reserve_vcc 1
		.amdhsa_reserve_flat_scratch 0
		.amdhsa_float_round_mode_32 0
		.amdhsa_float_round_mode_16_64 0
		.amdhsa_float_denorm_mode_32 3
		.amdhsa_float_denorm_mode_16_64 3
		.amdhsa_dx10_clamp 1
		.amdhsa_ieee_mode 1
		.amdhsa_fp16_overflow 0
		.amdhsa_workgroup_processor_mode 1
		.amdhsa_memory_ordered 1
		.amdhsa_forward_progress 1
		.amdhsa_shared_vgpr_count 0
		.amdhsa_exception_fp_ieee_invalid_op 0
		.amdhsa_exception_fp_denorm_src 0
		.amdhsa_exception_fp_ieee_div_zero 0
		.amdhsa_exception_fp_ieee_overflow 0
		.amdhsa_exception_fp_ieee_underflow 0
		.amdhsa_exception_fp_ieee_inexact 0
		.amdhsa_exception_int_div_zero 0
	.end_amdhsa_kernel
	.section	.text._ZL13mul_mat_vec_fI14__hip_bfloat16fLi1ELi64ELb1ELb1EEvPKT_PKfPKi31ggml_cuda_mm_fusion_args_devicePfi15HIP_vector_typeIjLj3EEiiiSB_iiiSB_iiii,"axG",@progbits,_ZL13mul_mat_vec_fI14__hip_bfloat16fLi1ELi64ELb1ELb1EEvPKT_PKfPKi31ggml_cuda_mm_fusion_args_devicePfi15HIP_vector_typeIjLj3EEiiiSB_iiiSB_iiii,comdat
.Lfunc_end266:
	.size	_ZL13mul_mat_vec_fI14__hip_bfloat16fLi1ELi64ELb1ELb1EEvPKT_PKfPKi31ggml_cuda_mm_fusion_args_devicePfi15HIP_vector_typeIjLj3EEiiiSB_iiiSB_iiii, .Lfunc_end266-_ZL13mul_mat_vec_fI14__hip_bfloat16fLi1ELi64ELb1ELb1EEvPKT_PKfPKi31ggml_cuda_mm_fusion_args_devicePfi15HIP_vector_typeIjLj3EEiiiSB_iiiSB_iiii
                                        ; -- End function
	.set _ZL13mul_mat_vec_fI14__hip_bfloat16fLi1ELi64ELb1ELb1EEvPKT_PKfPKi31ggml_cuda_mm_fusion_args_devicePfi15HIP_vector_typeIjLj3EEiiiSB_iiiSB_iiii.num_vgpr, 17
	.set _ZL13mul_mat_vec_fI14__hip_bfloat16fLi1ELi64ELb1ELb1EEvPKT_PKfPKi31ggml_cuda_mm_fusion_args_devicePfi15HIP_vector_typeIjLj3EEiiiSB_iiiSB_iiii.num_agpr, 0
	.set _ZL13mul_mat_vec_fI14__hip_bfloat16fLi1ELi64ELb1ELb1EEvPKT_PKfPKi31ggml_cuda_mm_fusion_args_devicePfi15HIP_vector_typeIjLj3EEiiiSB_iiiSB_iiii.numbered_sgpr, 40
	.set _ZL13mul_mat_vec_fI14__hip_bfloat16fLi1ELi64ELb1ELb1EEvPKT_PKfPKi31ggml_cuda_mm_fusion_args_devicePfi15HIP_vector_typeIjLj3EEiiiSB_iiiSB_iiii.num_named_barrier, 0
	.set _ZL13mul_mat_vec_fI14__hip_bfloat16fLi1ELi64ELb1ELb1EEvPKT_PKfPKi31ggml_cuda_mm_fusion_args_devicePfi15HIP_vector_typeIjLj3EEiiiSB_iiiSB_iiii.private_seg_size, 0
	.set _ZL13mul_mat_vec_fI14__hip_bfloat16fLi1ELi64ELb1ELb1EEvPKT_PKfPKi31ggml_cuda_mm_fusion_args_devicePfi15HIP_vector_typeIjLj3EEiiiSB_iiiSB_iiii.uses_vcc, 1
	.set _ZL13mul_mat_vec_fI14__hip_bfloat16fLi1ELi64ELb1ELb1EEvPKT_PKfPKi31ggml_cuda_mm_fusion_args_devicePfi15HIP_vector_typeIjLj3EEiiiSB_iiiSB_iiii.uses_flat_scratch, 0
	.set _ZL13mul_mat_vec_fI14__hip_bfloat16fLi1ELi64ELb1ELb1EEvPKT_PKfPKi31ggml_cuda_mm_fusion_args_devicePfi15HIP_vector_typeIjLj3EEiiiSB_iiiSB_iiii.has_dyn_sized_stack, 0
	.set _ZL13mul_mat_vec_fI14__hip_bfloat16fLi1ELi64ELb1ELb1EEvPKT_PKfPKi31ggml_cuda_mm_fusion_args_devicePfi15HIP_vector_typeIjLj3EEiiiSB_iiiSB_iiii.has_recursion, 0
	.set _ZL13mul_mat_vec_fI14__hip_bfloat16fLi1ELi64ELb1ELb1EEvPKT_PKfPKi31ggml_cuda_mm_fusion_args_devicePfi15HIP_vector_typeIjLj3EEiiiSB_iiiSB_iiii.has_indirect_call, 0
	.section	.AMDGPU.csdata,"",@progbits
; Kernel info:
; codeLenInByte = 2156
; TotalNumSgprs: 42
; NumVgprs: 17
; ScratchSize: 0
; MemoryBound: 0
; FloatMode: 240
; IeeeMode: 1
; LDSByteSize: 0 bytes/workgroup (compile time only)
; SGPRBlocks: 0
; VGPRBlocks: 2
; NumSGPRsForWavesPerEU: 42
; NumVGPRsForWavesPerEU: 17
; Occupancy: 16
; WaveLimiterHint : 1
; COMPUTE_PGM_RSRC2:SCRATCH_EN: 0
; COMPUTE_PGM_RSRC2:USER_SGPR: 6
; COMPUTE_PGM_RSRC2:TRAP_HANDLER: 0
; COMPUTE_PGM_RSRC2:TGID_X_EN: 1
; COMPUTE_PGM_RSRC2:TGID_Y_EN: 1
; COMPUTE_PGM_RSRC2:TGID_Z_EN: 1
; COMPUTE_PGM_RSRC2:TIDIG_COMP_CNT: 0
	.section	.text._ZL13mul_mat_vec_fI14__hip_bfloat16fLi1ELi64ELb0ELb1EEvPKT_PKfPKi31ggml_cuda_mm_fusion_args_devicePfi15HIP_vector_typeIjLj3EEiiiSB_iiiSB_iiii,"axG",@progbits,_ZL13mul_mat_vec_fI14__hip_bfloat16fLi1ELi64ELb0ELb1EEvPKT_PKfPKi31ggml_cuda_mm_fusion_args_devicePfi15HIP_vector_typeIjLj3EEiiiSB_iiiSB_iiii,comdat
	.globl	_ZL13mul_mat_vec_fI14__hip_bfloat16fLi1ELi64ELb0ELb1EEvPKT_PKfPKi31ggml_cuda_mm_fusion_args_devicePfi15HIP_vector_typeIjLj3EEiiiSB_iiiSB_iiii ; -- Begin function _ZL13mul_mat_vec_fI14__hip_bfloat16fLi1ELi64ELb0ELb1EEvPKT_PKfPKi31ggml_cuda_mm_fusion_args_devicePfi15HIP_vector_typeIjLj3EEiiiSB_iiiSB_iiii
	.p2align	8
	.type	_ZL13mul_mat_vec_fI14__hip_bfloat16fLi1ELi64ELb0ELb1EEvPKT_PKfPKi31ggml_cuda_mm_fusion_args_devicePfi15HIP_vector_typeIjLj3EEiiiSB_iiiSB_iiii,@function
_ZL13mul_mat_vec_fI14__hip_bfloat16fLi1ELi64ELb0ELb1EEvPKT_PKfPKi31ggml_cuda_mm_fusion_args_devicePfi15HIP_vector_typeIjLj3EEiiiSB_iiiSB_iiii: ; @_ZL13mul_mat_vec_fI14__hip_bfloat16fLi1ELi64ELb0ELb1EEvPKT_PKfPKi31ggml_cuda_mm_fusion_args_devicePfi15HIP_vector_typeIjLj3EEiiiSB_iiiSB_iiii
; %bb.0:
	s_clause 0x2
	s_load_dword s2, s[4:5], 0x8c
	s_load_dwordx2 s[0:1], s[4:5], 0x10
	s_load_dwordx8 s[12:19], s[4:5], 0x40
	v_cmp_gt_u32_e32 vcc_lo, 32, v0
	v_lshl_add_u32 v5, v0, 2, 0
	s_waitcnt lgkmcnt(0)
	s_mul_i32 s2, s2, s8
	s_add_i32 s2, s2, s7
	s_ashr_i32 s3, s2, 31
	s_lshl_b64 s[2:3], s[2:3], 2
	s_add_u32 s2, s0, s2
	s_addc_u32 s3, s1, s3
	s_and_saveexec_b32 s0, vcc_lo
; %bb.1:
	v_mov_b32_e32 v1, 0
	ds_write_b32 v5, v1
; %bb.2:
	s_or_b32 exec_lo, exec_lo, s0
	s_load_dwordx4 s[20:23], s[4:5], 0x68
	v_mov_b32_e32 v6, 0
	s_mov_b32 s9, exec_lo
	s_waitcnt lgkmcnt(0)
	s_barrier
	buffer_gl0_inv
	v_cmpx_gt_i32_e64 s12, v0
	s_cbranch_execz .LBB267_6
; %bb.3:
	s_load_dword s19, s[2:3], 0x0
	s_load_dwordx4 s[24:27], s[4:5], 0x0
	s_mul_hi_u32 s0, s13, s7
	s_mul_i32 s1, s8, s17
	s_add_i32 s0, s7, s0
	s_mul_i32 s2, s16, s6
	s_lshr_b32 s0, s0, s14
	v_lshlrev_b32_e32 v1, 3, v0
	s_mul_i32 s10, s0, s15
	s_lshl_b32 s0, s1, 1
	s_sub_i32 s10, s7, s10
	s_ashr_i32 s1, s0, 31
	s_mul_i32 s10, s10, s21
	s_ashr_i32 s3, s2, 31
	s_ashr_i32 s11, s10, 31
	s_lshl_b64 s[0:1], s[0:1], 2
	s_lshl_b64 s[10:11], s[10:11], 2
	v_lshlrev_b32_e32 v3, 2, v0
	v_mov_b32_e32 v6, 0
	v_mov_b32_e32 v7, v0
	s_waitcnt lgkmcnt(0)
	s_mul_i32 s14, s19, s20
	s_ashr_i32 s15, s14, 31
	s_add_u32 s10, s26, s10
	s_addc_u32 s11, s27, s11
	s_add_u32 s0, s10, s0
	s_addc_u32 s1, s11, s1
	v_add_co_u32 v1, s0, s0, v1
	v_add_co_ci_u32_e64 v2, null, s1, 0, s0
	s_lshl_b64 s[10:11], s[14:15], 1
	v_add_co_u32 v1, s0, v1, 4
	v_add_co_ci_u32_e64 v2, null, 0, v2, s0
	s_lshl_b64 s[0:1], s[2:3], 1
	s_add_u32 s2, s24, s10
	s_addc_u32 s3, s25, s11
	s_add_u32 s0, s2, s0
	s_addc_u32 s1, s3, s1
	v_add_co_u32 v3, s0, s0, v3
	v_add_co_ci_u32_e64 v4, null, s1, 0, s0
	s_mov_b32 s2, 0
	.p2align	6
.LBB267_4:                              ; =>This Inner Loop Header: Depth=1
	global_load_dword v10, v[3:4], off
	global_load_dwordx2 v[8:9], v[1:2], off offset:-4
	v_add_nc_u32_e32 v7, 64, v7
	v_add_co_u32 v1, s0, 0x200, v1
	v_add_co_ci_u32_e64 v2, null, 0, v2, s0
	v_add_co_u32 v3, s0, 0x100, v3
	v_cmp_le_i32_e64 s1, s12, v7
	v_add_co_ci_u32_e64 v4, null, 0, v4, s0
	s_or_b32 s2, s1, s2
	s_waitcnt vmcnt(1)
	v_lshlrev_b32_e32 v11, 16, v10
	v_and_b32_e32 v10, 0xffff0000, v10
	s_waitcnt vmcnt(0)
	v_fmac_f32_e32 v6, v8, v11
	v_fmac_f32_e32 v6, v9, v10
	s_andn2_b32 exec_lo, exec_lo, s2
	s_cbranch_execnz .LBB267_4
; %bb.5:
	s_or_b32 exec_lo, exec_lo, s2
.LBB267_6:
	s_or_b32 exec_lo, exec_lo, s9
	v_mbcnt_lo_u32_b32 v2, -1, 0
	v_xor_b32_e32 v1, 16, v2
	v_xor_b32_e32 v3, 8, v2
	v_cmp_gt_i32_e64 s0, 32, v1
	v_cndmask_b32_e64 v1, v2, v1, s0
	v_cmp_gt_i32_e64 s0, 32, v3
	v_lshlrev_b32_e32 v1, 2, v1
	v_cndmask_b32_e64 v3, v2, v3, s0
	ds_bpermute_b32 v4, v1, v6
	v_lshlrev_b32_e32 v3, 2, v3
	s_waitcnt lgkmcnt(0)
	v_add_f32_e32 v6, v6, v4
	v_xor_b32_e32 v4, 4, v2
	ds_bpermute_b32 v7, v3, v6
	v_cmp_gt_i32_e64 s0, 32, v4
	v_cndmask_b32_e64 v4, v2, v4, s0
	v_lshlrev_b32_e32 v4, 2, v4
	s_waitcnt lgkmcnt(0)
	v_add_f32_e32 v7, v6, v7
	v_xor_b32_e32 v6, 2, v2
	ds_bpermute_b32 v8, v4, v7
	v_cmp_gt_i32_e64 s0, 32, v6
	v_cndmask_b32_e64 v6, v2, v6, s0
	v_lshlrev_b32_e32 v6, 2, v6
	s_waitcnt lgkmcnt(0)
	v_add_f32_e32 v8, v7, v8
	v_xor_b32_e32 v7, 1, v2
	ds_bpermute_b32 v9, v6, v8
	v_cmp_gt_i32_e64 s0, 32, v7
	v_cndmask_b32_e64 v2, v2, v7, s0
	v_lshlrev_b32_e32 v7, 2, v2
	s_waitcnt lgkmcnt(0)
	v_add_f32_e32 v2, v8, v9
	v_lshrrev_b32_e32 v9, 3, v0
	ds_bpermute_b32 v8, v7, v2
	v_and_b32_e32 v9, 0x7c, v9
	v_add_nc_u32_e32 v9, 0, v9
	s_waitcnt lgkmcnt(0)
	v_add_f32_e32 v2, v2, v8
	ds_write_b32 v9, v2
	s_waitcnt lgkmcnt(0)
	s_barrier
	buffer_gl0_inv
	s_and_saveexec_b32 s0, vcc_lo
	s_cbranch_execz .LBB267_8
; %bb.7:
	ds_read_b32 v2, v5
	s_waitcnt lgkmcnt(0)
	ds_bpermute_b32 v1, v1, v2
	s_waitcnt lgkmcnt(0)
	v_add_f32_e32 v1, v2, v1
	ds_bpermute_b32 v2, v3, v1
	s_waitcnt lgkmcnt(0)
	v_add_f32_e32 v1, v1, v2
	;; [unrolled: 3-line block ×5, first 2 shown]
.LBB267_8:
	s_or_b32 exec_lo, exec_lo, s0
	s_barrier
	buffer_gl0_inv
	s_mov_b32 s0, exec_lo
	v_cmpx_eq_u32_e32 0, v0
	s_cbranch_execz .LBB267_10
; %bb.9:
	s_load_dwordx2 s[0:1], s[4:5], 0x38
	s_mul_i32 s2, s22, s7
	s_mul_i32 s4, s18, s8
	s_ashr_i32 s3, s2, 31
	v_mov_b32_e32 v0, 0
	s_lshl_b64 s[2:3], s[2:3], 2
	s_waitcnt lgkmcnt(0)
	s_add_u32 s2, s0, s2
	s_addc_u32 s3, s1, s3
	s_ashr_i32 s5, s4, 31
	s_lshl_b64 s[0:1], s[4:5], 2
	s_add_u32 s2, s2, s0
	s_addc_u32 s3, s3, s1
	s_ashr_i32 s7, s6, 31
	s_lshl_b64 s[0:1], s[6:7], 2
	s_add_u32 s0, s2, s0
	s_addc_u32 s1, s3, s1
	global_store_dword v0, v2, s[0:1]
.LBB267_10:
	s_endpgm
	.section	.rodata,"a",@progbits
	.p2align	6, 0x0
	.amdhsa_kernel _ZL13mul_mat_vec_fI14__hip_bfloat16fLi1ELi64ELb0ELb1EEvPKT_PKfPKi31ggml_cuda_mm_fusion_args_devicePfi15HIP_vector_typeIjLj3EEiiiSB_iiiSB_iiii
		.amdhsa_group_segment_fixed_size 0
		.amdhsa_private_segment_fixed_size 0
		.amdhsa_kernarg_size 144
		.amdhsa_user_sgpr_count 6
		.amdhsa_user_sgpr_private_segment_buffer 1
		.amdhsa_user_sgpr_dispatch_ptr 0
		.amdhsa_user_sgpr_queue_ptr 0
		.amdhsa_user_sgpr_kernarg_segment_ptr 1
		.amdhsa_user_sgpr_dispatch_id 0
		.amdhsa_user_sgpr_flat_scratch_init 0
		.amdhsa_user_sgpr_private_segment_size 0
		.amdhsa_wavefront_size32 1
		.amdhsa_uses_dynamic_stack 0
		.amdhsa_system_sgpr_private_segment_wavefront_offset 0
		.amdhsa_system_sgpr_workgroup_id_x 1
		.amdhsa_system_sgpr_workgroup_id_y 1
		.amdhsa_system_sgpr_workgroup_id_z 1
		.amdhsa_system_sgpr_workgroup_info 0
		.amdhsa_system_vgpr_workitem_id 0
		.amdhsa_next_free_vgpr 12
		.amdhsa_next_free_sgpr 28
		.amdhsa_reserve_vcc 1
		.amdhsa_reserve_flat_scratch 0
		.amdhsa_float_round_mode_32 0
		.amdhsa_float_round_mode_16_64 0
		.amdhsa_float_denorm_mode_32 3
		.amdhsa_float_denorm_mode_16_64 3
		.amdhsa_dx10_clamp 1
		.amdhsa_ieee_mode 1
		.amdhsa_fp16_overflow 0
		.amdhsa_workgroup_processor_mode 1
		.amdhsa_memory_ordered 1
		.amdhsa_forward_progress 1
		.amdhsa_shared_vgpr_count 0
		.amdhsa_exception_fp_ieee_invalid_op 0
		.amdhsa_exception_fp_denorm_src 0
		.amdhsa_exception_fp_ieee_div_zero 0
		.amdhsa_exception_fp_ieee_overflow 0
		.amdhsa_exception_fp_ieee_underflow 0
		.amdhsa_exception_fp_ieee_inexact 0
		.amdhsa_exception_int_div_zero 0
	.end_amdhsa_kernel
	.section	.text._ZL13mul_mat_vec_fI14__hip_bfloat16fLi1ELi64ELb0ELb1EEvPKT_PKfPKi31ggml_cuda_mm_fusion_args_devicePfi15HIP_vector_typeIjLj3EEiiiSB_iiiSB_iiii,"axG",@progbits,_ZL13mul_mat_vec_fI14__hip_bfloat16fLi1ELi64ELb0ELb1EEvPKT_PKfPKi31ggml_cuda_mm_fusion_args_devicePfi15HIP_vector_typeIjLj3EEiiiSB_iiiSB_iiii,comdat
.Lfunc_end267:
	.size	_ZL13mul_mat_vec_fI14__hip_bfloat16fLi1ELi64ELb0ELb1EEvPKT_PKfPKi31ggml_cuda_mm_fusion_args_devicePfi15HIP_vector_typeIjLj3EEiiiSB_iiiSB_iiii, .Lfunc_end267-_ZL13mul_mat_vec_fI14__hip_bfloat16fLi1ELi64ELb0ELb1EEvPKT_PKfPKi31ggml_cuda_mm_fusion_args_devicePfi15HIP_vector_typeIjLj3EEiiiSB_iiiSB_iiii
                                        ; -- End function
	.set _ZL13mul_mat_vec_fI14__hip_bfloat16fLi1ELi64ELb0ELb1EEvPKT_PKfPKi31ggml_cuda_mm_fusion_args_devicePfi15HIP_vector_typeIjLj3EEiiiSB_iiiSB_iiii.num_vgpr, 12
	.set _ZL13mul_mat_vec_fI14__hip_bfloat16fLi1ELi64ELb0ELb1EEvPKT_PKfPKi31ggml_cuda_mm_fusion_args_devicePfi15HIP_vector_typeIjLj3EEiiiSB_iiiSB_iiii.num_agpr, 0
	.set _ZL13mul_mat_vec_fI14__hip_bfloat16fLi1ELi64ELb0ELb1EEvPKT_PKfPKi31ggml_cuda_mm_fusion_args_devicePfi15HIP_vector_typeIjLj3EEiiiSB_iiiSB_iiii.numbered_sgpr, 28
	.set _ZL13mul_mat_vec_fI14__hip_bfloat16fLi1ELi64ELb0ELb1EEvPKT_PKfPKi31ggml_cuda_mm_fusion_args_devicePfi15HIP_vector_typeIjLj3EEiiiSB_iiiSB_iiii.num_named_barrier, 0
	.set _ZL13mul_mat_vec_fI14__hip_bfloat16fLi1ELi64ELb0ELb1EEvPKT_PKfPKi31ggml_cuda_mm_fusion_args_devicePfi15HIP_vector_typeIjLj3EEiiiSB_iiiSB_iiii.private_seg_size, 0
	.set _ZL13mul_mat_vec_fI14__hip_bfloat16fLi1ELi64ELb0ELb1EEvPKT_PKfPKi31ggml_cuda_mm_fusion_args_devicePfi15HIP_vector_typeIjLj3EEiiiSB_iiiSB_iiii.uses_vcc, 1
	.set _ZL13mul_mat_vec_fI14__hip_bfloat16fLi1ELi64ELb0ELb1EEvPKT_PKfPKi31ggml_cuda_mm_fusion_args_devicePfi15HIP_vector_typeIjLj3EEiiiSB_iiiSB_iiii.uses_flat_scratch, 0
	.set _ZL13mul_mat_vec_fI14__hip_bfloat16fLi1ELi64ELb0ELb1EEvPKT_PKfPKi31ggml_cuda_mm_fusion_args_devicePfi15HIP_vector_typeIjLj3EEiiiSB_iiiSB_iiii.has_dyn_sized_stack, 0
	.set _ZL13mul_mat_vec_fI14__hip_bfloat16fLi1ELi64ELb0ELb1EEvPKT_PKfPKi31ggml_cuda_mm_fusion_args_devicePfi15HIP_vector_typeIjLj3EEiiiSB_iiiSB_iiii.has_recursion, 0
	.set _ZL13mul_mat_vec_fI14__hip_bfloat16fLi1ELi64ELb0ELb1EEvPKT_PKfPKi31ggml_cuda_mm_fusion_args_devicePfi15HIP_vector_typeIjLj3EEiiiSB_iiiSB_iiii.has_indirect_call, 0
	.section	.AMDGPU.csdata,"",@progbits
; Kernel info:
; codeLenInByte = 960
; TotalNumSgprs: 30
; NumVgprs: 12
; ScratchSize: 0
; MemoryBound: 0
; FloatMode: 240
; IeeeMode: 1
; LDSByteSize: 0 bytes/workgroup (compile time only)
; SGPRBlocks: 0
; VGPRBlocks: 1
; NumSGPRsForWavesPerEU: 30
; NumVGPRsForWavesPerEU: 12
; Occupancy: 16
; WaveLimiterHint : 1
; COMPUTE_PGM_RSRC2:SCRATCH_EN: 0
; COMPUTE_PGM_RSRC2:USER_SGPR: 6
; COMPUTE_PGM_RSRC2:TRAP_HANDLER: 0
; COMPUTE_PGM_RSRC2:TGID_X_EN: 1
; COMPUTE_PGM_RSRC2:TGID_Y_EN: 1
; COMPUTE_PGM_RSRC2:TGID_Z_EN: 1
; COMPUTE_PGM_RSRC2:TIDIG_COMP_CNT: 0
	.section	.text._ZL13mul_mat_vec_fI14__hip_bfloat16fLi1ELi96ELb1ELb1EEvPKT_PKfPKi31ggml_cuda_mm_fusion_args_devicePfi15HIP_vector_typeIjLj3EEiiiSB_iiiSB_iiii,"axG",@progbits,_ZL13mul_mat_vec_fI14__hip_bfloat16fLi1ELi96ELb1ELb1EEvPKT_PKfPKi31ggml_cuda_mm_fusion_args_devicePfi15HIP_vector_typeIjLj3EEiiiSB_iiiSB_iiii,comdat
	.globl	_ZL13mul_mat_vec_fI14__hip_bfloat16fLi1ELi96ELb1ELb1EEvPKT_PKfPKi31ggml_cuda_mm_fusion_args_devicePfi15HIP_vector_typeIjLj3EEiiiSB_iiiSB_iiii ; -- Begin function _ZL13mul_mat_vec_fI14__hip_bfloat16fLi1ELi96ELb1ELb1EEvPKT_PKfPKi31ggml_cuda_mm_fusion_args_devicePfi15HIP_vector_typeIjLj3EEiiiSB_iiiSB_iiii
	.p2align	8
	.type	_ZL13mul_mat_vec_fI14__hip_bfloat16fLi1ELi96ELb1ELb1EEvPKT_PKfPKi31ggml_cuda_mm_fusion_args_devicePfi15HIP_vector_typeIjLj3EEiiiSB_iiiSB_iiii,@function
_ZL13mul_mat_vec_fI14__hip_bfloat16fLi1ELi96ELb1ELb1EEvPKT_PKfPKi31ggml_cuda_mm_fusion_args_devicePfi15HIP_vector_typeIjLj3EEiiiSB_iiiSB_iiii: ; @_ZL13mul_mat_vec_fI14__hip_bfloat16fLi1ELi96ELb1ELb1EEvPKT_PKfPKi31ggml_cuda_mm_fusion_args_devicePfi15HIP_vector_typeIjLj3EEiiiSB_iiiSB_iiii
; %bb.0:
	s_clause 0x3
	s_load_dword s1, s[4:5], 0x8c
	s_load_dwordx8 s[20:27], s[4:5], 0x0
	s_load_dwordx4 s[36:39], s[4:5], 0x20
	s_load_dwordx8 s[12:19], s[4:5], 0x40
	v_lshl_add_u32 v8, v0, 2, 0
	s_mov_b32 s0, s7
	s_waitcnt lgkmcnt(0)
	s_mul_i32 s1, s1, s8
	s_add_i32 s2, s1, s7
	s_ashr_i32 s3, s2, 31
	s_lshl_b64 s[2:3], s[2:3], 2
	s_add_u32 s10, s24, s2
	s_addc_u32 s11, s25, s3
	s_cmp_lg_u64 s[36:37], 0
	v_cmp_gt_u32_e64 s2, 32, v0
	s_cselect_b32 s1, -1, 0
	s_cmp_eq_u64 s[36:37], 0
	s_cselect_b32 s19, -1, 0
	s_and_saveexec_b32 s3, s2
	s_cbranch_execz .LBB268_3
; %bb.1:
	v_mov_b32_e32 v1, 0
	s_andn2_b32 vcc_lo, exec_lo, s1
	ds_write_b32 v8, v1
	s_cbranch_vccnz .LBB268_3
; %bb.2:
	ds_write_b32 v8, v1 offset:128
.LBB268_3:
	s_or_b32 exec_lo, exec_lo, s3
	s_load_dword s7, s[10:11], 0x0
	s_load_dwordx4 s[28:31], s[4:5], 0x68
	v_mov_b32_e32 v7, 0
	v_mov_b32_e32 v9, 0
	s_mov_b32 s9, exec_lo
	s_waitcnt lgkmcnt(0)
	s_barrier
	buffer_gl0_inv
	v_cmpx_gt_i32_e64 s12, v0
	s_cbranch_execz .LBB268_9
; %bb.4:
	s_mul_hi_u32 s3, s13, s0
	s_mul_i32 s10, s7, s28
	s_add_i32 s3, s0, s3
	s_mul_i32 s11, s16, s6
	s_lshr_b32 s3, s3, s14
	s_ashr_i32 s13, s10, 31
	s_mul_i32 s3, s3, s15
	s_ashr_i32 s14, s11, 31
	s_sub_i32 s3, s0, s3
	s_add_u32 s10, s10, s11
	s_addc_u32 s11, s13, s14
	s_mul_i32 s13, s8, s17
	s_mul_i32 s14, s3, s29
	s_lshl_b32 s16, s13, 1
	s_ashr_i32 s15, s14, 31
	s_ashr_i32 s17, s16, 31
	s_and_b32 s3, s1, exec_lo
	s_cselect_b32 s29, s11, 0
	s_cselect_b32 s28, s10, 0
	v_lshlrev_b32_e32 v5, 2, v0
	s_cselect_b32 s3, s37, 0
	s_cselect_b32 s13, s36, 0
	s_lshl_b64 s[28:29], s[28:29], 1
	v_lshlrev_b32_e32 v3, 3, v0
	s_add_u32 s13, s13, s28
	s_addc_u32 s3, s3, s29
	v_add_co_u32 v1, s13, s13, v5
	s_lshl_b64 s[14:15], s[14:15], 2
	s_lshl_b64 s[16:17], s[16:17], 2
	v_add_co_ci_u32_e64 v2, null, s3, 0, s13
	s_add_u32 s3, s22, s14
	s_addc_u32 s13, s23, s15
	s_add_u32 s3, s3, s16
	s_addc_u32 s13, s13, s17
	v_add_co_u32 v3, s3, s3, v3
	s_lshl_b64 s[10:11], s[10:11], 1
	v_add_co_ci_u32_e64 v4, null, s13, 0, s3
	s_add_u32 s3, s20, s10
	v_add_co_u32 v3, vcc_lo, v3, 4
	s_addc_u32 s10, s21, s11
	v_add_co_u32 v5, s3, s3, v5
	v_mov_b32_e32 v7, 0
	v_add_co_ci_u32_e64 v4, null, 0, v4, vcc_lo
	v_add_co_ci_u32_e64 v6, null, s10, 0, s3
	v_mov_b32_e32 v10, v0
	v_mov_b32_e32 v9, 0
	s_mov_b32 s10, 0
	s_inst_prefetch 0x1
	s_branch .LBB268_6
	.p2align	6
.LBB268_5:                              ;   in Loop: Header=BB268_6 Depth=1
	global_load_dwordx2 v[14:15], v[3:4], off offset:-4
	s_waitcnt vmcnt(1)
	v_lshlrev_b32_e32 v16, 16, v13
	v_add_nc_u32_e32 v10, 0x60, v10
	v_add_co_u32 v1, vcc_lo, 0x180, v1
	v_and_b32_e32 v13, 0xffff0000, v13
	v_add_co_ci_u32_e64 v2, null, 0, v2, vcc_lo
	v_add_co_u32 v3, vcc_lo, 0x300, v3
	v_add_co_ci_u32_e64 v4, null, 0, v4, vcc_lo
	v_cmp_le_i32_e32 vcc_lo, s12, v10
	v_add_co_u32 v5, s3, 0x180, v5
	v_add_co_ci_u32_e64 v6, null, 0, v6, s3
	s_or_b32 s10, vcc_lo, s10
	s_waitcnt vmcnt(0)
	v_fma_f32 v12, v12, v14, v7
	v_fmac_f32_e32 v9, v14, v16
	v_fmac_f32_e32 v12, v11, v15
	;; [unrolled: 1-line block ×3, first 2 shown]
	v_cndmask_b32_e64 v7, v7, v12, s1
	s_andn2_b32 exec_lo, exec_lo, s10
	s_cbranch_execz .LBB268_8
.LBB268_6:                              ; =>This Inner Loop Header: Depth=1
	global_load_dword v13, v[5:6], off
	v_mov_b32_e32 v11, 0
	v_mov_b32_e32 v12, 0
	s_andn2_b32 vcc_lo, exec_lo, s1
	s_cbranch_vccnz .LBB268_5
; %bb.7:                                ;   in Loop: Header=BB268_6 Depth=1
	global_load_dword v11, v[1:2], off
	s_waitcnt vmcnt(0)
	v_lshlrev_b32_e32 v12, 16, v11
	v_and_b32_e32 v11, 0xffff0000, v11
	s_branch .LBB268_5
.LBB268_8:
	s_inst_prefetch 0x2
	s_or_b32 exec_lo, exec_lo, s10
.LBB268_9:
	s_or_b32 exec_lo, exec_lo, s9
	v_mbcnt_lo_u32_b32 v1, -1, 0
	s_load_dword s9, s[4:5], 0x30
	s_mov_b32 s3, -1
	v_xor_b32_e32 v2, 16, v1
	v_xor_b32_e32 v3, 8, v1
	v_cmp_gt_i32_e32 vcc_lo, 32, v2
	v_cndmask_b32_e32 v2, v1, v2, vcc_lo
	v_cmp_gt_i32_e32 vcc_lo, 32, v3
	v_lshlrev_b32_e32 v2, 2, v2
	v_cndmask_b32_e32 v3, v1, v3, vcc_lo
	ds_bpermute_b32 v4, v2, v9
	v_lshlrev_b32_e32 v3, 2, v3
	s_waitcnt lgkmcnt(0)
	v_add_f32_e32 v5, v9, v4
	v_xor_b32_e32 v4, 4, v1
	ds_bpermute_b32 v6, v3, v5
	v_cmp_gt_i32_e32 vcc_lo, 32, v4
	v_cndmask_b32_e32 v4, v1, v4, vcc_lo
	v_lshlrev_b32_e32 v4, 2, v4
	s_waitcnt lgkmcnt(0)
	v_add_f32_e32 v6, v5, v6
	v_xor_b32_e32 v5, 2, v1
	ds_bpermute_b32 v9, v4, v6
	v_cmp_gt_i32_e32 vcc_lo, 32, v5
	v_cndmask_b32_e32 v5, v1, v5, vcc_lo
	;; [unrolled: 7-line block ×3, first 2 shown]
	s_and_b32 vcc_lo, exec_lo, s19
	v_lshlrev_b32_e32 v6, 2, v1
	s_waitcnt lgkmcnt(0)
	v_add_f32_e32 v1, v9, v10
	v_lshrrev_b32_e32 v10, 5, v0
	ds_bpermute_b32 v9, v6, v1
	s_waitcnt lgkmcnt(0)
	v_add_f32_e32 v1, v1, v9
	v_lshl_add_u32 v9, v10, 2, 0
	s_cbranch_vccz .LBB268_11
; %bb.10:
	s_mov_b32 s3, 0
	ds_write_b32 v9, v1
.LBB268_11:
	s_andn2_b32 vcc_lo, exec_lo, s3
	s_cbranch_vccnz .LBB268_13
; %bb.12:
	ds_bpermute_b32 v10, v2, v7
	s_waitcnt lgkmcnt(0)
	v_add_f32_e32 v7, v7, v10
	ds_bpermute_b32 v10, v3, v7
	s_waitcnt lgkmcnt(0)
	v_add_f32_e32 v7, v7, v10
	;; [unrolled: 3-line block ×5, first 2 shown]
	ds_write2_b32 v9, v1, v7 offset1:32
.LBB268_13:
	s_waitcnt lgkmcnt(0)
	s_barrier
	buffer_gl0_inv
	s_and_saveexec_b32 s3, s2
	s_cbranch_execz .LBB268_17
; %bb.14:
	ds_read_b32 v1, v8
	s_andn2_b32 vcc_lo, exec_lo, s1
	s_waitcnt lgkmcnt(0)
	ds_bpermute_b32 v9, v2, v1
	s_waitcnt lgkmcnt(0)
	v_add_f32_e32 v1, v1, v9
	ds_bpermute_b32 v9, v3, v1
	s_waitcnt lgkmcnt(0)
	v_add_f32_e32 v1, v1, v9
	;; [unrolled: 3-line block ×4, first 2 shown]
	ds_bpermute_b32 v9, v6, v1
	s_cbranch_vccnz .LBB268_16
; %bb.15:
	ds_read_b32 v7, v8 offset:128
	s_waitcnt lgkmcnt(0)
	ds_bpermute_b32 v2, v2, v7
	s_waitcnt lgkmcnt(0)
	v_add_f32_e32 v2, v7, v2
	ds_bpermute_b32 v3, v3, v2
	s_waitcnt lgkmcnt(0)
	v_add_f32_e32 v2, v2, v3
	;; [unrolled: 3-line block ×5, first 2 shown]
.LBB268_16:
	s_waitcnt lgkmcnt(0)
	v_add_f32_e32 v1, v1, v9
.LBB268_17:
	s_or_b32 exec_lo, exec_lo, s3
	s_barrier
	buffer_gl0_inv
	s_mov_b32 s2, exec_lo
	v_cmpx_eq_u32_e32 0, v0
	s_cbranch_execz .LBB268_41
; %bb.18:
	s_cmp_eq_u64 s[26:27], 0
	s_cselect_b32 s10, -1, 0
	s_cmp_eq_u64 s[24:25], 0
	s_cselect_b32 s2, s0, s7
	s_mul_i32 s2, s2, s30
	s_ashr_i32 s3, s2, 31
	s_and_b32 vcc_lo, exec_lo, s10
	s_cbranch_vccnz .LBB268_20
; %bb.19:
	s_cselect_b32 s7, 0, s27
	s_cselect_b32 s12, 0, s26
	s_lshl_b64 s[10:11], s[2:3], 2
	s_add_u32 s12, s12, s10
	s_addc_u32 s13, s7, s11
	s_ashr_i32 s7, s6, 31
	s_lshl_b64 s[10:11], s[6:7], 2
	s_add_u32 s10, s12, s10
	s_addc_u32 s11, s13, s11
	s_load_dword s7, s[10:11], 0x0
	s_waitcnt lgkmcnt(0)
	v_add_f32_e32 v1, s7, v1
.LBB268_20:
	s_andn2_b32 vcc_lo, exec_lo, s1
	s_cbranch_vccnz .LBB268_40
; %bb.21:
	s_cmp_lg_u64 s[38:39], 0
	s_cselect_b32 s7, -1, 0
	s_and_b32 s1, s7, s1
	s_andn2_b32 vcc_lo, exec_lo, s1
	s_cbranch_vccnz .LBB268_23
; %bb.22:
	s_and_b32 s7, s7, exec_lo
	s_cselect_b32 s7, s39, 0
	s_cselect_b32 s10, s38, 0
	s_and_b32 s1, s1, exec_lo
	s_cselect_b32 s3, s3, 0
	s_cselect_b32 s2, s2, 0
	s_lshl_b64 s[2:3], s[2:3], 2
	s_add_u32 s1, s10, s2
	s_addc_u32 s10, s7, s3
	s_ashr_i32 s7, s6, 31
	s_lshl_b64 s[2:3], s[6:7], 2
	s_add_u32 s2, s1, s2
	s_addc_u32 s3, s10, s3
	s_load_dword s1, s[2:3], 0x0
	s_waitcnt lgkmcnt(0)
	v_add_f32_e32 v7, s1, v7
.LBB268_23:
	s_cmp_lt_i32 s9, 2
	s_cbranch_scc1 .LBB268_28
; %bb.24:
	s_cmp_lt_i32 s9, 3
	s_cbranch_scc1 .LBB268_29
; %bb.25:
	v_mov_b32_e32 v0, v1
	s_cmp_eq_u32 s9, 3
	s_cbranch_scc0 .LBB268_27
; %bb.26:
	v_max_f32_e32 v0, v7, v7
	v_min_f32_e32 v0, 0x40e00000, v0
	v_mul_f32_e32 v2, 0xbfd9db23, v0
	v_mul_f32_e32 v3, 0x3fb8aa3b, v2
	v_cmp_ngt_f32_e32 vcc_lo, 0xc2ce8ed0, v2
	v_fma_f32 v4, 0x3fb8aa3b, v2, -v3
	v_rndne_f32_e32 v5, v3
	v_fmamk_f32 v4, v2, 0x32a5705f, v4
	v_sub_f32_e32 v3, v3, v5
	v_add_f32_e32 v3, v3, v4
	v_cvt_i32_f32_e32 v4, v5
	v_exp_f32_e32 v3, v3
	v_ldexp_f32 v3, v3, v4
	v_cndmask_b32_e32 v3, 0, v3, vcc_lo
	v_cmp_nlt_f32_e32 vcc_lo, 0x42b17218, v2
	v_cndmask_b32_e32 v2, 0x7f800000, v3, vcc_lo
	v_add_f32_e32 v2, 1.0, v2
	v_div_scale_f32 v3, null, v2, v2, v0
	v_div_scale_f32 v6, vcc_lo, v0, v2, v0
	v_rcp_f32_e32 v4, v3
	v_fma_f32 v5, -v3, v4, 1.0
	v_fmac_f32_e32 v4, v5, v4
	v_mul_f32_e32 v5, v6, v4
	v_fma_f32 v8, -v3, v5, v6
	v_fmac_f32_e32 v5, v8, v4
	v_max_f32_e32 v8, v1, v1
	v_fma_f32 v3, -v3, v5, v6
	v_min_f32_e32 v6, 0x40e00000, v8
	v_div_fmas_f32 v3, v3, v4, v5
	v_max_f32_e32 v4, 0xc0e00000, v6
	v_div_fixup_f32 v0, v3, v2, v0
	v_add_f32_e32 v2, 1.0, v4
	v_mul_f32_e32 v0, v2, v0
.LBB268_27:
	s_cbranch_execz .LBB268_30
	s_branch .LBB268_31
.LBB268_28:
                                        ; implicit-def: $vgpr0
	s_branch .LBB268_32
.LBB268_29:
                                        ; implicit-def: $vgpr0
.LBB268_30:
	v_mul_f32_e32 v0, 0xbfb8aa3b, v7
	v_cmp_nlt_f32_e32 vcc_lo, 0x42ce8ed0, v7
	v_rndne_f32_e32 v2, v0
	v_fma_f32 v3, 0xbfb8aa3b, v7, -v0
	v_sub_f32_e32 v0, v0, v2
	v_fmamk_f32 v3, v7, 0xb2a5705f, v3
	v_cvt_i32_f32_e32 v2, v2
	v_add_f32_e32 v0, v0, v3
	v_exp_f32_e32 v0, v0
	v_ldexp_f32 v0, v0, v2
	v_cndmask_b32_e32 v0, 0, v0, vcc_lo
	v_cmp_ngt_f32_e32 vcc_lo, 0xc2b17218, v7
	v_cndmask_b32_e32 v0, 0x7f800000, v0, vcc_lo
	v_add_f32_e32 v0, 1.0, v0
	v_div_scale_f32 v2, null, v0, v0, v7
	v_rcp_f32_e32 v3, v2
	v_fma_f32 v4, -v2, v3, 1.0
	v_fmac_f32_e32 v3, v4, v3
	v_div_scale_f32 v4, vcc_lo, v7, v0, v7
	v_mul_f32_e32 v5, v4, v3
	v_fma_f32 v6, -v2, v5, v4
	v_fmac_f32_e32 v5, v6, v3
	v_fma_f32 v2, -v2, v5, v4
	v_div_fmas_f32 v2, v2, v3, v5
	v_div_fixup_f32 v0, v2, v0, v7
	v_mul_f32_e32 v0, v1, v0
.LBB268_31:
	s_cbranch_execnz .LBB268_39
.LBB268_32:
	s_cmp_eq_u32 s9, 1
	s_cbranch_scc0 .LBB268_38
; %bb.33:
	v_mul_f32_e32 v0, 0x3d372713, v7
	v_mul_f32_e32 v2, 0x3f4c422a, v7
	v_fma_f32 v0, v7, v0, 1.0
	v_mul_f32_e32 v0, v2, v0
                                        ; implicit-def: $vgpr2
	v_cmp_ngt_f32_e64 s1, 0x3f200000, |v0|
	s_and_saveexec_b32 s2, s1
	s_xor_b32 s1, exec_lo, s2
	s_cbranch_execz .LBB268_35
; %bb.34:
	v_add_f32_e64 v2, |v0|, |v0|
	v_mul_f32_e32 v3, 0x3fb8aa3b, v2
	v_cmp_ngt_f32_e32 vcc_lo, 0xc2ce8ed0, v2
	v_rndne_f32_e32 v4, v3
	v_fma_f32 v5, 0x3fb8aa3b, v2, -v3
	v_sub_f32_e32 v3, v3, v4
	v_fmamk_f32 v5, v2, 0x32a5705f, v5
	v_cvt_i32_f32_e32 v4, v4
	v_add_f32_e32 v3, v3, v5
	v_exp_f32_e32 v3, v3
	v_ldexp_f32 v3, v3, v4
	v_cndmask_b32_e32 v3, 0, v3, vcc_lo
	v_cmp_nlt_f32_e32 vcc_lo, 0x42b17218, v2
	v_cndmask_b32_e32 v2, 0x7f800000, v3, vcc_lo
	v_add_f32_e32 v2, 1.0, v2
	v_rcp_f32_e32 v2, v2
	v_fma_f32 v2, v2, -2.0, 1.0
.LBB268_35:
	s_andn2_saveexec_b32 s1, s1
	s_cbranch_execz .LBB268_37
; %bb.36:
	v_mul_f32_e32 v2, v0, v0
	s_mov_b32 s2, 0xbbbac73d
	v_fmaak_f32 v3, s2, v2, 0x3ca908c9
	v_fmaak_f32 v3, v2, v3, 0xbd5c1c4e
	;; [unrolled: 1-line block ×4, first 2 shown]
	v_mul_f32_e64 v3, |v0|, v3
	v_fma_f32 v2, v2, v3, |v0|
.LBB268_37:
	s_or_b32 exec_lo, exec_lo, s1
	v_bfi_b32 v0, 0x7fffffff, v2, v0
	v_mul_f32_e32 v2, 0.5, v7
	v_add_f32_e32 v0, 1.0, v0
	v_mul_f32_e32 v0, v2, v0
	v_mul_f32_e32 v1, v1, v0
.LBB268_38:
	v_mov_b32_e32 v0, v1
.LBB268_39:
	v_mov_b32_e32 v1, v0
.LBB268_40:
	s_load_dwordx2 s[2:3], s[4:5], 0x38
	s_mul_i32 s0, s30, s0
	s_mul_i32 s4, s18, s8
	s_ashr_i32 s1, s0, 31
	v_mov_b32_e32 v0, 0
	s_lshl_b64 s[0:1], s[0:1], 2
	s_waitcnt lgkmcnt(0)
	s_add_u32 s2, s2, s0
	s_addc_u32 s3, s3, s1
	s_ashr_i32 s5, s4, 31
	s_lshl_b64 s[0:1], s[4:5], 2
	s_add_u32 s2, s2, s0
	s_addc_u32 s3, s3, s1
	s_ashr_i32 s7, s6, 31
	s_lshl_b64 s[0:1], s[6:7], 2
	s_add_u32 s0, s2, s0
	s_addc_u32 s1, s3, s1
	global_store_dword v0, v1, s[0:1]
.LBB268_41:
	s_endpgm
	.section	.rodata,"a",@progbits
	.p2align	6, 0x0
	.amdhsa_kernel _ZL13mul_mat_vec_fI14__hip_bfloat16fLi1ELi96ELb1ELb1EEvPKT_PKfPKi31ggml_cuda_mm_fusion_args_devicePfi15HIP_vector_typeIjLj3EEiiiSB_iiiSB_iiii
		.amdhsa_group_segment_fixed_size 0
		.amdhsa_private_segment_fixed_size 0
		.amdhsa_kernarg_size 144
		.amdhsa_user_sgpr_count 6
		.amdhsa_user_sgpr_private_segment_buffer 1
		.amdhsa_user_sgpr_dispatch_ptr 0
		.amdhsa_user_sgpr_queue_ptr 0
		.amdhsa_user_sgpr_kernarg_segment_ptr 1
		.amdhsa_user_sgpr_dispatch_id 0
		.amdhsa_user_sgpr_flat_scratch_init 0
		.amdhsa_user_sgpr_private_segment_size 0
		.amdhsa_wavefront_size32 1
		.amdhsa_uses_dynamic_stack 0
		.amdhsa_system_sgpr_private_segment_wavefront_offset 0
		.amdhsa_system_sgpr_workgroup_id_x 1
		.amdhsa_system_sgpr_workgroup_id_y 1
		.amdhsa_system_sgpr_workgroup_id_z 1
		.amdhsa_system_sgpr_workgroup_info 0
		.amdhsa_system_vgpr_workitem_id 0
		.amdhsa_next_free_vgpr 17
		.amdhsa_next_free_sgpr 40
		.amdhsa_reserve_vcc 1
		.amdhsa_reserve_flat_scratch 0
		.amdhsa_float_round_mode_32 0
		.amdhsa_float_round_mode_16_64 0
		.amdhsa_float_denorm_mode_32 3
		.amdhsa_float_denorm_mode_16_64 3
		.amdhsa_dx10_clamp 1
		.amdhsa_ieee_mode 1
		.amdhsa_fp16_overflow 0
		.amdhsa_workgroup_processor_mode 1
		.amdhsa_memory_ordered 1
		.amdhsa_forward_progress 1
		.amdhsa_shared_vgpr_count 0
		.amdhsa_exception_fp_ieee_invalid_op 0
		.amdhsa_exception_fp_denorm_src 0
		.amdhsa_exception_fp_ieee_div_zero 0
		.amdhsa_exception_fp_ieee_overflow 0
		.amdhsa_exception_fp_ieee_underflow 0
		.amdhsa_exception_fp_ieee_inexact 0
		.amdhsa_exception_int_div_zero 0
	.end_amdhsa_kernel
	.section	.text._ZL13mul_mat_vec_fI14__hip_bfloat16fLi1ELi96ELb1ELb1EEvPKT_PKfPKi31ggml_cuda_mm_fusion_args_devicePfi15HIP_vector_typeIjLj3EEiiiSB_iiiSB_iiii,"axG",@progbits,_ZL13mul_mat_vec_fI14__hip_bfloat16fLi1ELi96ELb1ELb1EEvPKT_PKfPKi31ggml_cuda_mm_fusion_args_devicePfi15HIP_vector_typeIjLj3EEiiiSB_iiiSB_iiii,comdat
.Lfunc_end268:
	.size	_ZL13mul_mat_vec_fI14__hip_bfloat16fLi1ELi96ELb1ELb1EEvPKT_PKfPKi31ggml_cuda_mm_fusion_args_devicePfi15HIP_vector_typeIjLj3EEiiiSB_iiiSB_iiii, .Lfunc_end268-_ZL13mul_mat_vec_fI14__hip_bfloat16fLi1ELi96ELb1ELb1EEvPKT_PKfPKi31ggml_cuda_mm_fusion_args_devicePfi15HIP_vector_typeIjLj3EEiiiSB_iiiSB_iiii
                                        ; -- End function
	.set _ZL13mul_mat_vec_fI14__hip_bfloat16fLi1ELi96ELb1ELb1EEvPKT_PKfPKi31ggml_cuda_mm_fusion_args_devicePfi15HIP_vector_typeIjLj3EEiiiSB_iiiSB_iiii.num_vgpr, 17
	.set _ZL13mul_mat_vec_fI14__hip_bfloat16fLi1ELi96ELb1ELb1EEvPKT_PKfPKi31ggml_cuda_mm_fusion_args_devicePfi15HIP_vector_typeIjLj3EEiiiSB_iiiSB_iiii.num_agpr, 0
	.set _ZL13mul_mat_vec_fI14__hip_bfloat16fLi1ELi96ELb1ELb1EEvPKT_PKfPKi31ggml_cuda_mm_fusion_args_devicePfi15HIP_vector_typeIjLj3EEiiiSB_iiiSB_iiii.numbered_sgpr, 40
	.set _ZL13mul_mat_vec_fI14__hip_bfloat16fLi1ELi96ELb1ELb1EEvPKT_PKfPKi31ggml_cuda_mm_fusion_args_devicePfi15HIP_vector_typeIjLj3EEiiiSB_iiiSB_iiii.num_named_barrier, 0
	.set _ZL13mul_mat_vec_fI14__hip_bfloat16fLi1ELi96ELb1ELb1EEvPKT_PKfPKi31ggml_cuda_mm_fusion_args_devicePfi15HIP_vector_typeIjLj3EEiiiSB_iiiSB_iiii.private_seg_size, 0
	.set _ZL13mul_mat_vec_fI14__hip_bfloat16fLi1ELi96ELb1ELb1EEvPKT_PKfPKi31ggml_cuda_mm_fusion_args_devicePfi15HIP_vector_typeIjLj3EEiiiSB_iiiSB_iiii.uses_vcc, 1
	.set _ZL13mul_mat_vec_fI14__hip_bfloat16fLi1ELi96ELb1ELb1EEvPKT_PKfPKi31ggml_cuda_mm_fusion_args_devicePfi15HIP_vector_typeIjLj3EEiiiSB_iiiSB_iiii.uses_flat_scratch, 0
	.set _ZL13mul_mat_vec_fI14__hip_bfloat16fLi1ELi96ELb1ELb1EEvPKT_PKfPKi31ggml_cuda_mm_fusion_args_devicePfi15HIP_vector_typeIjLj3EEiiiSB_iiiSB_iiii.has_dyn_sized_stack, 0
	.set _ZL13mul_mat_vec_fI14__hip_bfloat16fLi1ELi96ELb1ELb1EEvPKT_PKfPKi31ggml_cuda_mm_fusion_args_devicePfi15HIP_vector_typeIjLj3EEiiiSB_iiiSB_iiii.has_recursion, 0
	.set _ZL13mul_mat_vec_fI14__hip_bfloat16fLi1ELi96ELb1ELb1EEvPKT_PKfPKi31ggml_cuda_mm_fusion_args_devicePfi15HIP_vector_typeIjLj3EEiiiSB_iiiSB_iiii.has_indirect_call, 0
	.section	.AMDGPU.csdata,"",@progbits
; Kernel info:
; codeLenInByte = 2160
; TotalNumSgprs: 42
; NumVgprs: 17
; ScratchSize: 0
; MemoryBound: 0
; FloatMode: 240
; IeeeMode: 1
; LDSByteSize: 0 bytes/workgroup (compile time only)
; SGPRBlocks: 0
; VGPRBlocks: 2
; NumSGPRsForWavesPerEU: 42
; NumVGPRsForWavesPerEU: 17
; Occupancy: 16
; WaveLimiterHint : 1
; COMPUTE_PGM_RSRC2:SCRATCH_EN: 0
; COMPUTE_PGM_RSRC2:USER_SGPR: 6
; COMPUTE_PGM_RSRC2:TRAP_HANDLER: 0
; COMPUTE_PGM_RSRC2:TGID_X_EN: 1
; COMPUTE_PGM_RSRC2:TGID_Y_EN: 1
; COMPUTE_PGM_RSRC2:TGID_Z_EN: 1
; COMPUTE_PGM_RSRC2:TIDIG_COMP_CNT: 0
	.section	.text._ZL13mul_mat_vec_fI14__hip_bfloat16fLi1ELi96ELb0ELb1EEvPKT_PKfPKi31ggml_cuda_mm_fusion_args_devicePfi15HIP_vector_typeIjLj3EEiiiSB_iiiSB_iiii,"axG",@progbits,_ZL13mul_mat_vec_fI14__hip_bfloat16fLi1ELi96ELb0ELb1EEvPKT_PKfPKi31ggml_cuda_mm_fusion_args_devicePfi15HIP_vector_typeIjLj3EEiiiSB_iiiSB_iiii,comdat
	.globl	_ZL13mul_mat_vec_fI14__hip_bfloat16fLi1ELi96ELb0ELb1EEvPKT_PKfPKi31ggml_cuda_mm_fusion_args_devicePfi15HIP_vector_typeIjLj3EEiiiSB_iiiSB_iiii ; -- Begin function _ZL13mul_mat_vec_fI14__hip_bfloat16fLi1ELi96ELb0ELb1EEvPKT_PKfPKi31ggml_cuda_mm_fusion_args_devicePfi15HIP_vector_typeIjLj3EEiiiSB_iiiSB_iiii
	.p2align	8
	.type	_ZL13mul_mat_vec_fI14__hip_bfloat16fLi1ELi96ELb0ELb1EEvPKT_PKfPKi31ggml_cuda_mm_fusion_args_devicePfi15HIP_vector_typeIjLj3EEiiiSB_iiiSB_iiii,@function
_ZL13mul_mat_vec_fI14__hip_bfloat16fLi1ELi96ELb0ELb1EEvPKT_PKfPKi31ggml_cuda_mm_fusion_args_devicePfi15HIP_vector_typeIjLj3EEiiiSB_iiiSB_iiii: ; @_ZL13mul_mat_vec_fI14__hip_bfloat16fLi1ELi96ELb0ELb1EEvPKT_PKfPKi31ggml_cuda_mm_fusion_args_devicePfi15HIP_vector_typeIjLj3EEiiiSB_iiiSB_iiii
; %bb.0:
	s_clause 0x2
	s_load_dword s2, s[4:5], 0x8c
	s_load_dwordx2 s[0:1], s[4:5], 0x10
	s_load_dwordx8 s[12:19], s[4:5], 0x40
	v_cmp_gt_u32_e32 vcc_lo, 32, v0
	v_lshl_add_u32 v5, v0, 2, 0
	s_waitcnt lgkmcnt(0)
	s_mul_i32 s2, s2, s8
	s_add_i32 s2, s2, s7
	s_ashr_i32 s3, s2, 31
	s_lshl_b64 s[2:3], s[2:3], 2
	s_add_u32 s2, s0, s2
	s_addc_u32 s3, s1, s3
	s_and_saveexec_b32 s0, vcc_lo
; %bb.1:
	v_mov_b32_e32 v1, 0
	ds_write_b32 v5, v1
; %bb.2:
	s_or_b32 exec_lo, exec_lo, s0
	s_load_dwordx4 s[20:23], s[4:5], 0x68
	v_mov_b32_e32 v6, 0
	s_mov_b32 s9, exec_lo
	s_waitcnt lgkmcnt(0)
	s_barrier
	buffer_gl0_inv
	v_cmpx_gt_i32_e64 s12, v0
	s_cbranch_execz .LBB269_6
; %bb.3:
	s_load_dword s19, s[2:3], 0x0
	s_load_dwordx4 s[24:27], s[4:5], 0x0
	s_mul_hi_u32 s0, s13, s7
	s_mul_i32 s1, s8, s17
	s_add_i32 s0, s7, s0
	s_mul_i32 s2, s16, s6
	s_lshr_b32 s0, s0, s14
	v_lshlrev_b32_e32 v1, 3, v0
	s_mul_i32 s10, s0, s15
	s_lshl_b32 s0, s1, 1
	s_sub_i32 s10, s7, s10
	s_ashr_i32 s1, s0, 31
	s_mul_i32 s10, s10, s21
	s_ashr_i32 s3, s2, 31
	s_ashr_i32 s11, s10, 31
	s_lshl_b64 s[0:1], s[0:1], 2
	s_lshl_b64 s[10:11], s[10:11], 2
	v_lshlrev_b32_e32 v3, 2, v0
	v_mov_b32_e32 v6, 0
	v_mov_b32_e32 v7, v0
	s_waitcnt lgkmcnt(0)
	s_mul_i32 s14, s19, s20
	s_ashr_i32 s15, s14, 31
	s_add_u32 s10, s26, s10
	s_addc_u32 s11, s27, s11
	s_add_u32 s0, s10, s0
	s_addc_u32 s1, s11, s1
	v_add_co_u32 v1, s0, s0, v1
	v_add_co_ci_u32_e64 v2, null, s1, 0, s0
	s_lshl_b64 s[10:11], s[14:15], 1
	v_add_co_u32 v1, s0, v1, 4
	v_add_co_ci_u32_e64 v2, null, 0, v2, s0
	s_lshl_b64 s[0:1], s[2:3], 1
	s_add_u32 s2, s24, s10
	s_addc_u32 s3, s25, s11
	s_add_u32 s0, s2, s0
	s_addc_u32 s1, s3, s1
	v_add_co_u32 v3, s0, s0, v3
	v_add_co_ci_u32_e64 v4, null, s1, 0, s0
	s_mov_b32 s2, 0
	.p2align	6
.LBB269_4:                              ; =>This Inner Loop Header: Depth=1
	global_load_dword v10, v[3:4], off
	global_load_dwordx2 v[8:9], v[1:2], off offset:-4
	v_add_nc_u32_e32 v7, 0x60, v7
	v_add_co_u32 v1, s0, 0x300, v1
	v_add_co_ci_u32_e64 v2, null, 0, v2, s0
	v_add_co_u32 v3, s0, 0x180, v3
	v_cmp_le_i32_e64 s1, s12, v7
	v_add_co_ci_u32_e64 v4, null, 0, v4, s0
	s_or_b32 s2, s1, s2
	s_waitcnt vmcnt(1)
	v_lshlrev_b32_e32 v11, 16, v10
	v_and_b32_e32 v10, 0xffff0000, v10
	s_waitcnt vmcnt(0)
	v_fmac_f32_e32 v6, v8, v11
	v_fmac_f32_e32 v6, v9, v10
	s_andn2_b32 exec_lo, exec_lo, s2
	s_cbranch_execnz .LBB269_4
; %bb.5:
	s_or_b32 exec_lo, exec_lo, s2
.LBB269_6:
	s_or_b32 exec_lo, exec_lo, s9
	v_mbcnt_lo_u32_b32 v2, -1, 0
	v_xor_b32_e32 v1, 16, v2
	v_xor_b32_e32 v3, 8, v2
	v_cmp_gt_i32_e64 s0, 32, v1
	v_cndmask_b32_e64 v1, v2, v1, s0
	v_cmp_gt_i32_e64 s0, 32, v3
	v_lshlrev_b32_e32 v1, 2, v1
	v_cndmask_b32_e64 v3, v2, v3, s0
	ds_bpermute_b32 v4, v1, v6
	v_lshlrev_b32_e32 v3, 2, v3
	s_waitcnt lgkmcnt(0)
	v_add_f32_e32 v6, v6, v4
	v_xor_b32_e32 v4, 4, v2
	ds_bpermute_b32 v7, v3, v6
	v_cmp_gt_i32_e64 s0, 32, v4
	v_cndmask_b32_e64 v4, v2, v4, s0
	v_lshlrev_b32_e32 v4, 2, v4
	s_waitcnt lgkmcnt(0)
	v_add_f32_e32 v7, v6, v7
	v_xor_b32_e32 v6, 2, v2
	ds_bpermute_b32 v8, v4, v7
	v_cmp_gt_i32_e64 s0, 32, v6
	v_cndmask_b32_e64 v6, v2, v6, s0
	;; [unrolled: 7-line block ×3, first 2 shown]
	v_lshlrev_b32_e32 v7, 2, v2
	s_waitcnt lgkmcnt(0)
	v_add_f32_e32 v2, v8, v9
	v_lshrrev_b32_e32 v9, 3, v0
	ds_bpermute_b32 v8, v7, v2
	v_and_b32_e32 v9, 0x7c, v9
	v_add_nc_u32_e32 v9, 0, v9
	s_waitcnt lgkmcnt(0)
	v_add_f32_e32 v2, v2, v8
	ds_write_b32 v9, v2
	s_waitcnt lgkmcnt(0)
	s_barrier
	buffer_gl0_inv
	s_and_saveexec_b32 s0, vcc_lo
	s_cbranch_execz .LBB269_8
; %bb.7:
	ds_read_b32 v2, v5
	s_waitcnt lgkmcnt(0)
	ds_bpermute_b32 v1, v1, v2
	s_waitcnt lgkmcnt(0)
	v_add_f32_e32 v1, v2, v1
	ds_bpermute_b32 v2, v3, v1
	s_waitcnt lgkmcnt(0)
	v_add_f32_e32 v1, v1, v2
	;; [unrolled: 3-line block ×5, first 2 shown]
.LBB269_8:
	s_or_b32 exec_lo, exec_lo, s0
	s_barrier
	buffer_gl0_inv
	s_mov_b32 s0, exec_lo
	v_cmpx_eq_u32_e32 0, v0
	s_cbranch_execz .LBB269_10
; %bb.9:
	s_load_dwordx2 s[0:1], s[4:5], 0x38
	s_mul_i32 s2, s22, s7
	s_mul_i32 s4, s18, s8
	s_ashr_i32 s3, s2, 31
	v_mov_b32_e32 v0, 0
	s_lshl_b64 s[2:3], s[2:3], 2
	s_waitcnt lgkmcnt(0)
	s_add_u32 s2, s0, s2
	s_addc_u32 s3, s1, s3
	s_ashr_i32 s5, s4, 31
	s_lshl_b64 s[0:1], s[4:5], 2
	s_add_u32 s2, s2, s0
	s_addc_u32 s3, s3, s1
	s_ashr_i32 s7, s6, 31
	s_lshl_b64 s[0:1], s[6:7], 2
	s_add_u32 s0, s2, s0
	s_addc_u32 s1, s3, s1
	global_store_dword v0, v2, s[0:1]
.LBB269_10:
	s_endpgm
	.section	.rodata,"a",@progbits
	.p2align	6, 0x0
	.amdhsa_kernel _ZL13mul_mat_vec_fI14__hip_bfloat16fLi1ELi96ELb0ELb1EEvPKT_PKfPKi31ggml_cuda_mm_fusion_args_devicePfi15HIP_vector_typeIjLj3EEiiiSB_iiiSB_iiii
		.amdhsa_group_segment_fixed_size 0
		.amdhsa_private_segment_fixed_size 0
		.amdhsa_kernarg_size 144
		.amdhsa_user_sgpr_count 6
		.amdhsa_user_sgpr_private_segment_buffer 1
		.amdhsa_user_sgpr_dispatch_ptr 0
		.amdhsa_user_sgpr_queue_ptr 0
		.amdhsa_user_sgpr_kernarg_segment_ptr 1
		.amdhsa_user_sgpr_dispatch_id 0
		.amdhsa_user_sgpr_flat_scratch_init 0
		.amdhsa_user_sgpr_private_segment_size 0
		.amdhsa_wavefront_size32 1
		.amdhsa_uses_dynamic_stack 0
		.amdhsa_system_sgpr_private_segment_wavefront_offset 0
		.amdhsa_system_sgpr_workgroup_id_x 1
		.amdhsa_system_sgpr_workgroup_id_y 1
		.amdhsa_system_sgpr_workgroup_id_z 1
		.amdhsa_system_sgpr_workgroup_info 0
		.amdhsa_system_vgpr_workitem_id 0
		.amdhsa_next_free_vgpr 12
		.amdhsa_next_free_sgpr 28
		.amdhsa_reserve_vcc 1
		.amdhsa_reserve_flat_scratch 0
		.amdhsa_float_round_mode_32 0
		.amdhsa_float_round_mode_16_64 0
		.amdhsa_float_denorm_mode_32 3
		.amdhsa_float_denorm_mode_16_64 3
		.amdhsa_dx10_clamp 1
		.amdhsa_ieee_mode 1
		.amdhsa_fp16_overflow 0
		.amdhsa_workgroup_processor_mode 1
		.amdhsa_memory_ordered 1
		.amdhsa_forward_progress 1
		.amdhsa_shared_vgpr_count 0
		.amdhsa_exception_fp_ieee_invalid_op 0
		.amdhsa_exception_fp_denorm_src 0
		.amdhsa_exception_fp_ieee_div_zero 0
		.amdhsa_exception_fp_ieee_overflow 0
		.amdhsa_exception_fp_ieee_underflow 0
		.amdhsa_exception_fp_ieee_inexact 0
		.amdhsa_exception_int_div_zero 0
	.end_amdhsa_kernel
	.section	.text._ZL13mul_mat_vec_fI14__hip_bfloat16fLi1ELi96ELb0ELb1EEvPKT_PKfPKi31ggml_cuda_mm_fusion_args_devicePfi15HIP_vector_typeIjLj3EEiiiSB_iiiSB_iiii,"axG",@progbits,_ZL13mul_mat_vec_fI14__hip_bfloat16fLi1ELi96ELb0ELb1EEvPKT_PKfPKi31ggml_cuda_mm_fusion_args_devicePfi15HIP_vector_typeIjLj3EEiiiSB_iiiSB_iiii,comdat
.Lfunc_end269:
	.size	_ZL13mul_mat_vec_fI14__hip_bfloat16fLi1ELi96ELb0ELb1EEvPKT_PKfPKi31ggml_cuda_mm_fusion_args_devicePfi15HIP_vector_typeIjLj3EEiiiSB_iiiSB_iiii, .Lfunc_end269-_ZL13mul_mat_vec_fI14__hip_bfloat16fLi1ELi96ELb0ELb1EEvPKT_PKfPKi31ggml_cuda_mm_fusion_args_devicePfi15HIP_vector_typeIjLj3EEiiiSB_iiiSB_iiii
                                        ; -- End function
	.set _ZL13mul_mat_vec_fI14__hip_bfloat16fLi1ELi96ELb0ELb1EEvPKT_PKfPKi31ggml_cuda_mm_fusion_args_devicePfi15HIP_vector_typeIjLj3EEiiiSB_iiiSB_iiii.num_vgpr, 12
	.set _ZL13mul_mat_vec_fI14__hip_bfloat16fLi1ELi96ELb0ELb1EEvPKT_PKfPKi31ggml_cuda_mm_fusion_args_devicePfi15HIP_vector_typeIjLj3EEiiiSB_iiiSB_iiii.num_agpr, 0
	.set _ZL13mul_mat_vec_fI14__hip_bfloat16fLi1ELi96ELb0ELb1EEvPKT_PKfPKi31ggml_cuda_mm_fusion_args_devicePfi15HIP_vector_typeIjLj3EEiiiSB_iiiSB_iiii.numbered_sgpr, 28
	.set _ZL13mul_mat_vec_fI14__hip_bfloat16fLi1ELi96ELb0ELb1EEvPKT_PKfPKi31ggml_cuda_mm_fusion_args_devicePfi15HIP_vector_typeIjLj3EEiiiSB_iiiSB_iiii.num_named_barrier, 0
	.set _ZL13mul_mat_vec_fI14__hip_bfloat16fLi1ELi96ELb0ELb1EEvPKT_PKfPKi31ggml_cuda_mm_fusion_args_devicePfi15HIP_vector_typeIjLj3EEiiiSB_iiiSB_iiii.private_seg_size, 0
	.set _ZL13mul_mat_vec_fI14__hip_bfloat16fLi1ELi96ELb0ELb1EEvPKT_PKfPKi31ggml_cuda_mm_fusion_args_devicePfi15HIP_vector_typeIjLj3EEiiiSB_iiiSB_iiii.uses_vcc, 1
	.set _ZL13mul_mat_vec_fI14__hip_bfloat16fLi1ELi96ELb0ELb1EEvPKT_PKfPKi31ggml_cuda_mm_fusion_args_devicePfi15HIP_vector_typeIjLj3EEiiiSB_iiiSB_iiii.uses_flat_scratch, 0
	.set _ZL13mul_mat_vec_fI14__hip_bfloat16fLi1ELi96ELb0ELb1EEvPKT_PKfPKi31ggml_cuda_mm_fusion_args_devicePfi15HIP_vector_typeIjLj3EEiiiSB_iiiSB_iiii.has_dyn_sized_stack, 0
	.set _ZL13mul_mat_vec_fI14__hip_bfloat16fLi1ELi96ELb0ELb1EEvPKT_PKfPKi31ggml_cuda_mm_fusion_args_devicePfi15HIP_vector_typeIjLj3EEiiiSB_iiiSB_iiii.has_recursion, 0
	.set _ZL13mul_mat_vec_fI14__hip_bfloat16fLi1ELi96ELb0ELb1EEvPKT_PKfPKi31ggml_cuda_mm_fusion_args_devicePfi15HIP_vector_typeIjLj3EEiiiSB_iiiSB_iiii.has_indirect_call, 0
	.section	.AMDGPU.csdata,"",@progbits
; Kernel info:
; codeLenInByte = 964
; TotalNumSgprs: 30
; NumVgprs: 12
; ScratchSize: 0
; MemoryBound: 0
; FloatMode: 240
; IeeeMode: 1
; LDSByteSize: 0 bytes/workgroup (compile time only)
; SGPRBlocks: 0
; VGPRBlocks: 1
; NumSGPRsForWavesPerEU: 30
; NumVGPRsForWavesPerEU: 12
; Occupancy: 16
; WaveLimiterHint : 1
; COMPUTE_PGM_RSRC2:SCRATCH_EN: 0
; COMPUTE_PGM_RSRC2:USER_SGPR: 6
; COMPUTE_PGM_RSRC2:TRAP_HANDLER: 0
; COMPUTE_PGM_RSRC2:TGID_X_EN: 1
; COMPUTE_PGM_RSRC2:TGID_Y_EN: 1
; COMPUTE_PGM_RSRC2:TGID_Z_EN: 1
; COMPUTE_PGM_RSRC2:TIDIG_COMP_CNT: 0
	.section	.text._ZL13mul_mat_vec_fI14__hip_bfloat16fLi1ELi128ELb1ELb1EEvPKT_PKfPKi31ggml_cuda_mm_fusion_args_devicePfi15HIP_vector_typeIjLj3EEiiiSB_iiiSB_iiii,"axG",@progbits,_ZL13mul_mat_vec_fI14__hip_bfloat16fLi1ELi128ELb1ELb1EEvPKT_PKfPKi31ggml_cuda_mm_fusion_args_devicePfi15HIP_vector_typeIjLj3EEiiiSB_iiiSB_iiii,comdat
	.globl	_ZL13mul_mat_vec_fI14__hip_bfloat16fLi1ELi128ELb1ELb1EEvPKT_PKfPKi31ggml_cuda_mm_fusion_args_devicePfi15HIP_vector_typeIjLj3EEiiiSB_iiiSB_iiii ; -- Begin function _ZL13mul_mat_vec_fI14__hip_bfloat16fLi1ELi128ELb1ELb1EEvPKT_PKfPKi31ggml_cuda_mm_fusion_args_devicePfi15HIP_vector_typeIjLj3EEiiiSB_iiiSB_iiii
	.p2align	8
	.type	_ZL13mul_mat_vec_fI14__hip_bfloat16fLi1ELi128ELb1ELb1EEvPKT_PKfPKi31ggml_cuda_mm_fusion_args_devicePfi15HIP_vector_typeIjLj3EEiiiSB_iiiSB_iiii,@function
_ZL13mul_mat_vec_fI14__hip_bfloat16fLi1ELi128ELb1ELb1EEvPKT_PKfPKi31ggml_cuda_mm_fusion_args_devicePfi15HIP_vector_typeIjLj3EEiiiSB_iiiSB_iiii: ; @_ZL13mul_mat_vec_fI14__hip_bfloat16fLi1ELi128ELb1ELb1EEvPKT_PKfPKi31ggml_cuda_mm_fusion_args_devicePfi15HIP_vector_typeIjLj3EEiiiSB_iiiSB_iiii
; %bb.0:
	s_clause 0x3
	s_load_dword s1, s[4:5], 0x8c
	s_load_dwordx8 s[20:27], s[4:5], 0x0
	s_load_dwordx4 s[36:39], s[4:5], 0x20
	s_load_dwordx8 s[12:19], s[4:5], 0x40
	v_lshl_add_u32 v8, v0, 2, 0
	s_mov_b32 s0, s7
	s_waitcnt lgkmcnt(0)
	s_mul_i32 s1, s1, s8
	s_add_i32 s2, s1, s7
	s_ashr_i32 s3, s2, 31
	s_lshl_b64 s[2:3], s[2:3], 2
	s_add_u32 s10, s24, s2
	s_addc_u32 s11, s25, s3
	s_cmp_lg_u64 s[36:37], 0
	v_cmp_gt_u32_e64 s2, 32, v0
	s_cselect_b32 s1, -1, 0
	s_cmp_eq_u64 s[36:37], 0
	s_cselect_b32 s19, -1, 0
	s_and_saveexec_b32 s3, s2
	s_cbranch_execz .LBB270_3
; %bb.1:
	v_mov_b32_e32 v1, 0
	s_andn2_b32 vcc_lo, exec_lo, s1
	ds_write_b32 v8, v1
	s_cbranch_vccnz .LBB270_3
; %bb.2:
	ds_write_b32 v8, v1 offset:128
.LBB270_3:
	s_or_b32 exec_lo, exec_lo, s3
	s_load_dword s7, s[10:11], 0x0
	s_load_dwordx4 s[28:31], s[4:5], 0x68
	v_mov_b32_e32 v7, 0
	v_mov_b32_e32 v9, 0
	s_mov_b32 s9, exec_lo
	s_waitcnt lgkmcnt(0)
	s_barrier
	buffer_gl0_inv
	v_cmpx_gt_i32_e64 s12, v0
	s_cbranch_execz .LBB270_9
; %bb.4:
	s_mul_hi_u32 s3, s13, s0
	s_mul_i32 s10, s7, s28
	s_add_i32 s3, s0, s3
	s_mul_i32 s11, s16, s6
	s_lshr_b32 s3, s3, s14
	s_ashr_i32 s13, s10, 31
	s_mul_i32 s3, s3, s15
	s_ashr_i32 s14, s11, 31
	s_sub_i32 s3, s0, s3
	s_add_u32 s10, s10, s11
	s_addc_u32 s11, s13, s14
	s_mul_i32 s13, s8, s17
	s_mul_i32 s14, s3, s29
	s_lshl_b32 s16, s13, 1
	s_ashr_i32 s15, s14, 31
	s_ashr_i32 s17, s16, 31
	s_and_b32 s3, s1, exec_lo
	s_cselect_b32 s29, s11, 0
	s_cselect_b32 s28, s10, 0
	v_lshlrev_b32_e32 v5, 2, v0
	s_cselect_b32 s3, s37, 0
	s_cselect_b32 s13, s36, 0
	s_lshl_b64 s[28:29], s[28:29], 1
	v_lshlrev_b32_e32 v3, 3, v0
	s_add_u32 s13, s13, s28
	s_addc_u32 s3, s3, s29
	v_add_co_u32 v1, s13, s13, v5
	s_lshl_b64 s[14:15], s[14:15], 2
	s_lshl_b64 s[16:17], s[16:17], 2
	v_add_co_ci_u32_e64 v2, null, s3, 0, s13
	s_add_u32 s3, s22, s14
	s_addc_u32 s13, s23, s15
	s_add_u32 s3, s3, s16
	s_addc_u32 s13, s13, s17
	v_add_co_u32 v3, s3, s3, v3
	s_lshl_b64 s[10:11], s[10:11], 1
	v_add_co_ci_u32_e64 v4, null, s13, 0, s3
	s_add_u32 s3, s20, s10
	v_add_co_u32 v3, vcc_lo, v3, 4
	s_addc_u32 s10, s21, s11
	v_add_co_u32 v5, s3, s3, v5
	v_mov_b32_e32 v7, 0
	v_add_co_ci_u32_e64 v4, null, 0, v4, vcc_lo
	v_add_co_ci_u32_e64 v6, null, s10, 0, s3
	v_mov_b32_e32 v10, v0
	v_mov_b32_e32 v9, 0
	s_mov_b32 s10, 0
	s_inst_prefetch 0x1
	s_branch .LBB270_6
	.p2align	6
.LBB270_5:                              ;   in Loop: Header=BB270_6 Depth=1
	global_load_dwordx2 v[14:15], v[3:4], off offset:-4
	s_waitcnt vmcnt(1)
	v_lshlrev_b32_e32 v16, 16, v13
	v_add_nc_u32_e32 v10, 0x80, v10
	v_add_co_u32 v1, vcc_lo, 0x200, v1
	v_and_b32_e32 v13, 0xffff0000, v13
	v_add_co_ci_u32_e64 v2, null, 0, v2, vcc_lo
	v_add_co_u32 v3, vcc_lo, 0x400, v3
	v_add_co_ci_u32_e64 v4, null, 0, v4, vcc_lo
	v_cmp_le_i32_e32 vcc_lo, s12, v10
	v_add_co_u32 v5, s3, 0x200, v5
	v_add_co_ci_u32_e64 v6, null, 0, v6, s3
	s_or_b32 s10, vcc_lo, s10
	s_waitcnt vmcnt(0)
	v_fma_f32 v12, v12, v14, v7
	v_fmac_f32_e32 v9, v14, v16
	v_fmac_f32_e32 v12, v11, v15
	;; [unrolled: 1-line block ×3, first 2 shown]
	v_cndmask_b32_e64 v7, v7, v12, s1
	s_andn2_b32 exec_lo, exec_lo, s10
	s_cbranch_execz .LBB270_8
.LBB270_6:                              ; =>This Inner Loop Header: Depth=1
	global_load_dword v13, v[5:6], off
	v_mov_b32_e32 v11, 0
	v_mov_b32_e32 v12, 0
	s_andn2_b32 vcc_lo, exec_lo, s1
	s_cbranch_vccnz .LBB270_5
; %bb.7:                                ;   in Loop: Header=BB270_6 Depth=1
	global_load_dword v11, v[1:2], off
	s_waitcnt vmcnt(0)
	v_lshlrev_b32_e32 v12, 16, v11
	v_and_b32_e32 v11, 0xffff0000, v11
	s_branch .LBB270_5
.LBB270_8:
	s_inst_prefetch 0x2
	s_or_b32 exec_lo, exec_lo, s10
.LBB270_9:
	s_or_b32 exec_lo, exec_lo, s9
	v_mbcnt_lo_u32_b32 v1, -1, 0
	s_load_dword s9, s[4:5], 0x30
	s_mov_b32 s3, -1
	v_xor_b32_e32 v2, 16, v1
	v_xor_b32_e32 v3, 8, v1
	v_cmp_gt_i32_e32 vcc_lo, 32, v2
	v_cndmask_b32_e32 v2, v1, v2, vcc_lo
	v_cmp_gt_i32_e32 vcc_lo, 32, v3
	v_lshlrev_b32_e32 v2, 2, v2
	v_cndmask_b32_e32 v3, v1, v3, vcc_lo
	ds_bpermute_b32 v4, v2, v9
	v_lshlrev_b32_e32 v3, 2, v3
	s_waitcnt lgkmcnt(0)
	v_add_f32_e32 v5, v9, v4
	v_xor_b32_e32 v4, 4, v1
	ds_bpermute_b32 v6, v3, v5
	v_cmp_gt_i32_e32 vcc_lo, 32, v4
	v_cndmask_b32_e32 v4, v1, v4, vcc_lo
	v_lshlrev_b32_e32 v4, 2, v4
	s_waitcnt lgkmcnt(0)
	v_add_f32_e32 v6, v5, v6
	v_xor_b32_e32 v5, 2, v1
	ds_bpermute_b32 v9, v4, v6
	v_cmp_gt_i32_e32 vcc_lo, 32, v5
	v_cndmask_b32_e32 v5, v1, v5, vcc_lo
	;; [unrolled: 7-line block ×3, first 2 shown]
	s_and_b32 vcc_lo, exec_lo, s19
	v_lshlrev_b32_e32 v6, 2, v1
	s_waitcnt lgkmcnt(0)
	v_add_f32_e32 v1, v9, v10
	v_lshrrev_b32_e32 v10, 5, v0
	ds_bpermute_b32 v9, v6, v1
	s_waitcnt lgkmcnt(0)
	v_add_f32_e32 v1, v1, v9
	v_lshl_add_u32 v9, v10, 2, 0
	s_cbranch_vccz .LBB270_11
; %bb.10:
	s_mov_b32 s3, 0
	ds_write_b32 v9, v1
.LBB270_11:
	s_andn2_b32 vcc_lo, exec_lo, s3
	s_cbranch_vccnz .LBB270_13
; %bb.12:
	ds_bpermute_b32 v10, v2, v7
	s_waitcnt lgkmcnt(0)
	v_add_f32_e32 v7, v7, v10
	ds_bpermute_b32 v10, v3, v7
	s_waitcnt lgkmcnt(0)
	v_add_f32_e32 v7, v7, v10
	;; [unrolled: 3-line block ×5, first 2 shown]
	ds_write2_b32 v9, v1, v7 offset1:32
.LBB270_13:
	s_waitcnt lgkmcnt(0)
	s_barrier
	buffer_gl0_inv
	s_and_saveexec_b32 s3, s2
	s_cbranch_execz .LBB270_17
; %bb.14:
	ds_read_b32 v1, v8
	s_andn2_b32 vcc_lo, exec_lo, s1
	s_waitcnt lgkmcnt(0)
	ds_bpermute_b32 v9, v2, v1
	s_waitcnt lgkmcnt(0)
	v_add_f32_e32 v1, v1, v9
	ds_bpermute_b32 v9, v3, v1
	s_waitcnt lgkmcnt(0)
	v_add_f32_e32 v1, v1, v9
	;; [unrolled: 3-line block ×4, first 2 shown]
	ds_bpermute_b32 v9, v6, v1
	s_cbranch_vccnz .LBB270_16
; %bb.15:
	ds_read_b32 v7, v8 offset:128
	s_waitcnt lgkmcnt(0)
	ds_bpermute_b32 v2, v2, v7
	s_waitcnt lgkmcnt(0)
	v_add_f32_e32 v2, v7, v2
	ds_bpermute_b32 v3, v3, v2
	s_waitcnt lgkmcnt(0)
	v_add_f32_e32 v2, v2, v3
	ds_bpermute_b32 v3, v4, v2
	s_waitcnt lgkmcnt(0)
	v_add_f32_e32 v2, v2, v3
	ds_bpermute_b32 v3, v5, v2
	s_waitcnt lgkmcnt(0)
	v_add_f32_e32 v2, v2, v3
	ds_bpermute_b32 v3, v6, v2
	s_waitcnt lgkmcnt(0)
	v_add_f32_e32 v7, v2, v3
.LBB270_16:
	s_waitcnt lgkmcnt(0)
	v_add_f32_e32 v1, v1, v9
.LBB270_17:
	s_or_b32 exec_lo, exec_lo, s3
	s_barrier
	buffer_gl0_inv
	s_mov_b32 s2, exec_lo
	v_cmpx_eq_u32_e32 0, v0
	s_cbranch_execz .LBB270_41
; %bb.18:
	s_cmp_eq_u64 s[26:27], 0
	s_cselect_b32 s10, -1, 0
	s_cmp_eq_u64 s[24:25], 0
	s_cselect_b32 s2, s0, s7
	s_mul_i32 s2, s2, s30
	s_ashr_i32 s3, s2, 31
	s_and_b32 vcc_lo, exec_lo, s10
	s_cbranch_vccnz .LBB270_20
; %bb.19:
	s_cselect_b32 s7, 0, s27
	s_cselect_b32 s12, 0, s26
	s_lshl_b64 s[10:11], s[2:3], 2
	s_add_u32 s12, s12, s10
	s_addc_u32 s13, s7, s11
	s_ashr_i32 s7, s6, 31
	s_lshl_b64 s[10:11], s[6:7], 2
	s_add_u32 s10, s12, s10
	s_addc_u32 s11, s13, s11
	s_load_dword s7, s[10:11], 0x0
	s_waitcnt lgkmcnt(0)
	v_add_f32_e32 v1, s7, v1
.LBB270_20:
	s_andn2_b32 vcc_lo, exec_lo, s1
	s_cbranch_vccnz .LBB270_40
; %bb.21:
	s_cmp_lg_u64 s[38:39], 0
	s_cselect_b32 s7, -1, 0
	s_and_b32 s1, s7, s1
	s_andn2_b32 vcc_lo, exec_lo, s1
	s_cbranch_vccnz .LBB270_23
; %bb.22:
	s_and_b32 s7, s7, exec_lo
	s_cselect_b32 s7, s39, 0
	s_cselect_b32 s10, s38, 0
	s_and_b32 s1, s1, exec_lo
	s_cselect_b32 s3, s3, 0
	s_cselect_b32 s2, s2, 0
	s_lshl_b64 s[2:3], s[2:3], 2
	s_add_u32 s1, s10, s2
	s_addc_u32 s10, s7, s3
	s_ashr_i32 s7, s6, 31
	s_lshl_b64 s[2:3], s[6:7], 2
	s_add_u32 s2, s1, s2
	s_addc_u32 s3, s10, s3
	s_load_dword s1, s[2:3], 0x0
	s_waitcnt lgkmcnt(0)
	v_add_f32_e32 v7, s1, v7
.LBB270_23:
	s_cmp_lt_i32 s9, 2
	s_cbranch_scc1 .LBB270_28
; %bb.24:
	s_cmp_lt_i32 s9, 3
	s_cbranch_scc1 .LBB270_29
; %bb.25:
	v_mov_b32_e32 v0, v1
	s_cmp_eq_u32 s9, 3
	s_cbranch_scc0 .LBB270_27
; %bb.26:
	v_max_f32_e32 v0, v7, v7
	v_min_f32_e32 v0, 0x40e00000, v0
	v_mul_f32_e32 v2, 0xbfd9db23, v0
	v_mul_f32_e32 v3, 0x3fb8aa3b, v2
	v_cmp_ngt_f32_e32 vcc_lo, 0xc2ce8ed0, v2
	v_fma_f32 v4, 0x3fb8aa3b, v2, -v3
	v_rndne_f32_e32 v5, v3
	v_fmamk_f32 v4, v2, 0x32a5705f, v4
	v_sub_f32_e32 v3, v3, v5
	v_add_f32_e32 v3, v3, v4
	v_cvt_i32_f32_e32 v4, v5
	v_exp_f32_e32 v3, v3
	v_ldexp_f32 v3, v3, v4
	v_cndmask_b32_e32 v3, 0, v3, vcc_lo
	v_cmp_nlt_f32_e32 vcc_lo, 0x42b17218, v2
	v_cndmask_b32_e32 v2, 0x7f800000, v3, vcc_lo
	v_add_f32_e32 v2, 1.0, v2
	v_div_scale_f32 v3, null, v2, v2, v0
	v_div_scale_f32 v6, vcc_lo, v0, v2, v0
	v_rcp_f32_e32 v4, v3
	v_fma_f32 v5, -v3, v4, 1.0
	v_fmac_f32_e32 v4, v5, v4
	v_mul_f32_e32 v5, v6, v4
	v_fma_f32 v8, -v3, v5, v6
	v_fmac_f32_e32 v5, v8, v4
	v_max_f32_e32 v8, v1, v1
	v_fma_f32 v3, -v3, v5, v6
	v_min_f32_e32 v6, 0x40e00000, v8
	v_div_fmas_f32 v3, v3, v4, v5
	v_max_f32_e32 v4, 0xc0e00000, v6
	v_div_fixup_f32 v0, v3, v2, v0
	v_add_f32_e32 v2, 1.0, v4
	v_mul_f32_e32 v0, v2, v0
.LBB270_27:
	s_cbranch_execz .LBB270_30
	s_branch .LBB270_31
.LBB270_28:
                                        ; implicit-def: $vgpr0
	s_branch .LBB270_32
.LBB270_29:
                                        ; implicit-def: $vgpr0
.LBB270_30:
	v_mul_f32_e32 v0, 0xbfb8aa3b, v7
	v_cmp_nlt_f32_e32 vcc_lo, 0x42ce8ed0, v7
	v_rndne_f32_e32 v2, v0
	v_fma_f32 v3, 0xbfb8aa3b, v7, -v0
	v_sub_f32_e32 v0, v0, v2
	v_fmamk_f32 v3, v7, 0xb2a5705f, v3
	v_cvt_i32_f32_e32 v2, v2
	v_add_f32_e32 v0, v0, v3
	v_exp_f32_e32 v0, v0
	v_ldexp_f32 v0, v0, v2
	v_cndmask_b32_e32 v0, 0, v0, vcc_lo
	v_cmp_ngt_f32_e32 vcc_lo, 0xc2b17218, v7
	v_cndmask_b32_e32 v0, 0x7f800000, v0, vcc_lo
	v_add_f32_e32 v0, 1.0, v0
	v_div_scale_f32 v2, null, v0, v0, v7
	v_rcp_f32_e32 v3, v2
	v_fma_f32 v4, -v2, v3, 1.0
	v_fmac_f32_e32 v3, v4, v3
	v_div_scale_f32 v4, vcc_lo, v7, v0, v7
	v_mul_f32_e32 v5, v4, v3
	v_fma_f32 v6, -v2, v5, v4
	v_fmac_f32_e32 v5, v6, v3
	v_fma_f32 v2, -v2, v5, v4
	v_div_fmas_f32 v2, v2, v3, v5
	v_div_fixup_f32 v0, v2, v0, v7
	v_mul_f32_e32 v0, v1, v0
.LBB270_31:
	s_cbranch_execnz .LBB270_39
.LBB270_32:
	s_cmp_eq_u32 s9, 1
	s_cbranch_scc0 .LBB270_38
; %bb.33:
	v_mul_f32_e32 v0, 0x3d372713, v7
	v_mul_f32_e32 v2, 0x3f4c422a, v7
	v_fma_f32 v0, v7, v0, 1.0
	v_mul_f32_e32 v0, v2, v0
                                        ; implicit-def: $vgpr2
	v_cmp_ngt_f32_e64 s1, 0x3f200000, |v0|
	s_and_saveexec_b32 s2, s1
	s_xor_b32 s1, exec_lo, s2
	s_cbranch_execz .LBB270_35
; %bb.34:
	v_add_f32_e64 v2, |v0|, |v0|
	v_mul_f32_e32 v3, 0x3fb8aa3b, v2
	v_cmp_ngt_f32_e32 vcc_lo, 0xc2ce8ed0, v2
	v_rndne_f32_e32 v4, v3
	v_fma_f32 v5, 0x3fb8aa3b, v2, -v3
	v_sub_f32_e32 v3, v3, v4
	v_fmamk_f32 v5, v2, 0x32a5705f, v5
	v_cvt_i32_f32_e32 v4, v4
	v_add_f32_e32 v3, v3, v5
	v_exp_f32_e32 v3, v3
	v_ldexp_f32 v3, v3, v4
	v_cndmask_b32_e32 v3, 0, v3, vcc_lo
	v_cmp_nlt_f32_e32 vcc_lo, 0x42b17218, v2
	v_cndmask_b32_e32 v2, 0x7f800000, v3, vcc_lo
	v_add_f32_e32 v2, 1.0, v2
	v_rcp_f32_e32 v2, v2
	v_fma_f32 v2, v2, -2.0, 1.0
.LBB270_35:
	s_andn2_saveexec_b32 s1, s1
	s_cbranch_execz .LBB270_37
; %bb.36:
	v_mul_f32_e32 v2, v0, v0
	s_mov_b32 s2, 0xbbbac73d
	v_fmaak_f32 v3, s2, v2, 0x3ca908c9
	v_fmaak_f32 v3, v2, v3, 0xbd5c1c4e
	v_fmaak_f32 v3, v2, v3, 0x3e088382
	v_fmaak_f32 v3, v2, v3, 0xbeaaaa99
	v_mul_f32_e64 v3, |v0|, v3
	v_fma_f32 v2, v2, v3, |v0|
.LBB270_37:
	s_or_b32 exec_lo, exec_lo, s1
	v_bfi_b32 v0, 0x7fffffff, v2, v0
	v_mul_f32_e32 v2, 0.5, v7
	v_add_f32_e32 v0, 1.0, v0
	v_mul_f32_e32 v0, v2, v0
	v_mul_f32_e32 v1, v1, v0
.LBB270_38:
	v_mov_b32_e32 v0, v1
.LBB270_39:
	v_mov_b32_e32 v1, v0
.LBB270_40:
	s_load_dwordx2 s[2:3], s[4:5], 0x38
	s_mul_i32 s0, s30, s0
	s_mul_i32 s4, s18, s8
	s_ashr_i32 s1, s0, 31
	v_mov_b32_e32 v0, 0
	s_lshl_b64 s[0:1], s[0:1], 2
	s_waitcnt lgkmcnt(0)
	s_add_u32 s2, s2, s0
	s_addc_u32 s3, s3, s1
	s_ashr_i32 s5, s4, 31
	s_lshl_b64 s[0:1], s[4:5], 2
	s_add_u32 s2, s2, s0
	s_addc_u32 s3, s3, s1
	s_ashr_i32 s7, s6, 31
	s_lshl_b64 s[0:1], s[6:7], 2
	s_add_u32 s0, s2, s0
	s_addc_u32 s1, s3, s1
	global_store_dword v0, v1, s[0:1]
.LBB270_41:
	s_endpgm
	.section	.rodata,"a",@progbits
	.p2align	6, 0x0
	.amdhsa_kernel _ZL13mul_mat_vec_fI14__hip_bfloat16fLi1ELi128ELb1ELb1EEvPKT_PKfPKi31ggml_cuda_mm_fusion_args_devicePfi15HIP_vector_typeIjLj3EEiiiSB_iiiSB_iiii
		.amdhsa_group_segment_fixed_size 0
		.amdhsa_private_segment_fixed_size 0
		.amdhsa_kernarg_size 144
		.amdhsa_user_sgpr_count 6
		.amdhsa_user_sgpr_private_segment_buffer 1
		.amdhsa_user_sgpr_dispatch_ptr 0
		.amdhsa_user_sgpr_queue_ptr 0
		.amdhsa_user_sgpr_kernarg_segment_ptr 1
		.amdhsa_user_sgpr_dispatch_id 0
		.amdhsa_user_sgpr_flat_scratch_init 0
		.amdhsa_user_sgpr_private_segment_size 0
		.amdhsa_wavefront_size32 1
		.amdhsa_uses_dynamic_stack 0
		.amdhsa_system_sgpr_private_segment_wavefront_offset 0
		.amdhsa_system_sgpr_workgroup_id_x 1
		.amdhsa_system_sgpr_workgroup_id_y 1
		.amdhsa_system_sgpr_workgroup_id_z 1
		.amdhsa_system_sgpr_workgroup_info 0
		.amdhsa_system_vgpr_workitem_id 0
		.amdhsa_next_free_vgpr 17
		.amdhsa_next_free_sgpr 40
		.amdhsa_reserve_vcc 1
		.amdhsa_reserve_flat_scratch 0
		.amdhsa_float_round_mode_32 0
		.amdhsa_float_round_mode_16_64 0
		.amdhsa_float_denorm_mode_32 3
		.amdhsa_float_denorm_mode_16_64 3
		.amdhsa_dx10_clamp 1
		.amdhsa_ieee_mode 1
		.amdhsa_fp16_overflow 0
		.amdhsa_workgroup_processor_mode 1
		.amdhsa_memory_ordered 1
		.amdhsa_forward_progress 1
		.amdhsa_shared_vgpr_count 0
		.amdhsa_exception_fp_ieee_invalid_op 0
		.amdhsa_exception_fp_denorm_src 0
		.amdhsa_exception_fp_ieee_div_zero 0
		.amdhsa_exception_fp_ieee_overflow 0
		.amdhsa_exception_fp_ieee_underflow 0
		.amdhsa_exception_fp_ieee_inexact 0
		.amdhsa_exception_int_div_zero 0
	.end_amdhsa_kernel
	.section	.text._ZL13mul_mat_vec_fI14__hip_bfloat16fLi1ELi128ELb1ELb1EEvPKT_PKfPKi31ggml_cuda_mm_fusion_args_devicePfi15HIP_vector_typeIjLj3EEiiiSB_iiiSB_iiii,"axG",@progbits,_ZL13mul_mat_vec_fI14__hip_bfloat16fLi1ELi128ELb1ELb1EEvPKT_PKfPKi31ggml_cuda_mm_fusion_args_devicePfi15HIP_vector_typeIjLj3EEiiiSB_iiiSB_iiii,comdat
.Lfunc_end270:
	.size	_ZL13mul_mat_vec_fI14__hip_bfloat16fLi1ELi128ELb1ELb1EEvPKT_PKfPKi31ggml_cuda_mm_fusion_args_devicePfi15HIP_vector_typeIjLj3EEiiiSB_iiiSB_iiii, .Lfunc_end270-_ZL13mul_mat_vec_fI14__hip_bfloat16fLi1ELi128ELb1ELb1EEvPKT_PKfPKi31ggml_cuda_mm_fusion_args_devicePfi15HIP_vector_typeIjLj3EEiiiSB_iiiSB_iiii
                                        ; -- End function
	.set _ZL13mul_mat_vec_fI14__hip_bfloat16fLi1ELi128ELb1ELb1EEvPKT_PKfPKi31ggml_cuda_mm_fusion_args_devicePfi15HIP_vector_typeIjLj3EEiiiSB_iiiSB_iiii.num_vgpr, 17
	.set _ZL13mul_mat_vec_fI14__hip_bfloat16fLi1ELi128ELb1ELb1EEvPKT_PKfPKi31ggml_cuda_mm_fusion_args_devicePfi15HIP_vector_typeIjLj3EEiiiSB_iiiSB_iiii.num_agpr, 0
	.set _ZL13mul_mat_vec_fI14__hip_bfloat16fLi1ELi128ELb1ELb1EEvPKT_PKfPKi31ggml_cuda_mm_fusion_args_devicePfi15HIP_vector_typeIjLj3EEiiiSB_iiiSB_iiii.numbered_sgpr, 40
	.set _ZL13mul_mat_vec_fI14__hip_bfloat16fLi1ELi128ELb1ELb1EEvPKT_PKfPKi31ggml_cuda_mm_fusion_args_devicePfi15HIP_vector_typeIjLj3EEiiiSB_iiiSB_iiii.num_named_barrier, 0
	.set _ZL13mul_mat_vec_fI14__hip_bfloat16fLi1ELi128ELb1ELb1EEvPKT_PKfPKi31ggml_cuda_mm_fusion_args_devicePfi15HIP_vector_typeIjLj3EEiiiSB_iiiSB_iiii.private_seg_size, 0
	.set _ZL13mul_mat_vec_fI14__hip_bfloat16fLi1ELi128ELb1ELb1EEvPKT_PKfPKi31ggml_cuda_mm_fusion_args_devicePfi15HIP_vector_typeIjLj3EEiiiSB_iiiSB_iiii.uses_vcc, 1
	.set _ZL13mul_mat_vec_fI14__hip_bfloat16fLi1ELi128ELb1ELb1EEvPKT_PKfPKi31ggml_cuda_mm_fusion_args_devicePfi15HIP_vector_typeIjLj3EEiiiSB_iiiSB_iiii.uses_flat_scratch, 0
	.set _ZL13mul_mat_vec_fI14__hip_bfloat16fLi1ELi128ELb1ELb1EEvPKT_PKfPKi31ggml_cuda_mm_fusion_args_devicePfi15HIP_vector_typeIjLj3EEiiiSB_iiiSB_iiii.has_dyn_sized_stack, 0
	.set _ZL13mul_mat_vec_fI14__hip_bfloat16fLi1ELi128ELb1ELb1EEvPKT_PKfPKi31ggml_cuda_mm_fusion_args_devicePfi15HIP_vector_typeIjLj3EEiiiSB_iiiSB_iiii.has_recursion, 0
	.set _ZL13mul_mat_vec_fI14__hip_bfloat16fLi1ELi128ELb1ELb1EEvPKT_PKfPKi31ggml_cuda_mm_fusion_args_devicePfi15HIP_vector_typeIjLj3EEiiiSB_iiiSB_iiii.has_indirect_call, 0
	.section	.AMDGPU.csdata,"",@progbits
; Kernel info:
; codeLenInByte = 2160
; TotalNumSgprs: 42
; NumVgprs: 17
; ScratchSize: 0
; MemoryBound: 0
; FloatMode: 240
; IeeeMode: 1
; LDSByteSize: 0 bytes/workgroup (compile time only)
; SGPRBlocks: 0
; VGPRBlocks: 2
; NumSGPRsForWavesPerEU: 42
; NumVGPRsForWavesPerEU: 17
; Occupancy: 16
; WaveLimiterHint : 1
; COMPUTE_PGM_RSRC2:SCRATCH_EN: 0
; COMPUTE_PGM_RSRC2:USER_SGPR: 6
; COMPUTE_PGM_RSRC2:TRAP_HANDLER: 0
; COMPUTE_PGM_RSRC2:TGID_X_EN: 1
; COMPUTE_PGM_RSRC2:TGID_Y_EN: 1
; COMPUTE_PGM_RSRC2:TGID_Z_EN: 1
; COMPUTE_PGM_RSRC2:TIDIG_COMP_CNT: 0
	.section	.text._ZL13mul_mat_vec_fI14__hip_bfloat16fLi1ELi128ELb0ELb1EEvPKT_PKfPKi31ggml_cuda_mm_fusion_args_devicePfi15HIP_vector_typeIjLj3EEiiiSB_iiiSB_iiii,"axG",@progbits,_ZL13mul_mat_vec_fI14__hip_bfloat16fLi1ELi128ELb0ELb1EEvPKT_PKfPKi31ggml_cuda_mm_fusion_args_devicePfi15HIP_vector_typeIjLj3EEiiiSB_iiiSB_iiii,comdat
	.globl	_ZL13mul_mat_vec_fI14__hip_bfloat16fLi1ELi128ELb0ELb1EEvPKT_PKfPKi31ggml_cuda_mm_fusion_args_devicePfi15HIP_vector_typeIjLj3EEiiiSB_iiiSB_iiii ; -- Begin function _ZL13mul_mat_vec_fI14__hip_bfloat16fLi1ELi128ELb0ELb1EEvPKT_PKfPKi31ggml_cuda_mm_fusion_args_devicePfi15HIP_vector_typeIjLj3EEiiiSB_iiiSB_iiii
	.p2align	8
	.type	_ZL13mul_mat_vec_fI14__hip_bfloat16fLi1ELi128ELb0ELb1EEvPKT_PKfPKi31ggml_cuda_mm_fusion_args_devicePfi15HIP_vector_typeIjLj3EEiiiSB_iiiSB_iiii,@function
_ZL13mul_mat_vec_fI14__hip_bfloat16fLi1ELi128ELb0ELb1EEvPKT_PKfPKi31ggml_cuda_mm_fusion_args_devicePfi15HIP_vector_typeIjLj3EEiiiSB_iiiSB_iiii: ; @_ZL13mul_mat_vec_fI14__hip_bfloat16fLi1ELi128ELb0ELb1EEvPKT_PKfPKi31ggml_cuda_mm_fusion_args_devicePfi15HIP_vector_typeIjLj3EEiiiSB_iiiSB_iiii
; %bb.0:
	s_clause 0x2
	s_load_dword s2, s[4:5], 0x8c
	s_load_dwordx2 s[0:1], s[4:5], 0x10
	s_load_dwordx8 s[12:19], s[4:5], 0x40
	v_cmp_gt_u32_e32 vcc_lo, 32, v0
	v_lshl_add_u32 v5, v0, 2, 0
	s_waitcnt lgkmcnt(0)
	s_mul_i32 s2, s2, s8
	s_add_i32 s2, s2, s7
	s_ashr_i32 s3, s2, 31
	s_lshl_b64 s[2:3], s[2:3], 2
	s_add_u32 s2, s0, s2
	s_addc_u32 s3, s1, s3
	s_and_saveexec_b32 s0, vcc_lo
; %bb.1:
	v_mov_b32_e32 v1, 0
	ds_write_b32 v5, v1
; %bb.2:
	s_or_b32 exec_lo, exec_lo, s0
	s_load_dwordx4 s[20:23], s[4:5], 0x68
	v_mov_b32_e32 v6, 0
	s_mov_b32 s9, exec_lo
	s_waitcnt lgkmcnt(0)
	s_barrier
	buffer_gl0_inv
	v_cmpx_gt_i32_e64 s12, v0
	s_cbranch_execz .LBB271_6
; %bb.3:
	s_load_dword s19, s[2:3], 0x0
	s_load_dwordx4 s[24:27], s[4:5], 0x0
	s_mul_hi_u32 s0, s13, s7
	s_mul_i32 s1, s8, s17
	s_add_i32 s0, s7, s0
	s_mul_i32 s2, s16, s6
	s_lshr_b32 s0, s0, s14
	v_lshlrev_b32_e32 v1, 3, v0
	s_mul_i32 s10, s0, s15
	s_lshl_b32 s0, s1, 1
	s_sub_i32 s10, s7, s10
	s_ashr_i32 s1, s0, 31
	s_mul_i32 s10, s10, s21
	s_ashr_i32 s3, s2, 31
	s_ashr_i32 s11, s10, 31
	s_lshl_b64 s[0:1], s[0:1], 2
	s_lshl_b64 s[10:11], s[10:11], 2
	v_lshlrev_b32_e32 v3, 2, v0
	v_mov_b32_e32 v6, 0
	v_mov_b32_e32 v7, v0
	s_waitcnt lgkmcnt(0)
	s_mul_i32 s14, s19, s20
	s_ashr_i32 s15, s14, 31
	s_add_u32 s10, s26, s10
	s_addc_u32 s11, s27, s11
	s_add_u32 s0, s10, s0
	s_addc_u32 s1, s11, s1
	v_add_co_u32 v1, s0, s0, v1
	v_add_co_ci_u32_e64 v2, null, s1, 0, s0
	s_lshl_b64 s[10:11], s[14:15], 1
	v_add_co_u32 v1, s0, v1, 4
	v_add_co_ci_u32_e64 v2, null, 0, v2, s0
	s_lshl_b64 s[0:1], s[2:3], 1
	s_add_u32 s2, s24, s10
	s_addc_u32 s3, s25, s11
	s_add_u32 s0, s2, s0
	s_addc_u32 s1, s3, s1
	v_add_co_u32 v3, s0, s0, v3
	v_add_co_ci_u32_e64 v4, null, s1, 0, s0
	s_mov_b32 s2, 0
	.p2align	6
.LBB271_4:                              ; =>This Inner Loop Header: Depth=1
	global_load_dword v10, v[3:4], off
	global_load_dwordx2 v[8:9], v[1:2], off offset:-4
	v_add_nc_u32_e32 v7, 0x80, v7
	v_add_co_u32 v1, s0, 0x400, v1
	v_add_co_ci_u32_e64 v2, null, 0, v2, s0
	v_add_co_u32 v3, s0, 0x200, v3
	v_cmp_le_i32_e64 s1, s12, v7
	v_add_co_ci_u32_e64 v4, null, 0, v4, s0
	s_or_b32 s2, s1, s2
	s_waitcnt vmcnt(1)
	v_lshlrev_b32_e32 v11, 16, v10
	v_and_b32_e32 v10, 0xffff0000, v10
	s_waitcnt vmcnt(0)
	v_fmac_f32_e32 v6, v8, v11
	v_fmac_f32_e32 v6, v9, v10
	s_andn2_b32 exec_lo, exec_lo, s2
	s_cbranch_execnz .LBB271_4
; %bb.5:
	s_or_b32 exec_lo, exec_lo, s2
.LBB271_6:
	s_or_b32 exec_lo, exec_lo, s9
	v_mbcnt_lo_u32_b32 v2, -1, 0
	v_xor_b32_e32 v1, 16, v2
	v_xor_b32_e32 v3, 8, v2
	v_cmp_gt_i32_e64 s0, 32, v1
	v_cndmask_b32_e64 v1, v2, v1, s0
	v_cmp_gt_i32_e64 s0, 32, v3
	v_lshlrev_b32_e32 v1, 2, v1
	v_cndmask_b32_e64 v3, v2, v3, s0
	ds_bpermute_b32 v4, v1, v6
	v_lshlrev_b32_e32 v3, 2, v3
	s_waitcnt lgkmcnt(0)
	v_add_f32_e32 v6, v6, v4
	v_xor_b32_e32 v4, 4, v2
	ds_bpermute_b32 v7, v3, v6
	v_cmp_gt_i32_e64 s0, 32, v4
	v_cndmask_b32_e64 v4, v2, v4, s0
	v_lshlrev_b32_e32 v4, 2, v4
	s_waitcnt lgkmcnt(0)
	v_add_f32_e32 v7, v6, v7
	v_xor_b32_e32 v6, 2, v2
	ds_bpermute_b32 v8, v4, v7
	v_cmp_gt_i32_e64 s0, 32, v6
	v_cndmask_b32_e64 v6, v2, v6, s0
	;; [unrolled: 7-line block ×3, first 2 shown]
	v_lshlrev_b32_e32 v7, 2, v2
	s_waitcnt lgkmcnt(0)
	v_add_f32_e32 v2, v8, v9
	v_lshrrev_b32_e32 v9, 3, v0
	ds_bpermute_b32 v8, v7, v2
	v_and_b32_e32 v9, 0x7c, v9
	v_add_nc_u32_e32 v9, 0, v9
	s_waitcnt lgkmcnt(0)
	v_add_f32_e32 v2, v2, v8
	ds_write_b32 v9, v2
	s_waitcnt lgkmcnt(0)
	s_barrier
	buffer_gl0_inv
	s_and_saveexec_b32 s0, vcc_lo
	s_cbranch_execz .LBB271_8
; %bb.7:
	ds_read_b32 v2, v5
	s_waitcnt lgkmcnt(0)
	ds_bpermute_b32 v1, v1, v2
	s_waitcnt lgkmcnt(0)
	v_add_f32_e32 v1, v2, v1
	ds_bpermute_b32 v2, v3, v1
	s_waitcnt lgkmcnt(0)
	v_add_f32_e32 v1, v1, v2
	;; [unrolled: 3-line block ×5, first 2 shown]
.LBB271_8:
	s_or_b32 exec_lo, exec_lo, s0
	s_barrier
	buffer_gl0_inv
	s_mov_b32 s0, exec_lo
	v_cmpx_eq_u32_e32 0, v0
	s_cbranch_execz .LBB271_10
; %bb.9:
	s_load_dwordx2 s[0:1], s[4:5], 0x38
	s_mul_i32 s2, s22, s7
	s_mul_i32 s4, s18, s8
	s_ashr_i32 s3, s2, 31
	v_mov_b32_e32 v0, 0
	s_lshl_b64 s[2:3], s[2:3], 2
	s_waitcnt lgkmcnt(0)
	s_add_u32 s2, s0, s2
	s_addc_u32 s3, s1, s3
	s_ashr_i32 s5, s4, 31
	s_lshl_b64 s[0:1], s[4:5], 2
	s_add_u32 s2, s2, s0
	s_addc_u32 s3, s3, s1
	s_ashr_i32 s7, s6, 31
	s_lshl_b64 s[0:1], s[6:7], 2
	s_add_u32 s0, s2, s0
	s_addc_u32 s1, s3, s1
	global_store_dword v0, v2, s[0:1]
.LBB271_10:
	s_endpgm
	.section	.rodata,"a",@progbits
	.p2align	6, 0x0
	.amdhsa_kernel _ZL13mul_mat_vec_fI14__hip_bfloat16fLi1ELi128ELb0ELb1EEvPKT_PKfPKi31ggml_cuda_mm_fusion_args_devicePfi15HIP_vector_typeIjLj3EEiiiSB_iiiSB_iiii
		.amdhsa_group_segment_fixed_size 0
		.amdhsa_private_segment_fixed_size 0
		.amdhsa_kernarg_size 144
		.amdhsa_user_sgpr_count 6
		.amdhsa_user_sgpr_private_segment_buffer 1
		.amdhsa_user_sgpr_dispatch_ptr 0
		.amdhsa_user_sgpr_queue_ptr 0
		.amdhsa_user_sgpr_kernarg_segment_ptr 1
		.amdhsa_user_sgpr_dispatch_id 0
		.amdhsa_user_sgpr_flat_scratch_init 0
		.amdhsa_user_sgpr_private_segment_size 0
		.amdhsa_wavefront_size32 1
		.amdhsa_uses_dynamic_stack 0
		.amdhsa_system_sgpr_private_segment_wavefront_offset 0
		.amdhsa_system_sgpr_workgroup_id_x 1
		.amdhsa_system_sgpr_workgroup_id_y 1
		.amdhsa_system_sgpr_workgroup_id_z 1
		.amdhsa_system_sgpr_workgroup_info 0
		.amdhsa_system_vgpr_workitem_id 0
		.amdhsa_next_free_vgpr 12
		.amdhsa_next_free_sgpr 28
		.amdhsa_reserve_vcc 1
		.amdhsa_reserve_flat_scratch 0
		.amdhsa_float_round_mode_32 0
		.amdhsa_float_round_mode_16_64 0
		.amdhsa_float_denorm_mode_32 3
		.amdhsa_float_denorm_mode_16_64 3
		.amdhsa_dx10_clamp 1
		.amdhsa_ieee_mode 1
		.amdhsa_fp16_overflow 0
		.amdhsa_workgroup_processor_mode 1
		.amdhsa_memory_ordered 1
		.amdhsa_forward_progress 1
		.amdhsa_shared_vgpr_count 0
		.amdhsa_exception_fp_ieee_invalid_op 0
		.amdhsa_exception_fp_denorm_src 0
		.amdhsa_exception_fp_ieee_div_zero 0
		.amdhsa_exception_fp_ieee_overflow 0
		.amdhsa_exception_fp_ieee_underflow 0
		.amdhsa_exception_fp_ieee_inexact 0
		.amdhsa_exception_int_div_zero 0
	.end_amdhsa_kernel
	.section	.text._ZL13mul_mat_vec_fI14__hip_bfloat16fLi1ELi128ELb0ELb1EEvPKT_PKfPKi31ggml_cuda_mm_fusion_args_devicePfi15HIP_vector_typeIjLj3EEiiiSB_iiiSB_iiii,"axG",@progbits,_ZL13mul_mat_vec_fI14__hip_bfloat16fLi1ELi128ELb0ELb1EEvPKT_PKfPKi31ggml_cuda_mm_fusion_args_devicePfi15HIP_vector_typeIjLj3EEiiiSB_iiiSB_iiii,comdat
.Lfunc_end271:
	.size	_ZL13mul_mat_vec_fI14__hip_bfloat16fLi1ELi128ELb0ELb1EEvPKT_PKfPKi31ggml_cuda_mm_fusion_args_devicePfi15HIP_vector_typeIjLj3EEiiiSB_iiiSB_iiii, .Lfunc_end271-_ZL13mul_mat_vec_fI14__hip_bfloat16fLi1ELi128ELb0ELb1EEvPKT_PKfPKi31ggml_cuda_mm_fusion_args_devicePfi15HIP_vector_typeIjLj3EEiiiSB_iiiSB_iiii
                                        ; -- End function
	.set _ZL13mul_mat_vec_fI14__hip_bfloat16fLi1ELi128ELb0ELb1EEvPKT_PKfPKi31ggml_cuda_mm_fusion_args_devicePfi15HIP_vector_typeIjLj3EEiiiSB_iiiSB_iiii.num_vgpr, 12
	.set _ZL13mul_mat_vec_fI14__hip_bfloat16fLi1ELi128ELb0ELb1EEvPKT_PKfPKi31ggml_cuda_mm_fusion_args_devicePfi15HIP_vector_typeIjLj3EEiiiSB_iiiSB_iiii.num_agpr, 0
	.set _ZL13mul_mat_vec_fI14__hip_bfloat16fLi1ELi128ELb0ELb1EEvPKT_PKfPKi31ggml_cuda_mm_fusion_args_devicePfi15HIP_vector_typeIjLj3EEiiiSB_iiiSB_iiii.numbered_sgpr, 28
	.set _ZL13mul_mat_vec_fI14__hip_bfloat16fLi1ELi128ELb0ELb1EEvPKT_PKfPKi31ggml_cuda_mm_fusion_args_devicePfi15HIP_vector_typeIjLj3EEiiiSB_iiiSB_iiii.num_named_barrier, 0
	.set _ZL13mul_mat_vec_fI14__hip_bfloat16fLi1ELi128ELb0ELb1EEvPKT_PKfPKi31ggml_cuda_mm_fusion_args_devicePfi15HIP_vector_typeIjLj3EEiiiSB_iiiSB_iiii.private_seg_size, 0
	.set _ZL13mul_mat_vec_fI14__hip_bfloat16fLi1ELi128ELb0ELb1EEvPKT_PKfPKi31ggml_cuda_mm_fusion_args_devicePfi15HIP_vector_typeIjLj3EEiiiSB_iiiSB_iiii.uses_vcc, 1
	.set _ZL13mul_mat_vec_fI14__hip_bfloat16fLi1ELi128ELb0ELb1EEvPKT_PKfPKi31ggml_cuda_mm_fusion_args_devicePfi15HIP_vector_typeIjLj3EEiiiSB_iiiSB_iiii.uses_flat_scratch, 0
	.set _ZL13mul_mat_vec_fI14__hip_bfloat16fLi1ELi128ELb0ELb1EEvPKT_PKfPKi31ggml_cuda_mm_fusion_args_devicePfi15HIP_vector_typeIjLj3EEiiiSB_iiiSB_iiii.has_dyn_sized_stack, 0
	.set _ZL13mul_mat_vec_fI14__hip_bfloat16fLi1ELi128ELb0ELb1EEvPKT_PKfPKi31ggml_cuda_mm_fusion_args_devicePfi15HIP_vector_typeIjLj3EEiiiSB_iiiSB_iiii.has_recursion, 0
	.set _ZL13mul_mat_vec_fI14__hip_bfloat16fLi1ELi128ELb0ELb1EEvPKT_PKfPKi31ggml_cuda_mm_fusion_args_devicePfi15HIP_vector_typeIjLj3EEiiiSB_iiiSB_iiii.has_indirect_call, 0
	.section	.AMDGPU.csdata,"",@progbits
; Kernel info:
; codeLenInByte = 964
; TotalNumSgprs: 30
; NumVgprs: 12
; ScratchSize: 0
; MemoryBound: 0
; FloatMode: 240
; IeeeMode: 1
; LDSByteSize: 0 bytes/workgroup (compile time only)
; SGPRBlocks: 0
; VGPRBlocks: 1
; NumSGPRsForWavesPerEU: 30
; NumVGPRsForWavesPerEU: 12
; Occupancy: 16
; WaveLimiterHint : 1
; COMPUTE_PGM_RSRC2:SCRATCH_EN: 0
; COMPUTE_PGM_RSRC2:USER_SGPR: 6
; COMPUTE_PGM_RSRC2:TRAP_HANDLER: 0
; COMPUTE_PGM_RSRC2:TGID_X_EN: 1
; COMPUTE_PGM_RSRC2:TGID_Y_EN: 1
; COMPUTE_PGM_RSRC2:TGID_Z_EN: 1
; COMPUTE_PGM_RSRC2:TIDIG_COMP_CNT: 0
	.section	.text._ZL13mul_mat_vec_fI14__hip_bfloat16fLi1ELi160ELb1ELb1EEvPKT_PKfPKi31ggml_cuda_mm_fusion_args_devicePfi15HIP_vector_typeIjLj3EEiiiSB_iiiSB_iiii,"axG",@progbits,_ZL13mul_mat_vec_fI14__hip_bfloat16fLi1ELi160ELb1ELb1EEvPKT_PKfPKi31ggml_cuda_mm_fusion_args_devicePfi15HIP_vector_typeIjLj3EEiiiSB_iiiSB_iiii,comdat
	.globl	_ZL13mul_mat_vec_fI14__hip_bfloat16fLi1ELi160ELb1ELb1EEvPKT_PKfPKi31ggml_cuda_mm_fusion_args_devicePfi15HIP_vector_typeIjLj3EEiiiSB_iiiSB_iiii ; -- Begin function _ZL13mul_mat_vec_fI14__hip_bfloat16fLi1ELi160ELb1ELb1EEvPKT_PKfPKi31ggml_cuda_mm_fusion_args_devicePfi15HIP_vector_typeIjLj3EEiiiSB_iiiSB_iiii
	.p2align	8
	.type	_ZL13mul_mat_vec_fI14__hip_bfloat16fLi1ELi160ELb1ELb1EEvPKT_PKfPKi31ggml_cuda_mm_fusion_args_devicePfi15HIP_vector_typeIjLj3EEiiiSB_iiiSB_iiii,@function
_ZL13mul_mat_vec_fI14__hip_bfloat16fLi1ELi160ELb1ELb1EEvPKT_PKfPKi31ggml_cuda_mm_fusion_args_devicePfi15HIP_vector_typeIjLj3EEiiiSB_iiiSB_iiii: ; @_ZL13mul_mat_vec_fI14__hip_bfloat16fLi1ELi160ELb1ELb1EEvPKT_PKfPKi31ggml_cuda_mm_fusion_args_devicePfi15HIP_vector_typeIjLj3EEiiiSB_iiiSB_iiii
; %bb.0:
	s_clause 0x3
	s_load_dword s1, s[4:5], 0x8c
	s_load_dwordx8 s[20:27], s[4:5], 0x0
	s_load_dwordx4 s[36:39], s[4:5], 0x20
	s_load_dwordx8 s[12:19], s[4:5], 0x40
	v_lshl_add_u32 v8, v0, 2, 0
	s_mov_b32 s0, s7
	s_waitcnt lgkmcnt(0)
	s_mul_i32 s1, s1, s8
	s_add_i32 s2, s1, s7
	s_ashr_i32 s3, s2, 31
	s_lshl_b64 s[2:3], s[2:3], 2
	s_add_u32 s10, s24, s2
	s_addc_u32 s11, s25, s3
	s_cmp_lg_u64 s[36:37], 0
	v_cmp_gt_u32_e64 s2, 32, v0
	s_cselect_b32 s1, -1, 0
	s_cmp_eq_u64 s[36:37], 0
	s_cselect_b32 s19, -1, 0
	s_and_saveexec_b32 s3, s2
	s_cbranch_execz .LBB272_3
; %bb.1:
	v_mov_b32_e32 v1, 0
	s_andn2_b32 vcc_lo, exec_lo, s1
	ds_write_b32 v8, v1
	s_cbranch_vccnz .LBB272_3
; %bb.2:
	ds_write_b32 v8, v1 offset:128
.LBB272_3:
	s_or_b32 exec_lo, exec_lo, s3
	s_load_dword s7, s[10:11], 0x0
	s_load_dwordx4 s[28:31], s[4:5], 0x68
	v_mov_b32_e32 v7, 0
	v_mov_b32_e32 v9, 0
	s_mov_b32 s9, exec_lo
	s_waitcnt lgkmcnt(0)
	s_barrier
	buffer_gl0_inv
	v_cmpx_gt_i32_e64 s12, v0
	s_cbranch_execz .LBB272_9
; %bb.4:
	s_mul_hi_u32 s3, s13, s0
	s_mul_i32 s10, s7, s28
	s_add_i32 s3, s0, s3
	s_mul_i32 s11, s16, s6
	s_lshr_b32 s3, s3, s14
	s_ashr_i32 s13, s10, 31
	s_mul_i32 s3, s3, s15
	s_ashr_i32 s14, s11, 31
	s_sub_i32 s3, s0, s3
	s_add_u32 s10, s10, s11
	s_addc_u32 s11, s13, s14
	s_mul_i32 s13, s8, s17
	s_mul_i32 s14, s3, s29
	s_lshl_b32 s16, s13, 1
	s_ashr_i32 s15, s14, 31
	s_ashr_i32 s17, s16, 31
	s_and_b32 s3, s1, exec_lo
	s_cselect_b32 s29, s11, 0
	s_cselect_b32 s28, s10, 0
	v_lshlrev_b32_e32 v5, 2, v0
	s_cselect_b32 s3, s37, 0
	s_cselect_b32 s13, s36, 0
	s_lshl_b64 s[28:29], s[28:29], 1
	v_lshlrev_b32_e32 v3, 3, v0
	s_add_u32 s13, s13, s28
	s_addc_u32 s3, s3, s29
	v_add_co_u32 v1, s13, s13, v5
	s_lshl_b64 s[14:15], s[14:15], 2
	s_lshl_b64 s[16:17], s[16:17], 2
	v_add_co_ci_u32_e64 v2, null, s3, 0, s13
	s_add_u32 s3, s22, s14
	s_addc_u32 s13, s23, s15
	s_add_u32 s3, s3, s16
	s_addc_u32 s13, s13, s17
	v_add_co_u32 v3, s3, s3, v3
	s_lshl_b64 s[10:11], s[10:11], 1
	v_add_co_ci_u32_e64 v4, null, s13, 0, s3
	s_add_u32 s3, s20, s10
	v_add_co_u32 v3, vcc_lo, v3, 4
	s_addc_u32 s10, s21, s11
	v_add_co_u32 v5, s3, s3, v5
	v_mov_b32_e32 v7, 0
	v_add_co_ci_u32_e64 v4, null, 0, v4, vcc_lo
	v_add_co_ci_u32_e64 v6, null, s10, 0, s3
	v_mov_b32_e32 v10, v0
	v_mov_b32_e32 v9, 0
	s_mov_b32 s10, 0
	s_inst_prefetch 0x1
	s_branch .LBB272_6
	.p2align	6
.LBB272_5:                              ;   in Loop: Header=BB272_6 Depth=1
	global_load_dwordx2 v[14:15], v[3:4], off offset:-4
	s_waitcnt vmcnt(1)
	v_lshlrev_b32_e32 v16, 16, v13
	v_add_nc_u32_e32 v10, 0xa0, v10
	v_add_co_u32 v1, vcc_lo, 0x280, v1
	v_and_b32_e32 v13, 0xffff0000, v13
	v_add_co_ci_u32_e64 v2, null, 0, v2, vcc_lo
	v_add_co_u32 v3, vcc_lo, 0x500, v3
	v_add_co_ci_u32_e64 v4, null, 0, v4, vcc_lo
	v_cmp_le_i32_e32 vcc_lo, s12, v10
	v_add_co_u32 v5, s3, 0x280, v5
	v_add_co_ci_u32_e64 v6, null, 0, v6, s3
	s_or_b32 s10, vcc_lo, s10
	s_waitcnt vmcnt(0)
	v_fma_f32 v12, v12, v14, v7
	v_fmac_f32_e32 v9, v14, v16
	v_fmac_f32_e32 v12, v11, v15
	v_fmac_f32_e32 v9, v15, v13
	v_cndmask_b32_e64 v7, v7, v12, s1
	s_andn2_b32 exec_lo, exec_lo, s10
	s_cbranch_execz .LBB272_8
.LBB272_6:                              ; =>This Inner Loop Header: Depth=1
	global_load_dword v13, v[5:6], off
	v_mov_b32_e32 v11, 0
	v_mov_b32_e32 v12, 0
	s_andn2_b32 vcc_lo, exec_lo, s1
	s_cbranch_vccnz .LBB272_5
; %bb.7:                                ;   in Loop: Header=BB272_6 Depth=1
	global_load_dword v11, v[1:2], off
	s_waitcnt vmcnt(0)
	v_lshlrev_b32_e32 v12, 16, v11
	v_and_b32_e32 v11, 0xffff0000, v11
	s_branch .LBB272_5
.LBB272_8:
	s_inst_prefetch 0x2
	s_or_b32 exec_lo, exec_lo, s10
.LBB272_9:
	s_or_b32 exec_lo, exec_lo, s9
	v_mbcnt_lo_u32_b32 v1, -1, 0
	s_load_dword s9, s[4:5], 0x30
	s_mov_b32 s3, -1
	v_xor_b32_e32 v2, 16, v1
	v_xor_b32_e32 v3, 8, v1
	v_cmp_gt_i32_e32 vcc_lo, 32, v2
	v_cndmask_b32_e32 v2, v1, v2, vcc_lo
	v_cmp_gt_i32_e32 vcc_lo, 32, v3
	v_lshlrev_b32_e32 v2, 2, v2
	v_cndmask_b32_e32 v3, v1, v3, vcc_lo
	ds_bpermute_b32 v4, v2, v9
	v_lshlrev_b32_e32 v3, 2, v3
	s_waitcnt lgkmcnt(0)
	v_add_f32_e32 v5, v9, v4
	v_xor_b32_e32 v4, 4, v1
	ds_bpermute_b32 v6, v3, v5
	v_cmp_gt_i32_e32 vcc_lo, 32, v4
	v_cndmask_b32_e32 v4, v1, v4, vcc_lo
	v_lshlrev_b32_e32 v4, 2, v4
	s_waitcnt lgkmcnt(0)
	v_add_f32_e32 v6, v5, v6
	v_xor_b32_e32 v5, 2, v1
	ds_bpermute_b32 v9, v4, v6
	v_cmp_gt_i32_e32 vcc_lo, 32, v5
	v_cndmask_b32_e32 v5, v1, v5, vcc_lo
	;; [unrolled: 7-line block ×3, first 2 shown]
	s_and_b32 vcc_lo, exec_lo, s19
	v_lshlrev_b32_e32 v6, 2, v1
	s_waitcnt lgkmcnt(0)
	v_add_f32_e32 v1, v9, v10
	v_lshrrev_b32_e32 v10, 5, v0
	ds_bpermute_b32 v9, v6, v1
	s_waitcnt lgkmcnt(0)
	v_add_f32_e32 v1, v1, v9
	v_lshl_add_u32 v9, v10, 2, 0
	s_cbranch_vccz .LBB272_11
; %bb.10:
	s_mov_b32 s3, 0
	ds_write_b32 v9, v1
.LBB272_11:
	s_andn2_b32 vcc_lo, exec_lo, s3
	s_cbranch_vccnz .LBB272_13
; %bb.12:
	ds_bpermute_b32 v10, v2, v7
	s_waitcnt lgkmcnt(0)
	v_add_f32_e32 v7, v7, v10
	ds_bpermute_b32 v10, v3, v7
	s_waitcnt lgkmcnt(0)
	v_add_f32_e32 v7, v7, v10
	;; [unrolled: 3-line block ×5, first 2 shown]
	ds_write2_b32 v9, v1, v7 offset1:32
.LBB272_13:
	s_waitcnt lgkmcnt(0)
	s_barrier
	buffer_gl0_inv
	s_and_saveexec_b32 s3, s2
	s_cbranch_execz .LBB272_17
; %bb.14:
	ds_read_b32 v1, v8
	s_andn2_b32 vcc_lo, exec_lo, s1
	s_waitcnt lgkmcnt(0)
	ds_bpermute_b32 v9, v2, v1
	s_waitcnt lgkmcnt(0)
	v_add_f32_e32 v1, v1, v9
	ds_bpermute_b32 v9, v3, v1
	s_waitcnt lgkmcnt(0)
	v_add_f32_e32 v1, v1, v9
	;; [unrolled: 3-line block ×4, first 2 shown]
	ds_bpermute_b32 v9, v6, v1
	s_cbranch_vccnz .LBB272_16
; %bb.15:
	ds_read_b32 v7, v8 offset:128
	s_waitcnt lgkmcnt(0)
	ds_bpermute_b32 v2, v2, v7
	s_waitcnt lgkmcnt(0)
	v_add_f32_e32 v2, v7, v2
	ds_bpermute_b32 v3, v3, v2
	s_waitcnt lgkmcnt(0)
	v_add_f32_e32 v2, v2, v3
	ds_bpermute_b32 v3, v4, v2
	s_waitcnt lgkmcnt(0)
	v_add_f32_e32 v2, v2, v3
	ds_bpermute_b32 v3, v5, v2
	s_waitcnt lgkmcnt(0)
	v_add_f32_e32 v2, v2, v3
	ds_bpermute_b32 v3, v6, v2
	s_waitcnt lgkmcnt(0)
	v_add_f32_e32 v7, v2, v3
.LBB272_16:
	s_waitcnt lgkmcnt(0)
	v_add_f32_e32 v1, v1, v9
.LBB272_17:
	s_or_b32 exec_lo, exec_lo, s3
	s_barrier
	buffer_gl0_inv
	s_mov_b32 s2, exec_lo
	v_cmpx_eq_u32_e32 0, v0
	s_cbranch_execz .LBB272_41
; %bb.18:
	s_cmp_eq_u64 s[26:27], 0
	s_cselect_b32 s10, -1, 0
	s_cmp_eq_u64 s[24:25], 0
	s_cselect_b32 s2, s0, s7
	s_mul_i32 s2, s2, s30
	s_ashr_i32 s3, s2, 31
	s_and_b32 vcc_lo, exec_lo, s10
	s_cbranch_vccnz .LBB272_20
; %bb.19:
	s_cselect_b32 s7, 0, s27
	s_cselect_b32 s12, 0, s26
	s_lshl_b64 s[10:11], s[2:3], 2
	s_add_u32 s12, s12, s10
	s_addc_u32 s13, s7, s11
	s_ashr_i32 s7, s6, 31
	s_lshl_b64 s[10:11], s[6:7], 2
	s_add_u32 s10, s12, s10
	s_addc_u32 s11, s13, s11
	s_load_dword s7, s[10:11], 0x0
	s_waitcnt lgkmcnt(0)
	v_add_f32_e32 v1, s7, v1
.LBB272_20:
	s_andn2_b32 vcc_lo, exec_lo, s1
	s_cbranch_vccnz .LBB272_40
; %bb.21:
	s_cmp_lg_u64 s[38:39], 0
	s_cselect_b32 s7, -1, 0
	s_and_b32 s1, s7, s1
	s_andn2_b32 vcc_lo, exec_lo, s1
	s_cbranch_vccnz .LBB272_23
; %bb.22:
	s_and_b32 s7, s7, exec_lo
	s_cselect_b32 s7, s39, 0
	s_cselect_b32 s10, s38, 0
	s_and_b32 s1, s1, exec_lo
	s_cselect_b32 s3, s3, 0
	s_cselect_b32 s2, s2, 0
	s_lshl_b64 s[2:3], s[2:3], 2
	s_add_u32 s1, s10, s2
	s_addc_u32 s10, s7, s3
	s_ashr_i32 s7, s6, 31
	s_lshl_b64 s[2:3], s[6:7], 2
	s_add_u32 s2, s1, s2
	s_addc_u32 s3, s10, s3
	s_load_dword s1, s[2:3], 0x0
	s_waitcnt lgkmcnt(0)
	v_add_f32_e32 v7, s1, v7
.LBB272_23:
	s_cmp_lt_i32 s9, 2
	s_cbranch_scc1 .LBB272_28
; %bb.24:
	s_cmp_lt_i32 s9, 3
	s_cbranch_scc1 .LBB272_29
; %bb.25:
	v_mov_b32_e32 v0, v1
	s_cmp_eq_u32 s9, 3
	s_cbranch_scc0 .LBB272_27
; %bb.26:
	v_max_f32_e32 v0, v7, v7
	v_min_f32_e32 v0, 0x40e00000, v0
	v_mul_f32_e32 v2, 0xbfd9db23, v0
	v_mul_f32_e32 v3, 0x3fb8aa3b, v2
	v_cmp_ngt_f32_e32 vcc_lo, 0xc2ce8ed0, v2
	v_fma_f32 v4, 0x3fb8aa3b, v2, -v3
	v_rndne_f32_e32 v5, v3
	v_fmamk_f32 v4, v2, 0x32a5705f, v4
	v_sub_f32_e32 v3, v3, v5
	v_add_f32_e32 v3, v3, v4
	v_cvt_i32_f32_e32 v4, v5
	v_exp_f32_e32 v3, v3
	v_ldexp_f32 v3, v3, v4
	v_cndmask_b32_e32 v3, 0, v3, vcc_lo
	v_cmp_nlt_f32_e32 vcc_lo, 0x42b17218, v2
	v_cndmask_b32_e32 v2, 0x7f800000, v3, vcc_lo
	v_add_f32_e32 v2, 1.0, v2
	v_div_scale_f32 v3, null, v2, v2, v0
	v_div_scale_f32 v6, vcc_lo, v0, v2, v0
	v_rcp_f32_e32 v4, v3
	v_fma_f32 v5, -v3, v4, 1.0
	v_fmac_f32_e32 v4, v5, v4
	v_mul_f32_e32 v5, v6, v4
	v_fma_f32 v8, -v3, v5, v6
	v_fmac_f32_e32 v5, v8, v4
	v_max_f32_e32 v8, v1, v1
	v_fma_f32 v3, -v3, v5, v6
	v_min_f32_e32 v6, 0x40e00000, v8
	v_div_fmas_f32 v3, v3, v4, v5
	v_max_f32_e32 v4, 0xc0e00000, v6
	v_div_fixup_f32 v0, v3, v2, v0
	v_add_f32_e32 v2, 1.0, v4
	v_mul_f32_e32 v0, v2, v0
.LBB272_27:
	s_cbranch_execz .LBB272_30
	s_branch .LBB272_31
.LBB272_28:
                                        ; implicit-def: $vgpr0
	s_branch .LBB272_32
.LBB272_29:
                                        ; implicit-def: $vgpr0
.LBB272_30:
	v_mul_f32_e32 v0, 0xbfb8aa3b, v7
	v_cmp_nlt_f32_e32 vcc_lo, 0x42ce8ed0, v7
	v_rndne_f32_e32 v2, v0
	v_fma_f32 v3, 0xbfb8aa3b, v7, -v0
	v_sub_f32_e32 v0, v0, v2
	v_fmamk_f32 v3, v7, 0xb2a5705f, v3
	v_cvt_i32_f32_e32 v2, v2
	v_add_f32_e32 v0, v0, v3
	v_exp_f32_e32 v0, v0
	v_ldexp_f32 v0, v0, v2
	v_cndmask_b32_e32 v0, 0, v0, vcc_lo
	v_cmp_ngt_f32_e32 vcc_lo, 0xc2b17218, v7
	v_cndmask_b32_e32 v0, 0x7f800000, v0, vcc_lo
	v_add_f32_e32 v0, 1.0, v0
	v_div_scale_f32 v2, null, v0, v0, v7
	v_rcp_f32_e32 v3, v2
	v_fma_f32 v4, -v2, v3, 1.0
	v_fmac_f32_e32 v3, v4, v3
	v_div_scale_f32 v4, vcc_lo, v7, v0, v7
	v_mul_f32_e32 v5, v4, v3
	v_fma_f32 v6, -v2, v5, v4
	v_fmac_f32_e32 v5, v6, v3
	v_fma_f32 v2, -v2, v5, v4
	v_div_fmas_f32 v2, v2, v3, v5
	v_div_fixup_f32 v0, v2, v0, v7
	v_mul_f32_e32 v0, v1, v0
.LBB272_31:
	s_cbranch_execnz .LBB272_39
.LBB272_32:
	s_cmp_eq_u32 s9, 1
	s_cbranch_scc0 .LBB272_38
; %bb.33:
	v_mul_f32_e32 v0, 0x3d372713, v7
	v_mul_f32_e32 v2, 0x3f4c422a, v7
	v_fma_f32 v0, v7, v0, 1.0
	v_mul_f32_e32 v0, v2, v0
                                        ; implicit-def: $vgpr2
	v_cmp_ngt_f32_e64 s1, 0x3f200000, |v0|
	s_and_saveexec_b32 s2, s1
	s_xor_b32 s1, exec_lo, s2
	s_cbranch_execz .LBB272_35
; %bb.34:
	v_add_f32_e64 v2, |v0|, |v0|
	v_mul_f32_e32 v3, 0x3fb8aa3b, v2
	v_cmp_ngt_f32_e32 vcc_lo, 0xc2ce8ed0, v2
	v_rndne_f32_e32 v4, v3
	v_fma_f32 v5, 0x3fb8aa3b, v2, -v3
	v_sub_f32_e32 v3, v3, v4
	v_fmamk_f32 v5, v2, 0x32a5705f, v5
	v_cvt_i32_f32_e32 v4, v4
	v_add_f32_e32 v3, v3, v5
	v_exp_f32_e32 v3, v3
	v_ldexp_f32 v3, v3, v4
	v_cndmask_b32_e32 v3, 0, v3, vcc_lo
	v_cmp_nlt_f32_e32 vcc_lo, 0x42b17218, v2
	v_cndmask_b32_e32 v2, 0x7f800000, v3, vcc_lo
	v_add_f32_e32 v2, 1.0, v2
	v_rcp_f32_e32 v2, v2
	v_fma_f32 v2, v2, -2.0, 1.0
.LBB272_35:
	s_andn2_saveexec_b32 s1, s1
	s_cbranch_execz .LBB272_37
; %bb.36:
	v_mul_f32_e32 v2, v0, v0
	s_mov_b32 s2, 0xbbbac73d
	v_fmaak_f32 v3, s2, v2, 0x3ca908c9
	v_fmaak_f32 v3, v2, v3, 0xbd5c1c4e
	;; [unrolled: 1-line block ×4, first 2 shown]
	v_mul_f32_e64 v3, |v0|, v3
	v_fma_f32 v2, v2, v3, |v0|
.LBB272_37:
	s_or_b32 exec_lo, exec_lo, s1
	v_bfi_b32 v0, 0x7fffffff, v2, v0
	v_mul_f32_e32 v2, 0.5, v7
	v_add_f32_e32 v0, 1.0, v0
	v_mul_f32_e32 v0, v2, v0
	v_mul_f32_e32 v1, v1, v0
.LBB272_38:
	v_mov_b32_e32 v0, v1
.LBB272_39:
	v_mov_b32_e32 v1, v0
.LBB272_40:
	s_load_dwordx2 s[2:3], s[4:5], 0x38
	s_mul_i32 s0, s30, s0
	s_mul_i32 s4, s18, s8
	s_ashr_i32 s1, s0, 31
	v_mov_b32_e32 v0, 0
	s_lshl_b64 s[0:1], s[0:1], 2
	s_waitcnt lgkmcnt(0)
	s_add_u32 s2, s2, s0
	s_addc_u32 s3, s3, s1
	s_ashr_i32 s5, s4, 31
	s_lshl_b64 s[0:1], s[4:5], 2
	s_add_u32 s2, s2, s0
	s_addc_u32 s3, s3, s1
	s_ashr_i32 s7, s6, 31
	s_lshl_b64 s[0:1], s[6:7], 2
	s_add_u32 s0, s2, s0
	s_addc_u32 s1, s3, s1
	global_store_dword v0, v1, s[0:1]
.LBB272_41:
	s_endpgm
	.section	.rodata,"a",@progbits
	.p2align	6, 0x0
	.amdhsa_kernel _ZL13mul_mat_vec_fI14__hip_bfloat16fLi1ELi160ELb1ELb1EEvPKT_PKfPKi31ggml_cuda_mm_fusion_args_devicePfi15HIP_vector_typeIjLj3EEiiiSB_iiiSB_iiii
		.amdhsa_group_segment_fixed_size 0
		.amdhsa_private_segment_fixed_size 0
		.amdhsa_kernarg_size 144
		.amdhsa_user_sgpr_count 6
		.amdhsa_user_sgpr_private_segment_buffer 1
		.amdhsa_user_sgpr_dispatch_ptr 0
		.amdhsa_user_sgpr_queue_ptr 0
		.amdhsa_user_sgpr_kernarg_segment_ptr 1
		.amdhsa_user_sgpr_dispatch_id 0
		.amdhsa_user_sgpr_flat_scratch_init 0
		.amdhsa_user_sgpr_private_segment_size 0
		.amdhsa_wavefront_size32 1
		.amdhsa_uses_dynamic_stack 0
		.amdhsa_system_sgpr_private_segment_wavefront_offset 0
		.amdhsa_system_sgpr_workgroup_id_x 1
		.amdhsa_system_sgpr_workgroup_id_y 1
		.amdhsa_system_sgpr_workgroup_id_z 1
		.amdhsa_system_sgpr_workgroup_info 0
		.amdhsa_system_vgpr_workitem_id 0
		.amdhsa_next_free_vgpr 17
		.amdhsa_next_free_sgpr 40
		.amdhsa_reserve_vcc 1
		.amdhsa_reserve_flat_scratch 0
		.amdhsa_float_round_mode_32 0
		.amdhsa_float_round_mode_16_64 0
		.amdhsa_float_denorm_mode_32 3
		.amdhsa_float_denorm_mode_16_64 3
		.amdhsa_dx10_clamp 1
		.amdhsa_ieee_mode 1
		.amdhsa_fp16_overflow 0
		.amdhsa_workgroup_processor_mode 1
		.amdhsa_memory_ordered 1
		.amdhsa_forward_progress 1
		.amdhsa_shared_vgpr_count 0
		.amdhsa_exception_fp_ieee_invalid_op 0
		.amdhsa_exception_fp_denorm_src 0
		.amdhsa_exception_fp_ieee_div_zero 0
		.amdhsa_exception_fp_ieee_overflow 0
		.amdhsa_exception_fp_ieee_underflow 0
		.amdhsa_exception_fp_ieee_inexact 0
		.amdhsa_exception_int_div_zero 0
	.end_amdhsa_kernel
	.section	.text._ZL13mul_mat_vec_fI14__hip_bfloat16fLi1ELi160ELb1ELb1EEvPKT_PKfPKi31ggml_cuda_mm_fusion_args_devicePfi15HIP_vector_typeIjLj3EEiiiSB_iiiSB_iiii,"axG",@progbits,_ZL13mul_mat_vec_fI14__hip_bfloat16fLi1ELi160ELb1ELb1EEvPKT_PKfPKi31ggml_cuda_mm_fusion_args_devicePfi15HIP_vector_typeIjLj3EEiiiSB_iiiSB_iiii,comdat
.Lfunc_end272:
	.size	_ZL13mul_mat_vec_fI14__hip_bfloat16fLi1ELi160ELb1ELb1EEvPKT_PKfPKi31ggml_cuda_mm_fusion_args_devicePfi15HIP_vector_typeIjLj3EEiiiSB_iiiSB_iiii, .Lfunc_end272-_ZL13mul_mat_vec_fI14__hip_bfloat16fLi1ELi160ELb1ELb1EEvPKT_PKfPKi31ggml_cuda_mm_fusion_args_devicePfi15HIP_vector_typeIjLj3EEiiiSB_iiiSB_iiii
                                        ; -- End function
	.set _ZL13mul_mat_vec_fI14__hip_bfloat16fLi1ELi160ELb1ELb1EEvPKT_PKfPKi31ggml_cuda_mm_fusion_args_devicePfi15HIP_vector_typeIjLj3EEiiiSB_iiiSB_iiii.num_vgpr, 17
	.set _ZL13mul_mat_vec_fI14__hip_bfloat16fLi1ELi160ELb1ELb1EEvPKT_PKfPKi31ggml_cuda_mm_fusion_args_devicePfi15HIP_vector_typeIjLj3EEiiiSB_iiiSB_iiii.num_agpr, 0
	.set _ZL13mul_mat_vec_fI14__hip_bfloat16fLi1ELi160ELb1ELb1EEvPKT_PKfPKi31ggml_cuda_mm_fusion_args_devicePfi15HIP_vector_typeIjLj3EEiiiSB_iiiSB_iiii.numbered_sgpr, 40
	.set _ZL13mul_mat_vec_fI14__hip_bfloat16fLi1ELi160ELb1ELb1EEvPKT_PKfPKi31ggml_cuda_mm_fusion_args_devicePfi15HIP_vector_typeIjLj3EEiiiSB_iiiSB_iiii.num_named_barrier, 0
	.set _ZL13mul_mat_vec_fI14__hip_bfloat16fLi1ELi160ELb1ELb1EEvPKT_PKfPKi31ggml_cuda_mm_fusion_args_devicePfi15HIP_vector_typeIjLj3EEiiiSB_iiiSB_iiii.private_seg_size, 0
	.set _ZL13mul_mat_vec_fI14__hip_bfloat16fLi1ELi160ELb1ELb1EEvPKT_PKfPKi31ggml_cuda_mm_fusion_args_devicePfi15HIP_vector_typeIjLj3EEiiiSB_iiiSB_iiii.uses_vcc, 1
	.set _ZL13mul_mat_vec_fI14__hip_bfloat16fLi1ELi160ELb1ELb1EEvPKT_PKfPKi31ggml_cuda_mm_fusion_args_devicePfi15HIP_vector_typeIjLj3EEiiiSB_iiiSB_iiii.uses_flat_scratch, 0
	.set _ZL13mul_mat_vec_fI14__hip_bfloat16fLi1ELi160ELb1ELb1EEvPKT_PKfPKi31ggml_cuda_mm_fusion_args_devicePfi15HIP_vector_typeIjLj3EEiiiSB_iiiSB_iiii.has_dyn_sized_stack, 0
	.set _ZL13mul_mat_vec_fI14__hip_bfloat16fLi1ELi160ELb1ELb1EEvPKT_PKfPKi31ggml_cuda_mm_fusion_args_devicePfi15HIP_vector_typeIjLj3EEiiiSB_iiiSB_iiii.has_recursion, 0
	.set _ZL13mul_mat_vec_fI14__hip_bfloat16fLi1ELi160ELb1ELb1EEvPKT_PKfPKi31ggml_cuda_mm_fusion_args_devicePfi15HIP_vector_typeIjLj3EEiiiSB_iiiSB_iiii.has_indirect_call, 0
	.section	.AMDGPU.csdata,"",@progbits
; Kernel info:
; codeLenInByte = 2160
; TotalNumSgprs: 42
; NumVgprs: 17
; ScratchSize: 0
; MemoryBound: 0
; FloatMode: 240
; IeeeMode: 1
; LDSByteSize: 0 bytes/workgroup (compile time only)
; SGPRBlocks: 0
; VGPRBlocks: 2
; NumSGPRsForWavesPerEU: 42
; NumVGPRsForWavesPerEU: 17
; Occupancy: 16
; WaveLimiterHint : 1
; COMPUTE_PGM_RSRC2:SCRATCH_EN: 0
; COMPUTE_PGM_RSRC2:USER_SGPR: 6
; COMPUTE_PGM_RSRC2:TRAP_HANDLER: 0
; COMPUTE_PGM_RSRC2:TGID_X_EN: 1
; COMPUTE_PGM_RSRC2:TGID_Y_EN: 1
; COMPUTE_PGM_RSRC2:TGID_Z_EN: 1
; COMPUTE_PGM_RSRC2:TIDIG_COMP_CNT: 0
	.section	.text._ZL13mul_mat_vec_fI14__hip_bfloat16fLi1ELi160ELb0ELb1EEvPKT_PKfPKi31ggml_cuda_mm_fusion_args_devicePfi15HIP_vector_typeIjLj3EEiiiSB_iiiSB_iiii,"axG",@progbits,_ZL13mul_mat_vec_fI14__hip_bfloat16fLi1ELi160ELb0ELb1EEvPKT_PKfPKi31ggml_cuda_mm_fusion_args_devicePfi15HIP_vector_typeIjLj3EEiiiSB_iiiSB_iiii,comdat
	.globl	_ZL13mul_mat_vec_fI14__hip_bfloat16fLi1ELi160ELb0ELb1EEvPKT_PKfPKi31ggml_cuda_mm_fusion_args_devicePfi15HIP_vector_typeIjLj3EEiiiSB_iiiSB_iiii ; -- Begin function _ZL13mul_mat_vec_fI14__hip_bfloat16fLi1ELi160ELb0ELb1EEvPKT_PKfPKi31ggml_cuda_mm_fusion_args_devicePfi15HIP_vector_typeIjLj3EEiiiSB_iiiSB_iiii
	.p2align	8
	.type	_ZL13mul_mat_vec_fI14__hip_bfloat16fLi1ELi160ELb0ELb1EEvPKT_PKfPKi31ggml_cuda_mm_fusion_args_devicePfi15HIP_vector_typeIjLj3EEiiiSB_iiiSB_iiii,@function
_ZL13mul_mat_vec_fI14__hip_bfloat16fLi1ELi160ELb0ELb1EEvPKT_PKfPKi31ggml_cuda_mm_fusion_args_devicePfi15HIP_vector_typeIjLj3EEiiiSB_iiiSB_iiii: ; @_ZL13mul_mat_vec_fI14__hip_bfloat16fLi1ELi160ELb0ELb1EEvPKT_PKfPKi31ggml_cuda_mm_fusion_args_devicePfi15HIP_vector_typeIjLj3EEiiiSB_iiiSB_iiii
; %bb.0:
	s_clause 0x2
	s_load_dword s2, s[4:5], 0x8c
	s_load_dwordx2 s[0:1], s[4:5], 0x10
	s_load_dwordx8 s[12:19], s[4:5], 0x40
	v_cmp_gt_u32_e32 vcc_lo, 32, v0
	v_lshl_add_u32 v5, v0, 2, 0
	s_waitcnt lgkmcnt(0)
	s_mul_i32 s2, s2, s8
	s_add_i32 s2, s2, s7
	s_ashr_i32 s3, s2, 31
	s_lshl_b64 s[2:3], s[2:3], 2
	s_add_u32 s2, s0, s2
	s_addc_u32 s3, s1, s3
	s_and_saveexec_b32 s0, vcc_lo
; %bb.1:
	v_mov_b32_e32 v1, 0
	ds_write_b32 v5, v1
; %bb.2:
	s_or_b32 exec_lo, exec_lo, s0
	s_load_dwordx4 s[20:23], s[4:5], 0x68
	v_mov_b32_e32 v6, 0
	s_mov_b32 s9, exec_lo
	s_waitcnt lgkmcnt(0)
	s_barrier
	buffer_gl0_inv
	v_cmpx_gt_i32_e64 s12, v0
	s_cbranch_execz .LBB273_6
; %bb.3:
	s_load_dword s19, s[2:3], 0x0
	s_load_dwordx4 s[24:27], s[4:5], 0x0
	s_mul_hi_u32 s0, s13, s7
	s_mul_i32 s1, s8, s17
	s_add_i32 s0, s7, s0
	s_mul_i32 s2, s16, s6
	s_lshr_b32 s0, s0, s14
	v_lshlrev_b32_e32 v1, 3, v0
	s_mul_i32 s10, s0, s15
	s_lshl_b32 s0, s1, 1
	s_sub_i32 s10, s7, s10
	s_ashr_i32 s1, s0, 31
	s_mul_i32 s10, s10, s21
	s_ashr_i32 s3, s2, 31
	s_ashr_i32 s11, s10, 31
	s_lshl_b64 s[0:1], s[0:1], 2
	s_lshl_b64 s[10:11], s[10:11], 2
	v_lshlrev_b32_e32 v3, 2, v0
	v_mov_b32_e32 v6, 0
	v_mov_b32_e32 v7, v0
	s_waitcnt lgkmcnt(0)
	s_mul_i32 s14, s19, s20
	s_ashr_i32 s15, s14, 31
	s_add_u32 s10, s26, s10
	s_addc_u32 s11, s27, s11
	s_add_u32 s0, s10, s0
	s_addc_u32 s1, s11, s1
	v_add_co_u32 v1, s0, s0, v1
	v_add_co_ci_u32_e64 v2, null, s1, 0, s0
	s_lshl_b64 s[10:11], s[14:15], 1
	v_add_co_u32 v1, s0, v1, 4
	v_add_co_ci_u32_e64 v2, null, 0, v2, s0
	s_lshl_b64 s[0:1], s[2:3], 1
	s_add_u32 s2, s24, s10
	s_addc_u32 s3, s25, s11
	s_add_u32 s0, s2, s0
	s_addc_u32 s1, s3, s1
	v_add_co_u32 v3, s0, s0, v3
	v_add_co_ci_u32_e64 v4, null, s1, 0, s0
	s_mov_b32 s2, 0
	.p2align	6
.LBB273_4:                              ; =>This Inner Loop Header: Depth=1
	global_load_dword v10, v[3:4], off
	global_load_dwordx2 v[8:9], v[1:2], off offset:-4
	v_add_nc_u32_e32 v7, 0xa0, v7
	v_add_co_u32 v1, s0, 0x500, v1
	v_add_co_ci_u32_e64 v2, null, 0, v2, s0
	v_add_co_u32 v3, s0, 0x280, v3
	v_cmp_le_i32_e64 s1, s12, v7
	v_add_co_ci_u32_e64 v4, null, 0, v4, s0
	s_or_b32 s2, s1, s2
	s_waitcnt vmcnt(1)
	v_lshlrev_b32_e32 v11, 16, v10
	v_and_b32_e32 v10, 0xffff0000, v10
	s_waitcnt vmcnt(0)
	v_fmac_f32_e32 v6, v8, v11
	v_fmac_f32_e32 v6, v9, v10
	s_andn2_b32 exec_lo, exec_lo, s2
	s_cbranch_execnz .LBB273_4
; %bb.5:
	s_or_b32 exec_lo, exec_lo, s2
.LBB273_6:
	s_or_b32 exec_lo, exec_lo, s9
	v_mbcnt_lo_u32_b32 v2, -1, 0
	v_xor_b32_e32 v1, 16, v2
	v_xor_b32_e32 v3, 8, v2
	v_cmp_gt_i32_e64 s0, 32, v1
	v_cndmask_b32_e64 v1, v2, v1, s0
	v_cmp_gt_i32_e64 s0, 32, v3
	v_lshlrev_b32_e32 v1, 2, v1
	v_cndmask_b32_e64 v3, v2, v3, s0
	ds_bpermute_b32 v4, v1, v6
	v_lshlrev_b32_e32 v3, 2, v3
	s_waitcnt lgkmcnt(0)
	v_add_f32_e32 v6, v6, v4
	v_xor_b32_e32 v4, 4, v2
	ds_bpermute_b32 v7, v3, v6
	v_cmp_gt_i32_e64 s0, 32, v4
	v_cndmask_b32_e64 v4, v2, v4, s0
	v_lshlrev_b32_e32 v4, 2, v4
	s_waitcnt lgkmcnt(0)
	v_add_f32_e32 v7, v6, v7
	v_xor_b32_e32 v6, 2, v2
	ds_bpermute_b32 v8, v4, v7
	v_cmp_gt_i32_e64 s0, 32, v6
	v_cndmask_b32_e64 v6, v2, v6, s0
	;; [unrolled: 7-line block ×3, first 2 shown]
	v_lshlrev_b32_e32 v7, 2, v2
	s_waitcnt lgkmcnt(0)
	v_add_f32_e32 v2, v8, v9
	v_lshrrev_b32_e32 v9, 3, v0
	ds_bpermute_b32 v8, v7, v2
	v_and_b32_e32 v9, 0x7c, v9
	v_add_nc_u32_e32 v9, 0, v9
	s_waitcnt lgkmcnt(0)
	v_add_f32_e32 v2, v2, v8
	ds_write_b32 v9, v2
	s_waitcnt lgkmcnt(0)
	s_barrier
	buffer_gl0_inv
	s_and_saveexec_b32 s0, vcc_lo
	s_cbranch_execz .LBB273_8
; %bb.7:
	ds_read_b32 v2, v5
	s_waitcnt lgkmcnt(0)
	ds_bpermute_b32 v1, v1, v2
	s_waitcnt lgkmcnt(0)
	v_add_f32_e32 v1, v2, v1
	ds_bpermute_b32 v2, v3, v1
	s_waitcnt lgkmcnt(0)
	v_add_f32_e32 v1, v1, v2
	;; [unrolled: 3-line block ×5, first 2 shown]
.LBB273_8:
	s_or_b32 exec_lo, exec_lo, s0
	s_barrier
	buffer_gl0_inv
	s_mov_b32 s0, exec_lo
	v_cmpx_eq_u32_e32 0, v0
	s_cbranch_execz .LBB273_10
; %bb.9:
	s_load_dwordx2 s[0:1], s[4:5], 0x38
	s_mul_i32 s2, s22, s7
	s_mul_i32 s4, s18, s8
	s_ashr_i32 s3, s2, 31
	v_mov_b32_e32 v0, 0
	s_lshl_b64 s[2:3], s[2:3], 2
	s_waitcnt lgkmcnt(0)
	s_add_u32 s2, s0, s2
	s_addc_u32 s3, s1, s3
	s_ashr_i32 s5, s4, 31
	s_lshl_b64 s[0:1], s[4:5], 2
	s_add_u32 s2, s2, s0
	s_addc_u32 s3, s3, s1
	s_ashr_i32 s7, s6, 31
	s_lshl_b64 s[0:1], s[6:7], 2
	s_add_u32 s0, s2, s0
	s_addc_u32 s1, s3, s1
	global_store_dword v0, v2, s[0:1]
.LBB273_10:
	s_endpgm
	.section	.rodata,"a",@progbits
	.p2align	6, 0x0
	.amdhsa_kernel _ZL13mul_mat_vec_fI14__hip_bfloat16fLi1ELi160ELb0ELb1EEvPKT_PKfPKi31ggml_cuda_mm_fusion_args_devicePfi15HIP_vector_typeIjLj3EEiiiSB_iiiSB_iiii
		.amdhsa_group_segment_fixed_size 0
		.amdhsa_private_segment_fixed_size 0
		.amdhsa_kernarg_size 144
		.amdhsa_user_sgpr_count 6
		.amdhsa_user_sgpr_private_segment_buffer 1
		.amdhsa_user_sgpr_dispatch_ptr 0
		.amdhsa_user_sgpr_queue_ptr 0
		.amdhsa_user_sgpr_kernarg_segment_ptr 1
		.amdhsa_user_sgpr_dispatch_id 0
		.amdhsa_user_sgpr_flat_scratch_init 0
		.amdhsa_user_sgpr_private_segment_size 0
		.amdhsa_wavefront_size32 1
		.amdhsa_uses_dynamic_stack 0
		.amdhsa_system_sgpr_private_segment_wavefront_offset 0
		.amdhsa_system_sgpr_workgroup_id_x 1
		.amdhsa_system_sgpr_workgroup_id_y 1
		.amdhsa_system_sgpr_workgroup_id_z 1
		.amdhsa_system_sgpr_workgroup_info 0
		.amdhsa_system_vgpr_workitem_id 0
		.amdhsa_next_free_vgpr 12
		.amdhsa_next_free_sgpr 28
		.amdhsa_reserve_vcc 1
		.amdhsa_reserve_flat_scratch 0
		.amdhsa_float_round_mode_32 0
		.amdhsa_float_round_mode_16_64 0
		.amdhsa_float_denorm_mode_32 3
		.amdhsa_float_denorm_mode_16_64 3
		.amdhsa_dx10_clamp 1
		.amdhsa_ieee_mode 1
		.amdhsa_fp16_overflow 0
		.amdhsa_workgroup_processor_mode 1
		.amdhsa_memory_ordered 1
		.amdhsa_forward_progress 1
		.amdhsa_shared_vgpr_count 0
		.amdhsa_exception_fp_ieee_invalid_op 0
		.amdhsa_exception_fp_denorm_src 0
		.amdhsa_exception_fp_ieee_div_zero 0
		.amdhsa_exception_fp_ieee_overflow 0
		.amdhsa_exception_fp_ieee_underflow 0
		.amdhsa_exception_fp_ieee_inexact 0
		.amdhsa_exception_int_div_zero 0
	.end_amdhsa_kernel
	.section	.text._ZL13mul_mat_vec_fI14__hip_bfloat16fLi1ELi160ELb0ELb1EEvPKT_PKfPKi31ggml_cuda_mm_fusion_args_devicePfi15HIP_vector_typeIjLj3EEiiiSB_iiiSB_iiii,"axG",@progbits,_ZL13mul_mat_vec_fI14__hip_bfloat16fLi1ELi160ELb0ELb1EEvPKT_PKfPKi31ggml_cuda_mm_fusion_args_devicePfi15HIP_vector_typeIjLj3EEiiiSB_iiiSB_iiii,comdat
.Lfunc_end273:
	.size	_ZL13mul_mat_vec_fI14__hip_bfloat16fLi1ELi160ELb0ELb1EEvPKT_PKfPKi31ggml_cuda_mm_fusion_args_devicePfi15HIP_vector_typeIjLj3EEiiiSB_iiiSB_iiii, .Lfunc_end273-_ZL13mul_mat_vec_fI14__hip_bfloat16fLi1ELi160ELb0ELb1EEvPKT_PKfPKi31ggml_cuda_mm_fusion_args_devicePfi15HIP_vector_typeIjLj3EEiiiSB_iiiSB_iiii
                                        ; -- End function
	.set _ZL13mul_mat_vec_fI14__hip_bfloat16fLi1ELi160ELb0ELb1EEvPKT_PKfPKi31ggml_cuda_mm_fusion_args_devicePfi15HIP_vector_typeIjLj3EEiiiSB_iiiSB_iiii.num_vgpr, 12
	.set _ZL13mul_mat_vec_fI14__hip_bfloat16fLi1ELi160ELb0ELb1EEvPKT_PKfPKi31ggml_cuda_mm_fusion_args_devicePfi15HIP_vector_typeIjLj3EEiiiSB_iiiSB_iiii.num_agpr, 0
	.set _ZL13mul_mat_vec_fI14__hip_bfloat16fLi1ELi160ELb0ELb1EEvPKT_PKfPKi31ggml_cuda_mm_fusion_args_devicePfi15HIP_vector_typeIjLj3EEiiiSB_iiiSB_iiii.numbered_sgpr, 28
	.set _ZL13mul_mat_vec_fI14__hip_bfloat16fLi1ELi160ELb0ELb1EEvPKT_PKfPKi31ggml_cuda_mm_fusion_args_devicePfi15HIP_vector_typeIjLj3EEiiiSB_iiiSB_iiii.num_named_barrier, 0
	.set _ZL13mul_mat_vec_fI14__hip_bfloat16fLi1ELi160ELb0ELb1EEvPKT_PKfPKi31ggml_cuda_mm_fusion_args_devicePfi15HIP_vector_typeIjLj3EEiiiSB_iiiSB_iiii.private_seg_size, 0
	.set _ZL13mul_mat_vec_fI14__hip_bfloat16fLi1ELi160ELb0ELb1EEvPKT_PKfPKi31ggml_cuda_mm_fusion_args_devicePfi15HIP_vector_typeIjLj3EEiiiSB_iiiSB_iiii.uses_vcc, 1
	.set _ZL13mul_mat_vec_fI14__hip_bfloat16fLi1ELi160ELb0ELb1EEvPKT_PKfPKi31ggml_cuda_mm_fusion_args_devicePfi15HIP_vector_typeIjLj3EEiiiSB_iiiSB_iiii.uses_flat_scratch, 0
	.set _ZL13mul_mat_vec_fI14__hip_bfloat16fLi1ELi160ELb0ELb1EEvPKT_PKfPKi31ggml_cuda_mm_fusion_args_devicePfi15HIP_vector_typeIjLj3EEiiiSB_iiiSB_iiii.has_dyn_sized_stack, 0
	.set _ZL13mul_mat_vec_fI14__hip_bfloat16fLi1ELi160ELb0ELb1EEvPKT_PKfPKi31ggml_cuda_mm_fusion_args_devicePfi15HIP_vector_typeIjLj3EEiiiSB_iiiSB_iiii.has_recursion, 0
	.set _ZL13mul_mat_vec_fI14__hip_bfloat16fLi1ELi160ELb0ELb1EEvPKT_PKfPKi31ggml_cuda_mm_fusion_args_devicePfi15HIP_vector_typeIjLj3EEiiiSB_iiiSB_iiii.has_indirect_call, 0
	.section	.AMDGPU.csdata,"",@progbits
; Kernel info:
; codeLenInByte = 964
; TotalNumSgprs: 30
; NumVgprs: 12
; ScratchSize: 0
; MemoryBound: 0
; FloatMode: 240
; IeeeMode: 1
; LDSByteSize: 0 bytes/workgroup (compile time only)
; SGPRBlocks: 0
; VGPRBlocks: 1
; NumSGPRsForWavesPerEU: 30
; NumVGPRsForWavesPerEU: 12
; Occupancy: 16
; WaveLimiterHint : 1
; COMPUTE_PGM_RSRC2:SCRATCH_EN: 0
; COMPUTE_PGM_RSRC2:USER_SGPR: 6
; COMPUTE_PGM_RSRC2:TRAP_HANDLER: 0
; COMPUTE_PGM_RSRC2:TGID_X_EN: 1
; COMPUTE_PGM_RSRC2:TGID_Y_EN: 1
; COMPUTE_PGM_RSRC2:TGID_Z_EN: 1
; COMPUTE_PGM_RSRC2:TIDIG_COMP_CNT: 0
	.section	.text._ZL13mul_mat_vec_fI14__hip_bfloat16fLi1ELi192ELb1ELb1EEvPKT_PKfPKi31ggml_cuda_mm_fusion_args_devicePfi15HIP_vector_typeIjLj3EEiiiSB_iiiSB_iiii,"axG",@progbits,_ZL13mul_mat_vec_fI14__hip_bfloat16fLi1ELi192ELb1ELb1EEvPKT_PKfPKi31ggml_cuda_mm_fusion_args_devicePfi15HIP_vector_typeIjLj3EEiiiSB_iiiSB_iiii,comdat
	.globl	_ZL13mul_mat_vec_fI14__hip_bfloat16fLi1ELi192ELb1ELb1EEvPKT_PKfPKi31ggml_cuda_mm_fusion_args_devicePfi15HIP_vector_typeIjLj3EEiiiSB_iiiSB_iiii ; -- Begin function _ZL13mul_mat_vec_fI14__hip_bfloat16fLi1ELi192ELb1ELb1EEvPKT_PKfPKi31ggml_cuda_mm_fusion_args_devicePfi15HIP_vector_typeIjLj3EEiiiSB_iiiSB_iiii
	.p2align	8
	.type	_ZL13mul_mat_vec_fI14__hip_bfloat16fLi1ELi192ELb1ELb1EEvPKT_PKfPKi31ggml_cuda_mm_fusion_args_devicePfi15HIP_vector_typeIjLj3EEiiiSB_iiiSB_iiii,@function
_ZL13mul_mat_vec_fI14__hip_bfloat16fLi1ELi192ELb1ELb1EEvPKT_PKfPKi31ggml_cuda_mm_fusion_args_devicePfi15HIP_vector_typeIjLj3EEiiiSB_iiiSB_iiii: ; @_ZL13mul_mat_vec_fI14__hip_bfloat16fLi1ELi192ELb1ELb1EEvPKT_PKfPKi31ggml_cuda_mm_fusion_args_devicePfi15HIP_vector_typeIjLj3EEiiiSB_iiiSB_iiii
; %bb.0:
	s_clause 0x3
	s_load_dword s1, s[4:5], 0x8c
	s_load_dwordx8 s[20:27], s[4:5], 0x0
	s_load_dwordx4 s[36:39], s[4:5], 0x20
	s_load_dwordx8 s[12:19], s[4:5], 0x40
	v_lshl_add_u32 v8, v0, 2, 0
	s_mov_b32 s0, s7
	s_waitcnt lgkmcnt(0)
	s_mul_i32 s1, s1, s8
	s_add_i32 s2, s1, s7
	s_ashr_i32 s3, s2, 31
	s_lshl_b64 s[2:3], s[2:3], 2
	s_add_u32 s10, s24, s2
	s_addc_u32 s11, s25, s3
	s_cmp_lg_u64 s[36:37], 0
	v_cmp_gt_u32_e64 s2, 32, v0
	s_cselect_b32 s1, -1, 0
	s_cmp_eq_u64 s[36:37], 0
	s_cselect_b32 s19, -1, 0
	s_and_saveexec_b32 s3, s2
	s_cbranch_execz .LBB274_3
; %bb.1:
	v_mov_b32_e32 v1, 0
	s_andn2_b32 vcc_lo, exec_lo, s1
	ds_write_b32 v8, v1
	s_cbranch_vccnz .LBB274_3
; %bb.2:
	ds_write_b32 v8, v1 offset:128
.LBB274_3:
	s_or_b32 exec_lo, exec_lo, s3
	s_load_dword s7, s[10:11], 0x0
	s_load_dwordx4 s[28:31], s[4:5], 0x68
	v_mov_b32_e32 v7, 0
	v_mov_b32_e32 v9, 0
	s_mov_b32 s9, exec_lo
	s_waitcnt lgkmcnt(0)
	s_barrier
	buffer_gl0_inv
	v_cmpx_gt_i32_e64 s12, v0
	s_cbranch_execz .LBB274_9
; %bb.4:
	s_mul_hi_u32 s3, s13, s0
	s_mul_i32 s10, s7, s28
	s_add_i32 s3, s0, s3
	s_mul_i32 s11, s16, s6
	s_lshr_b32 s3, s3, s14
	s_ashr_i32 s13, s10, 31
	s_mul_i32 s3, s3, s15
	s_ashr_i32 s14, s11, 31
	s_sub_i32 s3, s0, s3
	s_add_u32 s10, s10, s11
	s_addc_u32 s11, s13, s14
	s_mul_i32 s13, s8, s17
	s_mul_i32 s14, s3, s29
	s_lshl_b32 s16, s13, 1
	s_ashr_i32 s15, s14, 31
	s_ashr_i32 s17, s16, 31
	s_and_b32 s3, s1, exec_lo
	s_cselect_b32 s29, s11, 0
	s_cselect_b32 s28, s10, 0
	v_lshlrev_b32_e32 v5, 2, v0
	s_cselect_b32 s3, s37, 0
	s_cselect_b32 s13, s36, 0
	s_lshl_b64 s[28:29], s[28:29], 1
	v_lshlrev_b32_e32 v3, 3, v0
	s_add_u32 s13, s13, s28
	s_addc_u32 s3, s3, s29
	v_add_co_u32 v1, s13, s13, v5
	s_lshl_b64 s[14:15], s[14:15], 2
	s_lshl_b64 s[16:17], s[16:17], 2
	v_add_co_ci_u32_e64 v2, null, s3, 0, s13
	s_add_u32 s3, s22, s14
	s_addc_u32 s13, s23, s15
	s_add_u32 s3, s3, s16
	s_addc_u32 s13, s13, s17
	v_add_co_u32 v3, s3, s3, v3
	s_lshl_b64 s[10:11], s[10:11], 1
	v_add_co_ci_u32_e64 v4, null, s13, 0, s3
	s_add_u32 s3, s20, s10
	v_add_co_u32 v3, vcc_lo, v3, 4
	s_addc_u32 s10, s21, s11
	v_add_co_u32 v5, s3, s3, v5
	v_mov_b32_e32 v7, 0
	v_add_co_ci_u32_e64 v4, null, 0, v4, vcc_lo
	v_add_co_ci_u32_e64 v6, null, s10, 0, s3
	v_mov_b32_e32 v10, v0
	v_mov_b32_e32 v9, 0
	s_mov_b32 s10, 0
	s_inst_prefetch 0x1
	s_branch .LBB274_6
	.p2align	6
.LBB274_5:                              ;   in Loop: Header=BB274_6 Depth=1
	global_load_dwordx2 v[14:15], v[3:4], off offset:-4
	s_waitcnt vmcnt(1)
	v_lshlrev_b32_e32 v16, 16, v13
	v_add_nc_u32_e32 v10, 0xc0, v10
	v_add_co_u32 v1, vcc_lo, 0x300, v1
	v_and_b32_e32 v13, 0xffff0000, v13
	v_add_co_ci_u32_e64 v2, null, 0, v2, vcc_lo
	v_add_co_u32 v3, vcc_lo, 0x600, v3
	v_add_co_ci_u32_e64 v4, null, 0, v4, vcc_lo
	v_cmp_le_i32_e32 vcc_lo, s12, v10
	v_add_co_u32 v5, s3, 0x300, v5
	v_add_co_ci_u32_e64 v6, null, 0, v6, s3
	s_or_b32 s10, vcc_lo, s10
	s_waitcnt vmcnt(0)
	v_fma_f32 v12, v12, v14, v7
	v_fmac_f32_e32 v9, v14, v16
	v_fmac_f32_e32 v12, v11, v15
	;; [unrolled: 1-line block ×3, first 2 shown]
	v_cndmask_b32_e64 v7, v7, v12, s1
	s_andn2_b32 exec_lo, exec_lo, s10
	s_cbranch_execz .LBB274_8
.LBB274_6:                              ; =>This Inner Loop Header: Depth=1
	global_load_dword v13, v[5:6], off
	v_mov_b32_e32 v11, 0
	v_mov_b32_e32 v12, 0
	s_andn2_b32 vcc_lo, exec_lo, s1
	s_cbranch_vccnz .LBB274_5
; %bb.7:                                ;   in Loop: Header=BB274_6 Depth=1
	global_load_dword v11, v[1:2], off
	s_waitcnt vmcnt(0)
	v_lshlrev_b32_e32 v12, 16, v11
	v_and_b32_e32 v11, 0xffff0000, v11
	s_branch .LBB274_5
.LBB274_8:
	s_inst_prefetch 0x2
	s_or_b32 exec_lo, exec_lo, s10
.LBB274_9:
	s_or_b32 exec_lo, exec_lo, s9
	v_mbcnt_lo_u32_b32 v1, -1, 0
	s_load_dword s9, s[4:5], 0x30
	s_mov_b32 s3, -1
	v_xor_b32_e32 v2, 16, v1
	v_xor_b32_e32 v3, 8, v1
	v_cmp_gt_i32_e32 vcc_lo, 32, v2
	v_cndmask_b32_e32 v2, v1, v2, vcc_lo
	v_cmp_gt_i32_e32 vcc_lo, 32, v3
	v_lshlrev_b32_e32 v2, 2, v2
	v_cndmask_b32_e32 v3, v1, v3, vcc_lo
	ds_bpermute_b32 v4, v2, v9
	v_lshlrev_b32_e32 v3, 2, v3
	s_waitcnt lgkmcnt(0)
	v_add_f32_e32 v5, v9, v4
	v_xor_b32_e32 v4, 4, v1
	ds_bpermute_b32 v6, v3, v5
	v_cmp_gt_i32_e32 vcc_lo, 32, v4
	v_cndmask_b32_e32 v4, v1, v4, vcc_lo
	v_lshlrev_b32_e32 v4, 2, v4
	s_waitcnt lgkmcnt(0)
	v_add_f32_e32 v6, v5, v6
	v_xor_b32_e32 v5, 2, v1
	ds_bpermute_b32 v9, v4, v6
	v_cmp_gt_i32_e32 vcc_lo, 32, v5
	v_cndmask_b32_e32 v5, v1, v5, vcc_lo
	;; [unrolled: 7-line block ×3, first 2 shown]
	s_and_b32 vcc_lo, exec_lo, s19
	v_lshlrev_b32_e32 v6, 2, v1
	s_waitcnt lgkmcnt(0)
	v_add_f32_e32 v1, v9, v10
	v_lshrrev_b32_e32 v10, 5, v0
	ds_bpermute_b32 v9, v6, v1
	s_waitcnt lgkmcnt(0)
	v_add_f32_e32 v1, v1, v9
	v_lshl_add_u32 v9, v10, 2, 0
	s_cbranch_vccz .LBB274_11
; %bb.10:
	s_mov_b32 s3, 0
	ds_write_b32 v9, v1
.LBB274_11:
	s_andn2_b32 vcc_lo, exec_lo, s3
	s_cbranch_vccnz .LBB274_13
; %bb.12:
	ds_bpermute_b32 v10, v2, v7
	s_waitcnt lgkmcnt(0)
	v_add_f32_e32 v7, v7, v10
	ds_bpermute_b32 v10, v3, v7
	s_waitcnt lgkmcnt(0)
	v_add_f32_e32 v7, v7, v10
	;; [unrolled: 3-line block ×5, first 2 shown]
	ds_write2_b32 v9, v1, v7 offset1:32
.LBB274_13:
	s_waitcnt lgkmcnt(0)
	s_barrier
	buffer_gl0_inv
	s_and_saveexec_b32 s3, s2
	s_cbranch_execz .LBB274_17
; %bb.14:
	ds_read_b32 v1, v8
	s_andn2_b32 vcc_lo, exec_lo, s1
	s_waitcnt lgkmcnt(0)
	ds_bpermute_b32 v9, v2, v1
	s_waitcnt lgkmcnt(0)
	v_add_f32_e32 v1, v1, v9
	ds_bpermute_b32 v9, v3, v1
	s_waitcnt lgkmcnt(0)
	v_add_f32_e32 v1, v1, v9
	;; [unrolled: 3-line block ×4, first 2 shown]
	ds_bpermute_b32 v9, v6, v1
	s_cbranch_vccnz .LBB274_16
; %bb.15:
	ds_read_b32 v7, v8 offset:128
	s_waitcnt lgkmcnt(0)
	ds_bpermute_b32 v2, v2, v7
	s_waitcnt lgkmcnt(0)
	v_add_f32_e32 v2, v7, v2
	ds_bpermute_b32 v3, v3, v2
	s_waitcnt lgkmcnt(0)
	v_add_f32_e32 v2, v2, v3
	;; [unrolled: 3-line block ×5, first 2 shown]
.LBB274_16:
	s_waitcnt lgkmcnt(0)
	v_add_f32_e32 v1, v1, v9
.LBB274_17:
	s_or_b32 exec_lo, exec_lo, s3
	s_barrier
	buffer_gl0_inv
	s_mov_b32 s2, exec_lo
	v_cmpx_eq_u32_e32 0, v0
	s_cbranch_execz .LBB274_41
; %bb.18:
	s_cmp_eq_u64 s[26:27], 0
	s_cselect_b32 s10, -1, 0
	s_cmp_eq_u64 s[24:25], 0
	s_cselect_b32 s2, s0, s7
	s_mul_i32 s2, s2, s30
	s_ashr_i32 s3, s2, 31
	s_and_b32 vcc_lo, exec_lo, s10
	s_cbranch_vccnz .LBB274_20
; %bb.19:
	s_cselect_b32 s7, 0, s27
	s_cselect_b32 s12, 0, s26
	s_lshl_b64 s[10:11], s[2:3], 2
	s_add_u32 s12, s12, s10
	s_addc_u32 s13, s7, s11
	s_ashr_i32 s7, s6, 31
	s_lshl_b64 s[10:11], s[6:7], 2
	s_add_u32 s10, s12, s10
	s_addc_u32 s11, s13, s11
	s_load_dword s7, s[10:11], 0x0
	s_waitcnt lgkmcnt(0)
	v_add_f32_e32 v1, s7, v1
.LBB274_20:
	s_andn2_b32 vcc_lo, exec_lo, s1
	s_cbranch_vccnz .LBB274_40
; %bb.21:
	s_cmp_lg_u64 s[38:39], 0
	s_cselect_b32 s7, -1, 0
	s_and_b32 s1, s7, s1
	s_andn2_b32 vcc_lo, exec_lo, s1
	s_cbranch_vccnz .LBB274_23
; %bb.22:
	s_and_b32 s7, s7, exec_lo
	s_cselect_b32 s7, s39, 0
	s_cselect_b32 s10, s38, 0
	s_and_b32 s1, s1, exec_lo
	s_cselect_b32 s3, s3, 0
	s_cselect_b32 s2, s2, 0
	s_lshl_b64 s[2:3], s[2:3], 2
	s_add_u32 s1, s10, s2
	s_addc_u32 s10, s7, s3
	s_ashr_i32 s7, s6, 31
	s_lshl_b64 s[2:3], s[6:7], 2
	s_add_u32 s2, s1, s2
	s_addc_u32 s3, s10, s3
	s_load_dword s1, s[2:3], 0x0
	s_waitcnt lgkmcnt(0)
	v_add_f32_e32 v7, s1, v7
.LBB274_23:
	s_cmp_lt_i32 s9, 2
	s_cbranch_scc1 .LBB274_28
; %bb.24:
	s_cmp_lt_i32 s9, 3
	s_cbranch_scc1 .LBB274_29
; %bb.25:
	v_mov_b32_e32 v0, v1
	s_cmp_eq_u32 s9, 3
	s_cbranch_scc0 .LBB274_27
; %bb.26:
	v_max_f32_e32 v0, v7, v7
	v_min_f32_e32 v0, 0x40e00000, v0
	v_mul_f32_e32 v2, 0xbfd9db23, v0
	v_mul_f32_e32 v3, 0x3fb8aa3b, v2
	v_cmp_ngt_f32_e32 vcc_lo, 0xc2ce8ed0, v2
	v_fma_f32 v4, 0x3fb8aa3b, v2, -v3
	v_rndne_f32_e32 v5, v3
	v_fmamk_f32 v4, v2, 0x32a5705f, v4
	v_sub_f32_e32 v3, v3, v5
	v_add_f32_e32 v3, v3, v4
	v_cvt_i32_f32_e32 v4, v5
	v_exp_f32_e32 v3, v3
	v_ldexp_f32 v3, v3, v4
	v_cndmask_b32_e32 v3, 0, v3, vcc_lo
	v_cmp_nlt_f32_e32 vcc_lo, 0x42b17218, v2
	v_cndmask_b32_e32 v2, 0x7f800000, v3, vcc_lo
	v_add_f32_e32 v2, 1.0, v2
	v_div_scale_f32 v3, null, v2, v2, v0
	v_div_scale_f32 v6, vcc_lo, v0, v2, v0
	v_rcp_f32_e32 v4, v3
	v_fma_f32 v5, -v3, v4, 1.0
	v_fmac_f32_e32 v4, v5, v4
	v_mul_f32_e32 v5, v6, v4
	v_fma_f32 v8, -v3, v5, v6
	v_fmac_f32_e32 v5, v8, v4
	v_max_f32_e32 v8, v1, v1
	v_fma_f32 v3, -v3, v5, v6
	v_min_f32_e32 v6, 0x40e00000, v8
	v_div_fmas_f32 v3, v3, v4, v5
	v_max_f32_e32 v4, 0xc0e00000, v6
	v_div_fixup_f32 v0, v3, v2, v0
	v_add_f32_e32 v2, 1.0, v4
	v_mul_f32_e32 v0, v2, v0
.LBB274_27:
	s_cbranch_execz .LBB274_30
	s_branch .LBB274_31
.LBB274_28:
                                        ; implicit-def: $vgpr0
	s_branch .LBB274_32
.LBB274_29:
                                        ; implicit-def: $vgpr0
.LBB274_30:
	v_mul_f32_e32 v0, 0xbfb8aa3b, v7
	v_cmp_nlt_f32_e32 vcc_lo, 0x42ce8ed0, v7
	v_rndne_f32_e32 v2, v0
	v_fma_f32 v3, 0xbfb8aa3b, v7, -v0
	v_sub_f32_e32 v0, v0, v2
	v_fmamk_f32 v3, v7, 0xb2a5705f, v3
	v_cvt_i32_f32_e32 v2, v2
	v_add_f32_e32 v0, v0, v3
	v_exp_f32_e32 v0, v0
	v_ldexp_f32 v0, v0, v2
	v_cndmask_b32_e32 v0, 0, v0, vcc_lo
	v_cmp_ngt_f32_e32 vcc_lo, 0xc2b17218, v7
	v_cndmask_b32_e32 v0, 0x7f800000, v0, vcc_lo
	v_add_f32_e32 v0, 1.0, v0
	v_div_scale_f32 v2, null, v0, v0, v7
	v_rcp_f32_e32 v3, v2
	v_fma_f32 v4, -v2, v3, 1.0
	v_fmac_f32_e32 v3, v4, v3
	v_div_scale_f32 v4, vcc_lo, v7, v0, v7
	v_mul_f32_e32 v5, v4, v3
	v_fma_f32 v6, -v2, v5, v4
	v_fmac_f32_e32 v5, v6, v3
	v_fma_f32 v2, -v2, v5, v4
	v_div_fmas_f32 v2, v2, v3, v5
	v_div_fixup_f32 v0, v2, v0, v7
	v_mul_f32_e32 v0, v1, v0
.LBB274_31:
	s_cbranch_execnz .LBB274_39
.LBB274_32:
	s_cmp_eq_u32 s9, 1
	s_cbranch_scc0 .LBB274_38
; %bb.33:
	v_mul_f32_e32 v0, 0x3d372713, v7
	v_mul_f32_e32 v2, 0x3f4c422a, v7
	v_fma_f32 v0, v7, v0, 1.0
	v_mul_f32_e32 v0, v2, v0
                                        ; implicit-def: $vgpr2
	v_cmp_ngt_f32_e64 s1, 0x3f200000, |v0|
	s_and_saveexec_b32 s2, s1
	s_xor_b32 s1, exec_lo, s2
	s_cbranch_execz .LBB274_35
; %bb.34:
	v_add_f32_e64 v2, |v0|, |v0|
	v_mul_f32_e32 v3, 0x3fb8aa3b, v2
	v_cmp_ngt_f32_e32 vcc_lo, 0xc2ce8ed0, v2
	v_rndne_f32_e32 v4, v3
	v_fma_f32 v5, 0x3fb8aa3b, v2, -v3
	v_sub_f32_e32 v3, v3, v4
	v_fmamk_f32 v5, v2, 0x32a5705f, v5
	v_cvt_i32_f32_e32 v4, v4
	v_add_f32_e32 v3, v3, v5
	v_exp_f32_e32 v3, v3
	v_ldexp_f32 v3, v3, v4
	v_cndmask_b32_e32 v3, 0, v3, vcc_lo
	v_cmp_nlt_f32_e32 vcc_lo, 0x42b17218, v2
	v_cndmask_b32_e32 v2, 0x7f800000, v3, vcc_lo
	v_add_f32_e32 v2, 1.0, v2
	v_rcp_f32_e32 v2, v2
	v_fma_f32 v2, v2, -2.0, 1.0
.LBB274_35:
	s_andn2_saveexec_b32 s1, s1
	s_cbranch_execz .LBB274_37
; %bb.36:
	v_mul_f32_e32 v2, v0, v0
	s_mov_b32 s2, 0xbbbac73d
	v_fmaak_f32 v3, s2, v2, 0x3ca908c9
	v_fmaak_f32 v3, v2, v3, 0xbd5c1c4e
	;; [unrolled: 1-line block ×4, first 2 shown]
	v_mul_f32_e64 v3, |v0|, v3
	v_fma_f32 v2, v2, v3, |v0|
.LBB274_37:
	s_or_b32 exec_lo, exec_lo, s1
	v_bfi_b32 v0, 0x7fffffff, v2, v0
	v_mul_f32_e32 v2, 0.5, v7
	v_add_f32_e32 v0, 1.0, v0
	v_mul_f32_e32 v0, v2, v0
	v_mul_f32_e32 v1, v1, v0
.LBB274_38:
	v_mov_b32_e32 v0, v1
.LBB274_39:
	v_mov_b32_e32 v1, v0
.LBB274_40:
	s_load_dwordx2 s[2:3], s[4:5], 0x38
	s_mul_i32 s0, s30, s0
	s_mul_i32 s4, s18, s8
	s_ashr_i32 s1, s0, 31
	v_mov_b32_e32 v0, 0
	s_lshl_b64 s[0:1], s[0:1], 2
	s_waitcnt lgkmcnt(0)
	s_add_u32 s2, s2, s0
	s_addc_u32 s3, s3, s1
	s_ashr_i32 s5, s4, 31
	s_lshl_b64 s[0:1], s[4:5], 2
	s_add_u32 s2, s2, s0
	s_addc_u32 s3, s3, s1
	s_ashr_i32 s7, s6, 31
	s_lshl_b64 s[0:1], s[6:7], 2
	s_add_u32 s0, s2, s0
	s_addc_u32 s1, s3, s1
	global_store_dword v0, v1, s[0:1]
.LBB274_41:
	s_endpgm
	.section	.rodata,"a",@progbits
	.p2align	6, 0x0
	.amdhsa_kernel _ZL13mul_mat_vec_fI14__hip_bfloat16fLi1ELi192ELb1ELb1EEvPKT_PKfPKi31ggml_cuda_mm_fusion_args_devicePfi15HIP_vector_typeIjLj3EEiiiSB_iiiSB_iiii
		.amdhsa_group_segment_fixed_size 0
		.amdhsa_private_segment_fixed_size 0
		.amdhsa_kernarg_size 144
		.amdhsa_user_sgpr_count 6
		.amdhsa_user_sgpr_private_segment_buffer 1
		.amdhsa_user_sgpr_dispatch_ptr 0
		.amdhsa_user_sgpr_queue_ptr 0
		.amdhsa_user_sgpr_kernarg_segment_ptr 1
		.amdhsa_user_sgpr_dispatch_id 0
		.amdhsa_user_sgpr_flat_scratch_init 0
		.amdhsa_user_sgpr_private_segment_size 0
		.amdhsa_wavefront_size32 1
		.amdhsa_uses_dynamic_stack 0
		.amdhsa_system_sgpr_private_segment_wavefront_offset 0
		.amdhsa_system_sgpr_workgroup_id_x 1
		.amdhsa_system_sgpr_workgroup_id_y 1
		.amdhsa_system_sgpr_workgroup_id_z 1
		.amdhsa_system_sgpr_workgroup_info 0
		.amdhsa_system_vgpr_workitem_id 0
		.amdhsa_next_free_vgpr 17
		.amdhsa_next_free_sgpr 40
		.amdhsa_reserve_vcc 1
		.amdhsa_reserve_flat_scratch 0
		.amdhsa_float_round_mode_32 0
		.amdhsa_float_round_mode_16_64 0
		.amdhsa_float_denorm_mode_32 3
		.amdhsa_float_denorm_mode_16_64 3
		.amdhsa_dx10_clamp 1
		.amdhsa_ieee_mode 1
		.amdhsa_fp16_overflow 0
		.amdhsa_workgroup_processor_mode 1
		.amdhsa_memory_ordered 1
		.amdhsa_forward_progress 1
		.amdhsa_shared_vgpr_count 0
		.amdhsa_exception_fp_ieee_invalid_op 0
		.amdhsa_exception_fp_denorm_src 0
		.amdhsa_exception_fp_ieee_div_zero 0
		.amdhsa_exception_fp_ieee_overflow 0
		.amdhsa_exception_fp_ieee_underflow 0
		.amdhsa_exception_fp_ieee_inexact 0
		.amdhsa_exception_int_div_zero 0
	.end_amdhsa_kernel
	.section	.text._ZL13mul_mat_vec_fI14__hip_bfloat16fLi1ELi192ELb1ELb1EEvPKT_PKfPKi31ggml_cuda_mm_fusion_args_devicePfi15HIP_vector_typeIjLj3EEiiiSB_iiiSB_iiii,"axG",@progbits,_ZL13mul_mat_vec_fI14__hip_bfloat16fLi1ELi192ELb1ELb1EEvPKT_PKfPKi31ggml_cuda_mm_fusion_args_devicePfi15HIP_vector_typeIjLj3EEiiiSB_iiiSB_iiii,comdat
.Lfunc_end274:
	.size	_ZL13mul_mat_vec_fI14__hip_bfloat16fLi1ELi192ELb1ELb1EEvPKT_PKfPKi31ggml_cuda_mm_fusion_args_devicePfi15HIP_vector_typeIjLj3EEiiiSB_iiiSB_iiii, .Lfunc_end274-_ZL13mul_mat_vec_fI14__hip_bfloat16fLi1ELi192ELb1ELb1EEvPKT_PKfPKi31ggml_cuda_mm_fusion_args_devicePfi15HIP_vector_typeIjLj3EEiiiSB_iiiSB_iiii
                                        ; -- End function
	.set _ZL13mul_mat_vec_fI14__hip_bfloat16fLi1ELi192ELb1ELb1EEvPKT_PKfPKi31ggml_cuda_mm_fusion_args_devicePfi15HIP_vector_typeIjLj3EEiiiSB_iiiSB_iiii.num_vgpr, 17
	.set _ZL13mul_mat_vec_fI14__hip_bfloat16fLi1ELi192ELb1ELb1EEvPKT_PKfPKi31ggml_cuda_mm_fusion_args_devicePfi15HIP_vector_typeIjLj3EEiiiSB_iiiSB_iiii.num_agpr, 0
	.set _ZL13mul_mat_vec_fI14__hip_bfloat16fLi1ELi192ELb1ELb1EEvPKT_PKfPKi31ggml_cuda_mm_fusion_args_devicePfi15HIP_vector_typeIjLj3EEiiiSB_iiiSB_iiii.numbered_sgpr, 40
	.set _ZL13mul_mat_vec_fI14__hip_bfloat16fLi1ELi192ELb1ELb1EEvPKT_PKfPKi31ggml_cuda_mm_fusion_args_devicePfi15HIP_vector_typeIjLj3EEiiiSB_iiiSB_iiii.num_named_barrier, 0
	.set _ZL13mul_mat_vec_fI14__hip_bfloat16fLi1ELi192ELb1ELb1EEvPKT_PKfPKi31ggml_cuda_mm_fusion_args_devicePfi15HIP_vector_typeIjLj3EEiiiSB_iiiSB_iiii.private_seg_size, 0
	.set _ZL13mul_mat_vec_fI14__hip_bfloat16fLi1ELi192ELb1ELb1EEvPKT_PKfPKi31ggml_cuda_mm_fusion_args_devicePfi15HIP_vector_typeIjLj3EEiiiSB_iiiSB_iiii.uses_vcc, 1
	.set _ZL13mul_mat_vec_fI14__hip_bfloat16fLi1ELi192ELb1ELb1EEvPKT_PKfPKi31ggml_cuda_mm_fusion_args_devicePfi15HIP_vector_typeIjLj3EEiiiSB_iiiSB_iiii.uses_flat_scratch, 0
	.set _ZL13mul_mat_vec_fI14__hip_bfloat16fLi1ELi192ELb1ELb1EEvPKT_PKfPKi31ggml_cuda_mm_fusion_args_devicePfi15HIP_vector_typeIjLj3EEiiiSB_iiiSB_iiii.has_dyn_sized_stack, 0
	.set _ZL13mul_mat_vec_fI14__hip_bfloat16fLi1ELi192ELb1ELb1EEvPKT_PKfPKi31ggml_cuda_mm_fusion_args_devicePfi15HIP_vector_typeIjLj3EEiiiSB_iiiSB_iiii.has_recursion, 0
	.set _ZL13mul_mat_vec_fI14__hip_bfloat16fLi1ELi192ELb1ELb1EEvPKT_PKfPKi31ggml_cuda_mm_fusion_args_devicePfi15HIP_vector_typeIjLj3EEiiiSB_iiiSB_iiii.has_indirect_call, 0
	.section	.AMDGPU.csdata,"",@progbits
; Kernel info:
; codeLenInByte = 2160
; TotalNumSgprs: 42
; NumVgprs: 17
; ScratchSize: 0
; MemoryBound: 0
; FloatMode: 240
; IeeeMode: 1
; LDSByteSize: 0 bytes/workgroup (compile time only)
; SGPRBlocks: 0
; VGPRBlocks: 2
; NumSGPRsForWavesPerEU: 42
; NumVGPRsForWavesPerEU: 17
; Occupancy: 16
; WaveLimiterHint : 1
; COMPUTE_PGM_RSRC2:SCRATCH_EN: 0
; COMPUTE_PGM_RSRC2:USER_SGPR: 6
; COMPUTE_PGM_RSRC2:TRAP_HANDLER: 0
; COMPUTE_PGM_RSRC2:TGID_X_EN: 1
; COMPUTE_PGM_RSRC2:TGID_Y_EN: 1
; COMPUTE_PGM_RSRC2:TGID_Z_EN: 1
; COMPUTE_PGM_RSRC2:TIDIG_COMP_CNT: 0
	.section	.text._ZL13mul_mat_vec_fI14__hip_bfloat16fLi1ELi192ELb0ELb1EEvPKT_PKfPKi31ggml_cuda_mm_fusion_args_devicePfi15HIP_vector_typeIjLj3EEiiiSB_iiiSB_iiii,"axG",@progbits,_ZL13mul_mat_vec_fI14__hip_bfloat16fLi1ELi192ELb0ELb1EEvPKT_PKfPKi31ggml_cuda_mm_fusion_args_devicePfi15HIP_vector_typeIjLj3EEiiiSB_iiiSB_iiii,comdat
	.globl	_ZL13mul_mat_vec_fI14__hip_bfloat16fLi1ELi192ELb0ELb1EEvPKT_PKfPKi31ggml_cuda_mm_fusion_args_devicePfi15HIP_vector_typeIjLj3EEiiiSB_iiiSB_iiii ; -- Begin function _ZL13mul_mat_vec_fI14__hip_bfloat16fLi1ELi192ELb0ELb1EEvPKT_PKfPKi31ggml_cuda_mm_fusion_args_devicePfi15HIP_vector_typeIjLj3EEiiiSB_iiiSB_iiii
	.p2align	8
	.type	_ZL13mul_mat_vec_fI14__hip_bfloat16fLi1ELi192ELb0ELb1EEvPKT_PKfPKi31ggml_cuda_mm_fusion_args_devicePfi15HIP_vector_typeIjLj3EEiiiSB_iiiSB_iiii,@function
_ZL13mul_mat_vec_fI14__hip_bfloat16fLi1ELi192ELb0ELb1EEvPKT_PKfPKi31ggml_cuda_mm_fusion_args_devicePfi15HIP_vector_typeIjLj3EEiiiSB_iiiSB_iiii: ; @_ZL13mul_mat_vec_fI14__hip_bfloat16fLi1ELi192ELb0ELb1EEvPKT_PKfPKi31ggml_cuda_mm_fusion_args_devicePfi15HIP_vector_typeIjLj3EEiiiSB_iiiSB_iiii
; %bb.0:
	s_clause 0x2
	s_load_dword s2, s[4:5], 0x8c
	s_load_dwordx2 s[0:1], s[4:5], 0x10
	s_load_dwordx8 s[12:19], s[4:5], 0x40
	v_cmp_gt_u32_e32 vcc_lo, 32, v0
	v_lshl_add_u32 v5, v0, 2, 0
	s_waitcnt lgkmcnt(0)
	s_mul_i32 s2, s2, s8
	s_add_i32 s2, s2, s7
	s_ashr_i32 s3, s2, 31
	s_lshl_b64 s[2:3], s[2:3], 2
	s_add_u32 s2, s0, s2
	s_addc_u32 s3, s1, s3
	s_and_saveexec_b32 s0, vcc_lo
; %bb.1:
	v_mov_b32_e32 v1, 0
	ds_write_b32 v5, v1
; %bb.2:
	s_or_b32 exec_lo, exec_lo, s0
	s_load_dwordx4 s[20:23], s[4:5], 0x68
	v_mov_b32_e32 v6, 0
	s_mov_b32 s9, exec_lo
	s_waitcnt lgkmcnt(0)
	s_barrier
	buffer_gl0_inv
	v_cmpx_gt_i32_e64 s12, v0
	s_cbranch_execz .LBB275_6
; %bb.3:
	s_load_dword s19, s[2:3], 0x0
	s_load_dwordx4 s[24:27], s[4:5], 0x0
	s_mul_hi_u32 s0, s13, s7
	s_mul_i32 s1, s8, s17
	s_add_i32 s0, s7, s0
	s_mul_i32 s2, s16, s6
	s_lshr_b32 s0, s0, s14
	v_lshlrev_b32_e32 v1, 3, v0
	s_mul_i32 s10, s0, s15
	s_lshl_b32 s0, s1, 1
	s_sub_i32 s10, s7, s10
	s_ashr_i32 s1, s0, 31
	s_mul_i32 s10, s10, s21
	s_ashr_i32 s3, s2, 31
	s_ashr_i32 s11, s10, 31
	s_lshl_b64 s[0:1], s[0:1], 2
	s_lshl_b64 s[10:11], s[10:11], 2
	v_lshlrev_b32_e32 v3, 2, v0
	v_mov_b32_e32 v6, 0
	v_mov_b32_e32 v7, v0
	s_waitcnt lgkmcnt(0)
	s_mul_i32 s14, s19, s20
	s_ashr_i32 s15, s14, 31
	s_add_u32 s10, s26, s10
	s_addc_u32 s11, s27, s11
	s_add_u32 s0, s10, s0
	s_addc_u32 s1, s11, s1
	v_add_co_u32 v1, s0, s0, v1
	v_add_co_ci_u32_e64 v2, null, s1, 0, s0
	s_lshl_b64 s[10:11], s[14:15], 1
	v_add_co_u32 v1, s0, v1, 4
	v_add_co_ci_u32_e64 v2, null, 0, v2, s0
	s_lshl_b64 s[0:1], s[2:3], 1
	s_add_u32 s2, s24, s10
	s_addc_u32 s3, s25, s11
	s_add_u32 s0, s2, s0
	s_addc_u32 s1, s3, s1
	v_add_co_u32 v3, s0, s0, v3
	v_add_co_ci_u32_e64 v4, null, s1, 0, s0
	s_mov_b32 s2, 0
	.p2align	6
.LBB275_4:                              ; =>This Inner Loop Header: Depth=1
	global_load_dword v10, v[3:4], off
	global_load_dwordx2 v[8:9], v[1:2], off offset:-4
	v_add_nc_u32_e32 v7, 0xc0, v7
	v_add_co_u32 v1, s0, 0x600, v1
	v_add_co_ci_u32_e64 v2, null, 0, v2, s0
	v_add_co_u32 v3, s0, 0x300, v3
	v_cmp_le_i32_e64 s1, s12, v7
	v_add_co_ci_u32_e64 v4, null, 0, v4, s0
	s_or_b32 s2, s1, s2
	s_waitcnt vmcnt(1)
	v_lshlrev_b32_e32 v11, 16, v10
	v_and_b32_e32 v10, 0xffff0000, v10
	s_waitcnt vmcnt(0)
	v_fmac_f32_e32 v6, v8, v11
	v_fmac_f32_e32 v6, v9, v10
	s_andn2_b32 exec_lo, exec_lo, s2
	s_cbranch_execnz .LBB275_4
; %bb.5:
	s_or_b32 exec_lo, exec_lo, s2
.LBB275_6:
	s_or_b32 exec_lo, exec_lo, s9
	v_mbcnt_lo_u32_b32 v2, -1, 0
	v_xor_b32_e32 v1, 16, v2
	v_xor_b32_e32 v3, 8, v2
	v_cmp_gt_i32_e64 s0, 32, v1
	v_cndmask_b32_e64 v1, v2, v1, s0
	v_cmp_gt_i32_e64 s0, 32, v3
	v_lshlrev_b32_e32 v1, 2, v1
	v_cndmask_b32_e64 v3, v2, v3, s0
	ds_bpermute_b32 v4, v1, v6
	v_lshlrev_b32_e32 v3, 2, v3
	s_waitcnt lgkmcnt(0)
	v_add_f32_e32 v6, v6, v4
	v_xor_b32_e32 v4, 4, v2
	ds_bpermute_b32 v7, v3, v6
	v_cmp_gt_i32_e64 s0, 32, v4
	v_cndmask_b32_e64 v4, v2, v4, s0
	v_lshlrev_b32_e32 v4, 2, v4
	s_waitcnt lgkmcnt(0)
	v_add_f32_e32 v7, v6, v7
	v_xor_b32_e32 v6, 2, v2
	ds_bpermute_b32 v8, v4, v7
	v_cmp_gt_i32_e64 s0, 32, v6
	v_cndmask_b32_e64 v6, v2, v6, s0
	;; [unrolled: 7-line block ×3, first 2 shown]
	v_lshlrev_b32_e32 v7, 2, v2
	s_waitcnt lgkmcnt(0)
	v_add_f32_e32 v2, v8, v9
	v_lshrrev_b32_e32 v9, 3, v0
	ds_bpermute_b32 v8, v7, v2
	v_and_b32_e32 v9, 0x7c, v9
	v_add_nc_u32_e32 v9, 0, v9
	s_waitcnt lgkmcnt(0)
	v_add_f32_e32 v2, v2, v8
	ds_write_b32 v9, v2
	s_waitcnt lgkmcnt(0)
	s_barrier
	buffer_gl0_inv
	s_and_saveexec_b32 s0, vcc_lo
	s_cbranch_execz .LBB275_8
; %bb.7:
	ds_read_b32 v2, v5
	s_waitcnt lgkmcnt(0)
	ds_bpermute_b32 v1, v1, v2
	s_waitcnt lgkmcnt(0)
	v_add_f32_e32 v1, v2, v1
	ds_bpermute_b32 v2, v3, v1
	s_waitcnt lgkmcnt(0)
	v_add_f32_e32 v1, v1, v2
	;; [unrolled: 3-line block ×5, first 2 shown]
.LBB275_8:
	s_or_b32 exec_lo, exec_lo, s0
	s_barrier
	buffer_gl0_inv
	s_mov_b32 s0, exec_lo
	v_cmpx_eq_u32_e32 0, v0
	s_cbranch_execz .LBB275_10
; %bb.9:
	s_load_dwordx2 s[0:1], s[4:5], 0x38
	s_mul_i32 s2, s22, s7
	s_mul_i32 s4, s18, s8
	s_ashr_i32 s3, s2, 31
	v_mov_b32_e32 v0, 0
	s_lshl_b64 s[2:3], s[2:3], 2
	s_waitcnt lgkmcnt(0)
	s_add_u32 s2, s0, s2
	s_addc_u32 s3, s1, s3
	s_ashr_i32 s5, s4, 31
	s_lshl_b64 s[0:1], s[4:5], 2
	s_add_u32 s2, s2, s0
	s_addc_u32 s3, s3, s1
	s_ashr_i32 s7, s6, 31
	s_lshl_b64 s[0:1], s[6:7], 2
	s_add_u32 s0, s2, s0
	s_addc_u32 s1, s3, s1
	global_store_dword v0, v2, s[0:1]
.LBB275_10:
	s_endpgm
	.section	.rodata,"a",@progbits
	.p2align	6, 0x0
	.amdhsa_kernel _ZL13mul_mat_vec_fI14__hip_bfloat16fLi1ELi192ELb0ELb1EEvPKT_PKfPKi31ggml_cuda_mm_fusion_args_devicePfi15HIP_vector_typeIjLj3EEiiiSB_iiiSB_iiii
		.amdhsa_group_segment_fixed_size 0
		.amdhsa_private_segment_fixed_size 0
		.amdhsa_kernarg_size 144
		.amdhsa_user_sgpr_count 6
		.amdhsa_user_sgpr_private_segment_buffer 1
		.amdhsa_user_sgpr_dispatch_ptr 0
		.amdhsa_user_sgpr_queue_ptr 0
		.amdhsa_user_sgpr_kernarg_segment_ptr 1
		.amdhsa_user_sgpr_dispatch_id 0
		.amdhsa_user_sgpr_flat_scratch_init 0
		.amdhsa_user_sgpr_private_segment_size 0
		.amdhsa_wavefront_size32 1
		.amdhsa_uses_dynamic_stack 0
		.amdhsa_system_sgpr_private_segment_wavefront_offset 0
		.amdhsa_system_sgpr_workgroup_id_x 1
		.amdhsa_system_sgpr_workgroup_id_y 1
		.amdhsa_system_sgpr_workgroup_id_z 1
		.amdhsa_system_sgpr_workgroup_info 0
		.amdhsa_system_vgpr_workitem_id 0
		.amdhsa_next_free_vgpr 12
		.amdhsa_next_free_sgpr 28
		.amdhsa_reserve_vcc 1
		.amdhsa_reserve_flat_scratch 0
		.amdhsa_float_round_mode_32 0
		.amdhsa_float_round_mode_16_64 0
		.amdhsa_float_denorm_mode_32 3
		.amdhsa_float_denorm_mode_16_64 3
		.amdhsa_dx10_clamp 1
		.amdhsa_ieee_mode 1
		.amdhsa_fp16_overflow 0
		.amdhsa_workgroup_processor_mode 1
		.amdhsa_memory_ordered 1
		.amdhsa_forward_progress 1
		.amdhsa_shared_vgpr_count 0
		.amdhsa_exception_fp_ieee_invalid_op 0
		.amdhsa_exception_fp_denorm_src 0
		.amdhsa_exception_fp_ieee_div_zero 0
		.amdhsa_exception_fp_ieee_overflow 0
		.amdhsa_exception_fp_ieee_underflow 0
		.amdhsa_exception_fp_ieee_inexact 0
		.amdhsa_exception_int_div_zero 0
	.end_amdhsa_kernel
	.section	.text._ZL13mul_mat_vec_fI14__hip_bfloat16fLi1ELi192ELb0ELb1EEvPKT_PKfPKi31ggml_cuda_mm_fusion_args_devicePfi15HIP_vector_typeIjLj3EEiiiSB_iiiSB_iiii,"axG",@progbits,_ZL13mul_mat_vec_fI14__hip_bfloat16fLi1ELi192ELb0ELb1EEvPKT_PKfPKi31ggml_cuda_mm_fusion_args_devicePfi15HIP_vector_typeIjLj3EEiiiSB_iiiSB_iiii,comdat
.Lfunc_end275:
	.size	_ZL13mul_mat_vec_fI14__hip_bfloat16fLi1ELi192ELb0ELb1EEvPKT_PKfPKi31ggml_cuda_mm_fusion_args_devicePfi15HIP_vector_typeIjLj3EEiiiSB_iiiSB_iiii, .Lfunc_end275-_ZL13mul_mat_vec_fI14__hip_bfloat16fLi1ELi192ELb0ELb1EEvPKT_PKfPKi31ggml_cuda_mm_fusion_args_devicePfi15HIP_vector_typeIjLj3EEiiiSB_iiiSB_iiii
                                        ; -- End function
	.set _ZL13mul_mat_vec_fI14__hip_bfloat16fLi1ELi192ELb0ELb1EEvPKT_PKfPKi31ggml_cuda_mm_fusion_args_devicePfi15HIP_vector_typeIjLj3EEiiiSB_iiiSB_iiii.num_vgpr, 12
	.set _ZL13mul_mat_vec_fI14__hip_bfloat16fLi1ELi192ELb0ELb1EEvPKT_PKfPKi31ggml_cuda_mm_fusion_args_devicePfi15HIP_vector_typeIjLj3EEiiiSB_iiiSB_iiii.num_agpr, 0
	.set _ZL13mul_mat_vec_fI14__hip_bfloat16fLi1ELi192ELb0ELb1EEvPKT_PKfPKi31ggml_cuda_mm_fusion_args_devicePfi15HIP_vector_typeIjLj3EEiiiSB_iiiSB_iiii.numbered_sgpr, 28
	.set _ZL13mul_mat_vec_fI14__hip_bfloat16fLi1ELi192ELb0ELb1EEvPKT_PKfPKi31ggml_cuda_mm_fusion_args_devicePfi15HIP_vector_typeIjLj3EEiiiSB_iiiSB_iiii.num_named_barrier, 0
	.set _ZL13mul_mat_vec_fI14__hip_bfloat16fLi1ELi192ELb0ELb1EEvPKT_PKfPKi31ggml_cuda_mm_fusion_args_devicePfi15HIP_vector_typeIjLj3EEiiiSB_iiiSB_iiii.private_seg_size, 0
	.set _ZL13mul_mat_vec_fI14__hip_bfloat16fLi1ELi192ELb0ELb1EEvPKT_PKfPKi31ggml_cuda_mm_fusion_args_devicePfi15HIP_vector_typeIjLj3EEiiiSB_iiiSB_iiii.uses_vcc, 1
	.set _ZL13mul_mat_vec_fI14__hip_bfloat16fLi1ELi192ELb0ELb1EEvPKT_PKfPKi31ggml_cuda_mm_fusion_args_devicePfi15HIP_vector_typeIjLj3EEiiiSB_iiiSB_iiii.uses_flat_scratch, 0
	.set _ZL13mul_mat_vec_fI14__hip_bfloat16fLi1ELi192ELb0ELb1EEvPKT_PKfPKi31ggml_cuda_mm_fusion_args_devicePfi15HIP_vector_typeIjLj3EEiiiSB_iiiSB_iiii.has_dyn_sized_stack, 0
	.set _ZL13mul_mat_vec_fI14__hip_bfloat16fLi1ELi192ELb0ELb1EEvPKT_PKfPKi31ggml_cuda_mm_fusion_args_devicePfi15HIP_vector_typeIjLj3EEiiiSB_iiiSB_iiii.has_recursion, 0
	.set _ZL13mul_mat_vec_fI14__hip_bfloat16fLi1ELi192ELb0ELb1EEvPKT_PKfPKi31ggml_cuda_mm_fusion_args_devicePfi15HIP_vector_typeIjLj3EEiiiSB_iiiSB_iiii.has_indirect_call, 0
	.section	.AMDGPU.csdata,"",@progbits
; Kernel info:
; codeLenInByte = 964
; TotalNumSgprs: 30
; NumVgprs: 12
; ScratchSize: 0
; MemoryBound: 0
; FloatMode: 240
; IeeeMode: 1
; LDSByteSize: 0 bytes/workgroup (compile time only)
; SGPRBlocks: 0
; VGPRBlocks: 1
; NumSGPRsForWavesPerEU: 30
; NumVGPRsForWavesPerEU: 12
; Occupancy: 16
; WaveLimiterHint : 1
; COMPUTE_PGM_RSRC2:SCRATCH_EN: 0
; COMPUTE_PGM_RSRC2:USER_SGPR: 6
; COMPUTE_PGM_RSRC2:TRAP_HANDLER: 0
; COMPUTE_PGM_RSRC2:TGID_X_EN: 1
; COMPUTE_PGM_RSRC2:TGID_Y_EN: 1
; COMPUTE_PGM_RSRC2:TGID_Z_EN: 1
; COMPUTE_PGM_RSRC2:TIDIG_COMP_CNT: 0
	.section	.text._ZL13mul_mat_vec_fI14__hip_bfloat16fLi1ELi224ELb1ELb1EEvPKT_PKfPKi31ggml_cuda_mm_fusion_args_devicePfi15HIP_vector_typeIjLj3EEiiiSB_iiiSB_iiii,"axG",@progbits,_ZL13mul_mat_vec_fI14__hip_bfloat16fLi1ELi224ELb1ELb1EEvPKT_PKfPKi31ggml_cuda_mm_fusion_args_devicePfi15HIP_vector_typeIjLj3EEiiiSB_iiiSB_iiii,comdat
	.globl	_ZL13mul_mat_vec_fI14__hip_bfloat16fLi1ELi224ELb1ELb1EEvPKT_PKfPKi31ggml_cuda_mm_fusion_args_devicePfi15HIP_vector_typeIjLj3EEiiiSB_iiiSB_iiii ; -- Begin function _ZL13mul_mat_vec_fI14__hip_bfloat16fLi1ELi224ELb1ELb1EEvPKT_PKfPKi31ggml_cuda_mm_fusion_args_devicePfi15HIP_vector_typeIjLj3EEiiiSB_iiiSB_iiii
	.p2align	8
	.type	_ZL13mul_mat_vec_fI14__hip_bfloat16fLi1ELi224ELb1ELb1EEvPKT_PKfPKi31ggml_cuda_mm_fusion_args_devicePfi15HIP_vector_typeIjLj3EEiiiSB_iiiSB_iiii,@function
_ZL13mul_mat_vec_fI14__hip_bfloat16fLi1ELi224ELb1ELb1EEvPKT_PKfPKi31ggml_cuda_mm_fusion_args_devicePfi15HIP_vector_typeIjLj3EEiiiSB_iiiSB_iiii: ; @_ZL13mul_mat_vec_fI14__hip_bfloat16fLi1ELi224ELb1ELb1EEvPKT_PKfPKi31ggml_cuda_mm_fusion_args_devicePfi15HIP_vector_typeIjLj3EEiiiSB_iiiSB_iiii
; %bb.0:
	s_clause 0x3
	s_load_dword s1, s[4:5], 0x8c
	s_load_dwordx8 s[20:27], s[4:5], 0x0
	s_load_dwordx4 s[36:39], s[4:5], 0x20
	s_load_dwordx8 s[12:19], s[4:5], 0x40
	v_lshl_add_u32 v8, v0, 2, 0
	s_mov_b32 s0, s7
	s_waitcnt lgkmcnt(0)
	s_mul_i32 s1, s1, s8
	s_add_i32 s2, s1, s7
	s_ashr_i32 s3, s2, 31
	s_lshl_b64 s[2:3], s[2:3], 2
	s_add_u32 s10, s24, s2
	s_addc_u32 s11, s25, s3
	s_cmp_lg_u64 s[36:37], 0
	v_cmp_gt_u32_e64 s2, 32, v0
	s_cselect_b32 s1, -1, 0
	s_cmp_eq_u64 s[36:37], 0
	s_cselect_b32 s19, -1, 0
	s_and_saveexec_b32 s3, s2
	s_cbranch_execz .LBB276_3
; %bb.1:
	v_mov_b32_e32 v1, 0
	s_andn2_b32 vcc_lo, exec_lo, s1
	ds_write_b32 v8, v1
	s_cbranch_vccnz .LBB276_3
; %bb.2:
	ds_write_b32 v8, v1 offset:128
.LBB276_3:
	s_or_b32 exec_lo, exec_lo, s3
	s_load_dword s7, s[10:11], 0x0
	s_load_dwordx4 s[28:31], s[4:5], 0x68
	v_mov_b32_e32 v7, 0
	v_mov_b32_e32 v9, 0
	s_mov_b32 s9, exec_lo
	s_waitcnt lgkmcnt(0)
	s_barrier
	buffer_gl0_inv
	v_cmpx_gt_i32_e64 s12, v0
	s_cbranch_execz .LBB276_9
; %bb.4:
	s_mul_hi_u32 s3, s13, s0
	s_mul_i32 s10, s7, s28
	s_add_i32 s3, s0, s3
	s_mul_i32 s11, s16, s6
	s_lshr_b32 s3, s3, s14
	s_ashr_i32 s13, s10, 31
	s_mul_i32 s3, s3, s15
	s_ashr_i32 s14, s11, 31
	s_sub_i32 s3, s0, s3
	s_add_u32 s10, s10, s11
	s_addc_u32 s11, s13, s14
	s_mul_i32 s13, s8, s17
	s_mul_i32 s14, s3, s29
	s_lshl_b32 s16, s13, 1
	s_ashr_i32 s15, s14, 31
	s_ashr_i32 s17, s16, 31
	s_and_b32 s3, s1, exec_lo
	s_cselect_b32 s29, s11, 0
	s_cselect_b32 s28, s10, 0
	v_lshlrev_b32_e32 v5, 2, v0
	s_cselect_b32 s3, s37, 0
	s_cselect_b32 s13, s36, 0
	s_lshl_b64 s[28:29], s[28:29], 1
	v_lshlrev_b32_e32 v3, 3, v0
	s_add_u32 s13, s13, s28
	s_addc_u32 s3, s3, s29
	v_add_co_u32 v1, s13, s13, v5
	s_lshl_b64 s[14:15], s[14:15], 2
	s_lshl_b64 s[16:17], s[16:17], 2
	v_add_co_ci_u32_e64 v2, null, s3, 0, s13
	s_add_u32 s3, s22, s14
	s_addc_u32 s13, s23, s15
	s_add_u32 s3, s3, s16
	s_addc_u32 s13, s13, s17
	v_add_co_u32 v3, s3, s3, v3
	s_lshl_b64 s[10:11], s[10:11], 1
	v_add_co_ci_u32_e64 v4, null, s13, 0, s3
	s_add_u32 s3, s20, s10
	v_add_co_u32 v3, vcc_lo, v3, 4
	s_addc_u32 s10, s21, s11
	v_add_co_u32 v5, s3, s3, v5
	v_mov_b32_e32 v7, 0
	v_add_co_ci_u32_e64 v4, null, 0, v4, vcc_lo
	v_add_co_ci_u32_e64 v6, null, s10, 0, s3
	v_mov_b32_e32 v10, v0
	v_mov_b32_e32 v9, 0
	s_mov_b32 s10, 0
	s_inst_prefetch 0x1
	s_branch .LBB276_6
	.p2align	6
.LBB276_5:                              ;   in Loop: Header=BB276_6 Depth=1
	global_load_dwordx2 v[14:15], v[3:4], off offset:-4
	s_waitcnt vmcnt(1)
	v_lshlrev_b32_e32 v16, 16, v13
	v_add_nc_u32_e32 v10, 0xe0, v10
	v_add_co_u32 v1, vcc_lo, 0x380, v1
	v_and_b32_e32 v13, 0xffff0000, v13
	v_add_co_ci_u32_e64 v2, null, 0, v2, vcc_lo
	v_add_co_u32 v3, vcc_lo, 0x700, v3
	v_add_co_ci_u32_e64 v4, null, 0, v4, vcc_lo
	v_cmp_le_i32_e32 vcc_lo, s12, v10
	v_add_co_u32 v5, s3, 0x380, v5
	v_add_co_ci_u32_e64 v6, null, 0, v6, s3
	s_or_b32 s10, vcc_lo, s10
	s_waitcnt vmcnt(0)
	v_fma_f32 v12, v12, v14, v7
	v_fmac_f32_e32 v9, v14, v16
	v_fmac_f32_e32 v12, v11, v15
	v_fmac_f32_e32 v9, v15, v13
	v_cndmask_b32_e64 v7, v7, v12, s1
	s_andn2_b32 exec_lo, exec_lo, s10
	s_cbranch_execz .LBB276_8
.LBB276_6:                              ; =>This Inner Loop Header: Depth=1
	global_load_dword v13, v[5:6], off
	v_mov_b32_e32 v11, 0
	v_mov_b32_e32 v12, 0
	s_andn2_b32 vcc_lo, exec_lo, s1
	s_cbranch_vccnz .LBB276_5
; %bb.7:                                ;   in Loop: Header=BB276_6 Depth=1
	global_load_dword v11, v[1:2], off
	s_waitcnt vmcnt(0)
	v_lshlrev_b32_e32 v12, 16, v11
	v_and_b32_e32 v11, 0xffff0000, v11
	s_branch .LBB276_5
.LBB276_8:
	s_inst_prefetch 0x2
	s_or_b32 exec_lo, exec_lo, s10
.LBB276_9:
	s_or_b32 exec_lo, exec_lo, s9
	v_mbcnt_lo_u32_b32 v1, -1, 0
	s_load_dword s9, s[4:5], 0x30
	s_mov_b32 s3, -1
	v_xor_b32_e32 v2, 16, v1
	v_xor_b32_e32 v3, 8, v1
	v_cmp_gt_i32_e32 vcc_lo, 32, v2
	v_cndmask_b32_e32 v2, v1, v2, vcc_lo
	v_cmp_gt_i32_e32 vcc_lo, 32, v3
	v_lshlrev_b32_e32 v2, 2, v2
	v_cndmask_b32_e32 v3, v1, v3, vcc_lo
	ds_bpermute_b32 v4, v2, v9
	v_lshlrev_b32_e32 v3, 2, v3
	s_waitcnt lgkmcnt(0)
	v_add_f32_e32 v5, v9, v4
	v_xor_b32_e32 v4, 4, v1
	ds_bpermute_b32 v6, v3, v5
	v_cmp_gt_i32_e32 vcc_lo, 32, v4
	v_cndmask_b32_e32 v4, v1, v4, vcc_lo
	v_lshlrev_b32_e32 v4, 2, v4
	s_waitcnt lgkmcnt(0)
	v_add_f32_e32 v6, v5, v6
	v_xor_b32_e32 v5, 2, v1
	ds_bpermute_b32 v9, v4, v6
	v_cmp_gt_i32_e32 vcc_lo, 32, v5
	v_cndmask_b32_e32 v5, v1, v5, vcc_lo
	;; [unrolled: 7-line block ×3, first 2 shown]
	s_and_b32 vcc_lo, exec_lo, s19
	v_lshlrev_b32_e32 v6, 2, v1
	s_waitcnt lgkmcnt(0)
	v_add_f32_e32 v1, v9, v10
	v_lshrrev_b32_e32 v10, 5, v0
	ds_bpermute_b32 v9, v6, v1
	s_waitcnt lgkmcnt(0)
	v_add_f32_e32 v1, v1, v9
	v_lshl_add_u32 v9, v10, 2, 0
	s_cbranch_vccz .LBB276_11
; %bb.10:
	s_mov_b32 s3, 0
	ds_write_b32 v9, v1
.LBB276_11:
	s_andn2_b32 vcc_lo, exec_lo, s3
	s_cbranch_vccnz .LBB276_13
; %bb.12:
	ds_bpermute_b32 v10, v2, v7
	s_waitcnt lgkmcnt(0)
	v_add_f32_e32 v7, v7, v10
	ds_bpermute_b32 v10, v3, v7
	s_waitcnt lgkmcnt(0)
	v_add_f32_e32 v7, v7, v10
	;; [unrolled: 3-line block ×5, first 2 shown]
	ds_write2_b32 v9, v1, v7 offset1:32
.LBB276_13:
	s_waitcnt lgkmcnt(0)
	s_barrier
	buffer_gl0_inv
	s_and_saveexec_b32 s3, s2
	s_cbranch_execz .LBB276_17
; %bb.14:
	ds_read_b32 v1, v8
	s_andn2_b32 vcc_lo, exec_lo, s1
	s_waitcnt lgkmcnt(0)
	ds_bpermute_b32 v9, v2, v1
	s_waitcnt lgkmcnt(0)
	v_add_f32_e32 v1, v1, v9
	ds_bpermute_b32 v9, v3, v1
	s_waitcnt lgkmcnt(0)
	v_add_f32_e32 v1, v1, v9
	;; [unrolled: 3-line block ×4, first 2 shown]
	ds_bpermute_b32 v9, v6, v1
	s_cbranch_vccnz .LBB276_16
; %bb.15:
	ds_read_b32 v7, v8 offset:128
	s_waitcnt lgkmcnt(0)
	ds_bpermute_b32 v2, v2, v7
	s_waitcnt lgkmcnt(0)
	v_add_f32_e32 v2, v7, v2
	ds_bpermute_b32 v3, v3, v2
	s_waitcnt lgkmcnt(0)
	v_add_f32_e32 v2, v2, v3
	ds_bpermute_b32 v3, v4, v2
	s_waitcnt lgkmcnt(0)
	v_add_f32_e32 v2, v2, v3
	ds_bpermute_b32 v3, v5, v2
	s_waitcnt lgkmcnt(0)
	v_add_f32_e32 v2, v2, v3
	ds_bpermute_b32 v3, v6, v2
	s_waitcnt lgkmcnt(0)
	v_add_f32_e32 v7, v2, v3
.LBB276_16:
	s_waitcnt lgkmcnt(0)
	v_add_f32_e32 v1, v1, v9
.LBB276_17:
	s_or_b32 exec_lo, exec_lo, s3
	s_barrier
	buffer_gl0_inv
	s_mov_b32 s2, exec_lo
	v_cmpx_eq_u32_e32 0, v0
	s_cbranch_execz .LBB276_41
; %bb.18:
	s_cmp_eq_u64 s[26:27], 0
	s_cselect_b32 s10, -1, 0
	s_cmp_eq_u64 s[24:25], 0
	s_cselect_b32 s2, s0, s7
	s_mul_i32 s2, s2, s30
	s_ashr_i32 s3, s2, 31
	s_and_b32 vcc_lo, exec_lo, s10
	s_cbranch_vccnz .LBB276_20
; %bb.19:
	s_cselect_b32 s7, 0, s27
	s_cselect_b32 s12, 0, s26
	s_lshl_b64 s[10:11], s[2:3], 2
	s_add_u32 s12, s12, s10
	s_addc_u32 s13, s7, s11
	s_ashr_i32 s7, s6, 31
	s_lshl_b64 s[10:11], s[6:7], 2
	s_add_u32 s10, s12, s10
	s_addc_u32 s11, s13, s11
	s_load_dword s7, s[10:11], 0x0
	s_waitcnt lgkmcnt(0)
	v_add_f32_e32 v1, s7, v1
.LBB276_20:
	s_andn2_b32 vcc_lo, exec_lo, s1
	s_cbranch_vccnz .LBB276_40
; %bb.21:
	s_cmp_lg_u64 s[38:39], 0
	s_cselect_b32 s7, -1, 0
	s_and_b32 s1, s7, s1
	s_andn2_b32 vcc_lo, exec_lo, s1
	s_cbranch_vccnz .LBB276_23
; %bb.22:
	s_and_b32 s7, s7, exec_lo
	s_cselect_b32 s7, s39, 0
	s_cselect_b32 s10, s38, 0
	s_and_b32 s1, s1, exec_lo
	s_cselect_b32 s3, s3, 0
	s_cselect_b32 s2, s2, 0
	s_lshl_b64 s[2:3], s[2:3], 2
	s_add_u32 s1, s10, s2
	s_addc_u32 s10, s7, s3
	s_ashr_i32 s7, s6, 31
	s_lshl_b64 s[2:3], s[6:7], 2
	s_add_u32 s2, s1, s2
	s_addc_u32 s3, s10, s3
	s_load_dword s1, s[2:3], 0x0
	s_waitcnt lgkmcnt(0)
	v_add_f32_e32 v7, s1, v7
.LBB276_23:
	s_cmp_lt_i32 s9, 2
	s_cbranch_scc1 .LBB276_28
; %bb.24:
	s_cmp_lt_i32 s9, 3
	s_cbranch_scc1 .LBB276_29
; %bb.25:
	v_mov_b32_e32 v0, v1
	s_cmp_eq_u32 s9, 3
	s_cbranch_scc0 .LBB276_27
; %bb.26:
	v_max_f32_e32 v0, v7, v7
	v_min_f32_e32 v0, 0x40e00000, v0
	v_mul_f32_e32 v2, 0xbfd9db23, v0
	v_mul_f32_e32 v3, 0x3fb8aa3b, v2
	v_cmp_ngt_f32_e32 vcc_lo, 0xc2ce8ed0, v2
	v_fma_f32 v4, 0x3fb8aa3b, v2, -v3
	v_rndne_f32_e32 v5, v3
	v_fmamk_f32 v4, v2, 0x32a5705f, v4
	v_sub_f32_e32 v3, v3, v5
	v_add_f32_e32 v3, v3, v4
	v_cvt_i32_f32_e32 v4, v5
	v_exp_f32_e32 v3, v3
	v_ldexp_f32 v3, v3, v4
	v_cndmask_b32_e32 v3, 0, v3, vcc_lo
	v_cmp_nlt_f32_e32 vcc_lo, 0x42b17218, v2
	v_cndmask_b32_e32 v2, 0x7f800000, v3, vcc_lo
	v_add_f32_e32 v2, 1.0, v2
	v_div_scale_f32 v3, null, v2, v2, v0
	v_div_scale_f32 v6, vcc_lo, v0, v2, v0
	v_rcp_f32_e32 v4, v3
	v_fma_f32 v5, -v3, v4, 1.0
	v_fmac_f32_e32 v4, v5, v4
	v_mul_f32_e32 v5, v6, v4
	v_fma_f32 v8, -v3, v5, v6
	v_fmac_f32_e32 v5, v8, v4
	v_max_f32_e32 v8, v1, v1
	v_fma_f32 v3, -v3, v5, v6
	v_min_f32_e32 v6, 0x40e00000, v8
	v_div_fmas_f32 v3, v3, v4, v5
	v_max_f32_e32 v4, 0xc0e00000, v6
	v_div_fixup_f32 v0, v3, v2, v0
	v_add_f32_e32 v2, 1.0, v4
	v_mul_f32_e32 v0, v2, v0
.LBB276_27:
	s_cbranch_execz .LBB276_30
	s_branch .LBB276_31
.LBB276_28:
                                        ; implicit-def: $vgpr0
	s_branch .LBB276_32
.LBB276_29:
                                        ; implicit-def: $vgpr0
.LBB276_30:
	v_mul_f32_e32 v0, 0xbfb8aa3b, v7
	v_cmp_nlt_f32_e32 vcc_lo, 0x42ce8ed0, v7
	v_rndne_f32_e32 v2, v0
	v_fma_f32 v3, 0xbfb8aa3b, v7, -v0
	v_sub_f32_e32 v0, v0, v2
	v_fmamk_f32 v3, v7, 0xb2a5705f, v3
	v_cvt_i32_f32_e32 v2, v2
	v_add_f32_e32 v0, v0, v3
	v_exp_f32_e32 v0, v0
	v_ldexp_f32 v0, v0, v2
	v_cndmask_b32_e32 v0, 0, v0, vcc_lo
	v_cmp_ngt_f32_e32 vcc_lo, 0xc2b17218, v7
	v_cndmask_b32_e32 v0, 0x7f800000, v0, vcc_lo
	v_add_f32_e32 v0, 1.0, v0
	v_div_scale_f32 v2, null, v0, v0, v7
	v_rcp_f32_e32 v3, v2
	v_fma_f32 v4, -v2, v3, 1.0
	v_fmac_f32_e32 v3, v4, v3
	v_div_scale_f32 v4, vcc_lo, v7, v0, v7
	v_mul_f32_e32 v5, v4, v3
	v_fma_f32 v6, -v2, v5, v4
	v_fmac_f32_e32 v5, v6, v3
	v_fma_f32 v2, -v2, v5, v4
	v_div_fmas_f32 v2, v2, v3, v5
	v_div_fixup_f32 v0, v2, v0, v7
	v_mul_f32_e32 v0, v1, v0
.LBB276_31:
	s_cbranch_execnz .LBB276_39
.LBB276_32:
	s_cmp_eq_u32 s9, 1
	s_cbranch_scc0 .LBB276_38
; %bb.33:
	v_mul_f32_e32 v0, 0x3d372713, v7
	v_mul_f32_e32 v2, 0x3f4c422a, v7
	v_fma_f32 v0, v7, v0, 1.0
	v_mul_f32_e32 v0, v2, v0
                                        ; implicit-def: $vgpr2
	v_cmp_ngt_f32_e64 s1, 0x3f200000, |v0|
	s_and_saveexec_b32 s2, s1
	s_xor_b32 s1, exec_lo, s2
	s_cbranch_execz .LBB276_35
; %bb.34:
	v_add_f32_e64 v2, |v0|, |v0|
	v_mul_f32_e32 v3, 0x3fb8aa3b, v2
	v_cmp_ngt_f32_e32 vcc_lo, 0xc2ce8ed0, v2
	v_rndne_f32_e32 v4, v3
	v_fma_f32 v5, 0x3fb8aa3b, v2, -v3
	v_sub_f32_e32 v3, v3, v4
	v_fmamk_f32 v5, v2, 0x32a5705f, v5
	v_cvt_i32_f32_e32 v4, v4
	v_add_f32_e32 v3, v3, v5
	v_exp_f32_e32 v3, v3
	v_ldexp_f32 v3, v3, v4
	v_cndmask_b32_e32 v3, 0, v3, vcc_lo
	v_cmp_nlt_f32_e32 vcc_lo, 0x42b17218, v2
	v_cndmask_b32_e32 v2, 0x7f800000, v3, vcc_lo
	v_add_f32_e32 v2, 1.0, v2
	v_rcp_f32_e32 v2, v2
	v_fma_f32 v2, v2, -2.0, 1.0
.LBB276_35:
	s_andn2_saveexec_b32 s1, s1
	s_cbranch_execz .LBB276_37
; %bb.36:
	v_mul_f32_e32 v2, v0, v0
	s_mov_b32 s2, 0xbbbac73d
	v_fmaak_f32 v3, s2, v2, 0x3ca908c9
	v_fmaak_f32 v3, v2, v3, 0xbd5c1c4e
	;; [unrolled: 1-line block ×4, first 2 shown]
	v_mul_f32_e64 v3, |v0|, v3
	v_fma_f32 v2, v2, v3, |v0|
.LBB276_37:
	s_or_b32 exec_lo, exec_lo, s1
	v_bfi_b32 v0, 0x7fffffff, v2, v0
	v_mul_f32_e32 v2, 0.5, v7
	v_add_f32_e32 v0, 1.0, v0
	v_mul_f32_e32 v0, v2, v0
	v_mul_f32_e32 v1, v1, v0
.LBB276_38:
	v_mov_b32_e32 v0, v1
.LBB276_39:
	v_mov_b32_e32 v1, v0
.LBB276_40:
	s_load_dwordx2 s[2:3], s[4:5], 0x38
	s_mul_i32 s0, s30, s0
	s_mul_i32 s4, s18, s8
	s_ashr_i32 s1, s0, 31
	v_mov_b32_e32 v0, 0
	s_lshl_b64 s[0:1], s[0:1], 2
	s_waitcnt lgkmcnt(0)
	s_add_u32 s2, s2, s0
	s_addc_u32 s3, s3, s1
	s_ashr_i32 s5, s4, 31
	s_lshl_b64 s[0:1], s[4:5], 2
	s_add_u32 s2, s2, s0
	s_addc_u32 s3, s3, s1
	s_ashr_i32 s7, s6, 31
	s_lshl_b64 s[0:1], s[6:7], 2
	s_add_u32 s0, s2, s0
	s_addc_u32 s1, s3, s1
	global_store_dword v0, v1, s[0:1]
.LBB276_41:
	s_endpgm
	.section	.rodata,"a",@progbits
	.p2align	6, 0x0
	.amdhsa_kernel _ZL13mul_mat_vec_fI14__hip_bfloat16fLi1ELi224ELb1ELb1EEvPKT_PKfPKi31ggml_cuda_mm_fusion_args_devicePfi15HIP_vector_typeIjLj3EEiiiSB_iiiSB_iiii
		.amdhsa_group_segment_fixed_size 0
		.amdhsa_private_segment_fixed_size 0
		.amdhsa_kernarg_size 144
		.amdhsa_user_sgpr_count 6
		.amdhsa_user_sgpr_private_segment_buffer 1
		.amdhsa_user_sgpr_dispatch_ptr 0
		.amdhsa_user_sgpr_queue_ptr 0
		.amdhsa_user_sgpr_kernarg_segment_ptr 1
		.amdhsa_user_sgpr_dispatch_id 0
		.amdhsa_user_sgpr_flat_scratch_init 0
		.amdhsa_user_sgpr_private_segment_size 0
		.amdhsa_wavefront_size32 1
		.amdhsa_uses_dynamic_stack 0
		.amdhsa_system_sgpr_private_segment_wavefront_offset 0
		.amdhsa_system_sgpr_workgroup_id_x 1
		.amdhsa_system_sgpr_workgroup_id_y 1
		.amdhsa_system_sgpr_workgroup_id_z 1
		.amdhsa_system_sgpr_workgroup_info 0
		.amdhsa_system_vgpr_workitem_id 0
		.amdhsa_next_free_vgpr 17
		.amdhsa_next_free_sgpr 40
		.amdhsa_reserve_vcc 1
		.amdhsa_reserve_flat_scratch 0
		.amdhsa_float_round_mode_32 0
		.amdhsa_float_round_mode_16_64 0
		.amdhsa_float_denorm_mode_32 3
		.amdhsa_float_denorm_mode_16_64 3
		.amdhsa_dx10_clamp 1
		.amdhsa_ieee_mode 1
		.amdhsa_fp16_overflow 0
		.amdhsa_workgroup_processor_mode 1
		.amdhsa_memory_ordered 1
		.amdhsa_forward_progress 1
		.amdhsa_shared_vgpr_count 0
		.amdhsa_exception_fp_ieee_invalid_op 0
		.amdhsa_exception_fp_denorm_src 0
		.amdhsa_exception_fp_ieee_div_zero 0
		.amdhsa_exception_fp_ieee_overflow 0
		.amdhsa_exception_fp_ieee_underflow 0
		.amdhsa_exception_fp_ieee_inexact 0
		.amdhsa_exception_int_div_zero 0
	.end_amdhsa_kernel
	.section	.text._ZL13mul_mat_vec_fI14__hip_bfloat16fLi1ELi224ELb1ELb1EEvPKT_PKfPKi31ggml_cuda_mm_fusion_args_devicePfi15HIP_vector_typeIjLj3EEiiiSB_iiiSB_iiii,"axG",@progbits,_ZL13mul_mat_vec_fI14__hip_bfloat16fLi1ELi224ELb1ELb1EEvPKT_PKfPKi31ggml_cuda_mm_fusion_args_devicePfi15HIP_vector_typeIjLj3EEiiiSB_iiiSB_iiii,comdat
.Lfunc_end276:
	.size	_ZL13mul_mat_vec_fI14__hip_bfloat16fLi1ELi224ELb1ELb1EEvPKT_PKfPKi31ggml_cuda_mm_fusion_args_devicePfi15HIP_vector_typeIjLj3EEiiiSB_iiiSB_iiii, .Lfunc_end276-_ZL13mul_mat_vec_fI14__hip_bfloat16fLi1ELi224ELb1ELb1EEvPKT_PKfPKi31ggml_cuda_mm_fusion_args_devicePfi15HIP_vector_typeIjLj3EEiiiSB_iiiSB_iiii
                                        ; -- End function
	.set _ZL13mul_mat_vec_fI14__hip_bfloat16fLi1ELi224ELb1ELb1EEvPKT_PKfPKi31ggml_cuda_mm_fusion_args_devicePfi15HIP_vector_typeIjLj3EEiiiSB_iiiSB_iiii.num_vgpr, 17
	.set _ZL13mul_mat_vec_fI14__hip_bfloat16fLi1ELi224ELb1ELb1EEvPKT_PKfPKi31ggml_cuda_mm_fusion_args_devicePfi15HIP_vector_typeIjLj3EEiiiSB_iiiSB_iiii.num_agpr, 0
	.set _ZL13mul_mat_vec_fI14__hip_bfloat16fLi1ELi224ELb1ELb1EEvPKT_PKfPKi31ggml_cuda_mm_fusion_args_devicePfi15HIP_vector_typeIjLj3EEiiiSB_iiiSB_iiii.numbered_sgpr, 40
	.set _ZL13mul_mat_vec_fI14__hip_bfloat16fLi1ELi224ELb1ELb1EEvPKT_PKfPKi31ggml_cuda_mm_fusion_args_devicePfi15HIP_vector_typeIjLj3EEiiiSB_iiiSB_iiii.num_named_barrier, 0
	.set _ZL13mul_mat_vec_fI14__hip_bfloat16fLi1ELi224ELb1ELb1EEvPKT_PKfPKi31ggml_cuda_mm_fusion_args_devicePfi15HIP_vector_typeIjLj3EEiiiSB_iiiSB_iiii.private_seg_size, 0
	.set _ZL13mul_mat_vec_fI14__hip_bfloat16fLi1ELi224ELb1ELb1EEvPKT_PKfPKi31ggml_cuda_mm_fusion_args_devicePfi15HIP_vector_typeIjLj3EEiiiSB_iiiSB_iiii.uses_vcc, 1
	.set _ZL13mul_mat_vec_fI14__hip_bfloat16fLi1ELi224ELb1ELb1EEvPKT_PKfPKi31ggml_cuda_mm_fusion_args_devicePfi15HIP_vector_typeIjLj3EEiiiSB_iiiSB_iiii.uses_flat_scratch, 0
	.set _ZL13mul_mat_vec_fI14__hip_bfloat16fLi1ELi224ELb1ELb1EEvPKT_PKfPKi31ggml_cuda_mm_fusion_args_devicePfi15HIP_vector_typeIjLj3EEiiiSB_iiiSB_iiii.has_dyn_sized_stack, 0
	.set _ZL13mul_mat_vec_fI14__hip_bfloat16fLi1ELi224ELb1ELb1EEvPKT_PKfPKi31ggml_cuda_mm_fusion_args_devicePfi15HIP_vector_typeIjLj3EEiiiSB_iiiSB_iiii.has_recursion, 0
	.set _ZL13mul_mat_vec_fI14__hip_bfloat16fLi1ELi224ELb1ELb1EEvPKT_PKfPKi31ggml_cuda_mm_fusion_args_devicePfi15HIP_vector_typeIjLj3EEiiiSB_iiiSB_iiii.has_indirect_call, 0
	.section	.AMDGPU.csdata,"",@progbits
; Kernel info:
; codeLenInByte = 2160
; TotalNumSgprs: 42
; NumVgprs: 17
; ScratchSize: 0
; MemoryBound: 0
; FloatMode: 240
; IeeeMode: 1
; LDSByteSize: 0 bytes/workgroup (compile time only)
; SGPRBlocks: 0
; VGPRBlocks: 2
; NumSGPRsForWavesPerEU: 42
; NumVGPRsForWavesPerEU: 17
; Occupancy: 16
; WaveLimiterHint : 1
; COMPUTE_PGM_RSRC2:SCRATCH_EN: 0
; COMPUTE_PGM_RSRC2:USER_SGPR: 6
; COMPUTE_PGM_RSRC2:TRAP_HANDLER: 0
; COMPUTE_PGM_RSRC2:TGID_X_EN: 1
; COMPUTE_PGM_RSRC2:TGID_Y_EN: 1
; COMPUTE_PGM_RSRC2:TGID_Z_EN: 1
; COMPUTE_PGM_RSRC2:TIDIG_COMP_CNT: 0
	.section	.text._ZL13mul_mat_vec_fI14__hip_bfloat16fLi1ELi224ELb0ELb1EEvPKT_PKfPKi31ggml_cuda_mm_fusion_args_devicePfi15HIP_vector_typeIjLj3EEiiiSB_iiiSB_iiii,"axG",@progbits,_ZL13mul_mat_vec_fI14__hip_bfloat16fLi1ELi224ELb0ELb1EEvPKT_PKfPKi31ggml_cuda_mm_fusion_args_devicePfi15HIP_vector_typeIjLj3EEiiiSB_iiiSB_iiii,comdat
	.globl	_ZL13mul_mat_vec_fI14__hip_bfloat16fLi1ELi224ELb0ELb1EEvPKT_PKfPKi31ggml_cuda_mm_fusion_args_devicePfi15HIP_vector_typeIjLj3EEiiiSB_iiiSB_iiii ; -- Begin function _ZL13mul_mat_vec_fI14__hip_bfloat16fLi1ELi224ELb0ELb1EEvPKT_PKfPKi31ggml_cuda_mm_fusion_args_devicePfi15HIP_vector_typeIjLj3EEiiiSB_iiiSB_iiii
	.p2align	8
	.type	_ZL13mul_mat_vec_fI14__hip_bfloat16fLi1ELi224ELb0ELb1EEvPKT_PKfPKi31ggml_cuda_mm_fusion_args_devicePfi15HIP_vector_typeIjLj3EEiiiSB_iiiSB_iiii,@function
_ZL13mul_mat_vec_fI14__hip_bfloat16fLi1ELi224ELb0ELb1EEvPKT_PKfPKi31ggml_cuda_mm_fusion_args_devicePfi15HIP_vector_typeIjLj3EEiiiSB_iiiSB_iiii: ; @_ZL13mul_mat_vec_fI14__hip_bfloat16fLi1ELi224ELb0ELb1EEvPKT_PKfPKi31ggml_cuda_mm_fusion_args_devicePfi15HIP_vector_typeIjLj3EEiiiSB_iiiSB_iiii
; %bb.0:
	s_clause 0x2
	s_load_dword s2, s[4:5], 0x8c
	s_load_dwordx2 s[0:1], s[4:5], 0x10
	s_load_dwordx8 s[12:19], s[4:5], 0x40
	v_cmp_gt_u32_e32 vcc_lo, 32, v0
	v_lshl_add_u32 v5, v0, 2, 0
	s_waitcnt lgkmcnt(0)
	s_mul_i32 s2, s2, s8
	s_add_i32 s2, s2, s7
	s_ashr_i32 s3, s2, 31
	s_lshl_b64 s[2:3], s[2:3], 2
	s_add_u32 s2, s0, s2
	s_addc_u32 s3, s1, s3
	s_and_saveexec_b32 s0, vcc_lo
; %bb.1:
	v_mov_b32_e32 v1, 0
	ds_write_b32 v5, v1
; %bb.2:
	s_or_b32 exec_lo, exec_lo, s0
	s_load_dwordx4 s[20:23], s[4:5], 0x68
	v_mov_b32_e32 v6, 0
	s_mov_b32 s9, exec_lo
	s_waitcnt lgkmcnt(0)
	s_barrier
	buffer_gl0_inv
	v_cmpx_gt_i32_e64 s12, v0
	s_cbranch_execz .LBB277_6
; %bb.3:
	s_load_dword s19, s[2:3], 0x0
	s_load_dwordx4 s[24:27], s[4:5], 0x0
	s_mul_hi_u32 s0, s13, s7
	s_mul_i32 s1, s8, s17
	s_add_i32 s0, s7, s0
	s_mul_i32 s2, s16, s6
	s_lshr_b32 s0, s0, s14
	v_lshlrev_b32_e32 v1, 3, v0
	s_mul_i32 s10, s0, s15
	s_lshl_b32 s0, s1, 1
	s_sub_i32 s10, s7, s10
	s_ashr_i32 s1, s0, 31
	s_mul_i32 s10, s10, s21
	s_ashr_i32 s3, s2, 31
	s_ashr_i32 s11, s10, 31
	s_lshl_b64 s[0:1], s[0:1], 2
	s_lshl_b64 s[10:11], s[10:11], 2
	v_lshlrev_b32_e32 v3, 2, v0
	v_mov_b32_e32 v6, 0
	v_mov_b32_e32 v7, v0
	s_waitcnt lgkmcnt(0)
	s_mul_i32 s14, s19, s20
	s_ashr_i32 s15, s14, 31
	s_add_u32 s10, s26, s10
	s_addc_u32 s11, s27, s11
	s_add_u32 s0, s10, s0
	s_addc_u32 s1, s11, s1
	v_add_co_u32 v1, s0, s0, v1
	v_add_co_ci_u32_e64 v2, null, s1, 0, s0
	s_lshl_b64 s[10:11], s[14:15], 1
	v_add_co_u32 v1, s0, v1, 4
	v_add_co_ci_u32_e64 v2, null, 0, v2, s0
	s_lshl_b64 s[0:1], s[2:3], 1
	s_add_u32 s2, s24, s10
	s_addc_u32 s3, s25, s11
	s_add_u32 s0, s2, s0
	s_addc_u32 s1, s3, s1
	v_add_co_u32 v3, s0, s0, v3
	v_add_co_ci_u32_e64 v4, null, s1, 0, s0
	s_mov_b32 s2, 0
	.p2align	6
.LBB277_4:                              ; =>This Inner Loop Header: Depth=1
	global_load_dword v10, v[3:4], off
	global_load_dwordx2 v[8:9], v[1:2], off offset:-4
	v_add_nc_u32_e32 v7, 0xe0, v7
	v_add_co_u32 v1, s0, 0x700, v1
	v_add_co_ci_u32_e64 v2, null, 0, v2, s0
	v_add_co_u32 v3, s0, 0x380, v3
	v_cmp_le_i32_e64 s1, s12, v7
	v_add_co_ci_u32_e64 v4, null, 0, v4, s0
	s_or_b32 s2, s1, s2
	s_waitcnt vmcnt(1)
	v_lshlrev_b32_e32 v11, 16, v10
	v_and_b32_e32 v10, 0xffff0000, v10
	s_waitcnt vmcnt(0)
	v_fmac_f32_e32 v6, v8, v11
	v_fmac_f32_e32 v6, v9, v10
	s_andn2_b32 exec_lo, exec_lo, s2
	s_cbranch_execnz .LBB277_4
; %bb.5:
	s_or_b32 exec_lo, exec_lo, s2
.LBB277_6:
	s_or_b32 exec_lo, exec_lo, s9
	v_mbcnt_lo_u32_b32 v2, -1, 0
	v_xor_b32_e32 v1, 16, v2
	v_xor_b32_e32 v3, 8, v2
	v_cmp_gt_i32_e64 s0, 32, v1
	v_cndmask_b32_e64 v1, v2, v1, s0
	v_cmp_gt_i32_e64 s0, 32, v3
	v_lshlrev_b32_e32 v1, 2, v1
	v_cndmask_b32_e64 v3, v2, v3, s0
	ds_bpermute_b32 v4, v1, v6
	v_lshlrev_b32_e32 v3, 2, v3
	s_waitcnt lgkmcnt(0)
	v_add_f32_e32 v6, v6, v4
	v_xor_b32_e32 v4, 4, v2
	ds_bpermute_b32 v7, v3, v6
	v_cmp_gt_i32_e64 s0, 32, v4
	v_cndmask_b32_e64 v4, v2, v4, s0
	v_lshlrev_b32_e32 v4, 2, v4
	s_waitcnt lgkmcnt(0)
	v_add_f32_e32 v7, v6, v7
	v_xor_b32_e32 v6, 2, v2
	ds_bpermute_b32 v8, v4, v7
	v_cmp_gt_i32_e64 s0, 32, v6
	v_cndmask_b32_e64 v6, v2, v6, s0
	;; [unrolled: 7-line block ×3, first 2 shown]
	v_lshlrev_b32_e32 v7, 2, v2
	s_waitcnt lgkmcnt(0)
	v_add_f32_e32 v2, v8, v9
	v_lshrrev_b32_e32 v9, 3, v0
	ds_bpermute_b32 v8, v7, v2
	v_and_b32_e32 v9, 0x7c, v9
	v_add_nc_u32_e32 v9, 0, v9
	s_waitcnt lgkmcnt(0)
	v_add_f32_e32 v2, v2, v8
	ds_write_b32 v9, v2
	s_waitcnt lgkmcnt(0)
	s_barrier
	buffer_gl0_inv
	s_and_saveexec_b32 s0, vcc_lo
	s_cbranch_execz .LBB277_8
; %bb.7:
	ds_read_b32 v2, v5
	s_waitcnt lgkmcnt(0)
	ds_bpermute_b32 v1, v1, v2
	s_waitcnt lgkmcnt(0)
	v_add_f32_e32 v1, v2, v1
	ds_bpermute_b32 v2, v3, v1
	s_waitcnt lgkmcnt(0)
	v_add_f32_e32 v1, v1, v2
	;; [unrolled: 3-line block ×5, first 2 shown]
.LBB277_8:
	s_or_b32 exec_lo, exec_lo, s0
	s_barrier
	buffer_gl0_inv
	s_mov_b32 s0, exec_lo
	v_cmpx_eq_u32_e32 0, v0
	s_cbranch_execz .LBB277_10
; %bb.9:
	s_load_dwordx2 s[0:1], s[4:5], 0x38
	s_mul_i32 s2, s22, s7
	s_mul_i32 s4, s18, s8
	s_ashr_i32 s3, s2, 31
	v_mov_b32_e32 v0, 0
	s_lshl_b64 s[2:3], s[2:3], 2
	s_waitcnt lgkmcnt(0)
	s_add_u32 s2, s0, s2
	s_addc_u32 s3, s1, s3
	s_ashr_i32 s5, s4, 31
	s_lshl_b64 s[0:1], s[4:5], 2
	s_add_u32 s2, s2, s0
	s_addc_u32 s3, s3, s1
	s_ashr_i32 s7, s6, 31
	s_lshl_b64 s[0:1], s[6:7], 2
	s_add_u32 s0, s2, s0
	s_addc_u32 s1, s3, s1
	global_store_dword v0, v2, s[0:1]
.LBB277_10:
	s_endpgm
	.section	.rodata,"a",@progbits
	.p2align	6, 0x0
	.amdhsa_kernel _ZL13mul_mat_vec_fI14__hip_bfloat16fLi1ELi224ELb0ELb1EEvPKT_PKfPKi31ggml_cuda_mm_fusion_args_devicePfi15HIP_vector_typeIjLj3EEiiiSB_iiiSB_iiii
		.amdhsa_group_segment_fixed_size 0
		.amdhsa_private_segment_fixed_size 0
		.amdhsa_kernarg_size 144
		.amdhsa_user_sgpr_count 6
		.amdhsa_user_sgpr_private_segment_buffer 1
		.amdhsa_user_sgpr_dispatch_ptr 0
		.amdhsa_user_sgpr_queue_ptr 0
		.amdhsa_user_sgpr_kernarg_segment_ptr 1
		.amdhsa_user_sgpr_dispatch_id 0
		.amdhsa_user_sgpr_flat_scratch_init 0
		.amdhsa_user_sgpr_private_segment_size 0
		.amdhsa_wavefront_size32 1
		.amdhsa_uses_dynamic_stack 0
		.amdhsa_system_sgpr_private_segment_wavefront_offset 0
		.amdhsa_system_sgpr_workgroup_id_x 1
		.amdhsa_system_sgpr_workgroup_id_y 1
		.amdhsa_system_sgpr_workgroup_id_z 1
		.amdhsa_system_sgpr_workgroup_info 0
		.amdhsa_system_vgpr_workitem_id 0
		.amdhsa_next_free_vgpr 12
		.amdhsa_next_free_sgpr 28
		.amdhsa_reserve_vcc 1
		.amdhsa_reserve_flat_scratch 0
		.amdhsa_float_round_mode_32 0
		.amdhsa_float_round_mode_16_64 0
		.amdhsa_float_denorm_mode_32 3
		.amdhsa_float_denorm_mode_16_64 3
		.amdhsa_dx10_clamp 1
		.amdhsa_ieee_mode 1
		.amdhsa_fp16_overflow 0
		.amdhsa_workgroup_processor_mode 1
		.amdhsa_memory_ordered 1
		.amdhsa_forward_progress 1
		.amdhsa_shared_vgpr_count 0
		.amdhsa_exception_fp_ieee_invalid_op 0
		.amdhsa_exception_fp_denorm_src 0
		.amdhsa_exception_fp_ieee_div_zero 0
		.amdhsa_exception_fp_ieee_overflow 0
		.amdhsa_exception_fp_ieee_underflow 0
		.amdhsa_exception_fp_ieee_inexact 0
		.amdhsa_exception_int_div_zero 0
	.end_amdhsa_kernel
	.section	.text._ZL13mul_mat_vec_fI14__hip_bfloat16fLi1ELi224ELb0ELb1EEvPKT_PKfPKi31ggml_cuda_mm_fusion_args_devicePfi15HIP_vector_typeIjLj3EEiiiSB_iiiSB_iiii,"axG",@progbits,_ZL13mul_mat_vec_fI14__hip_bfloat16fLi1ELi224ELb0ELb1EEvPKT_PKfPKi31ggml_cuda_mm_fusion_args_devicePfi15HIP_vector_typeIjLj3EEiiiSB_iiiSB_iiii,comdat
.Lfunc_end277:
	.size	_ZL13mul_mat_vec_fI14__hip_bfloat16fLi1ELi224ELb0ELb1EEvPKT_PKfPKi31ggml_cuda_mm_fusion_args_devicePfi15HIP_vector_typeIjLj3EEiiiSB_iiiSB_iiii, .Lfunc_end277-_ZL13mul_mat_vec_fI14__hip_bfloat16fLi1ELi224ELb0ELb1EEvPKT_PKfPKi31ggml_cuda_mm_fusion_args_devicePfi15HIP_vector_typeIjLj3EEiiiSB_iiiSB_iiii
                                        ; -- End function
	.set _ZL13mul_mat_vec_fI14__hip_bfloat16fLi1ELi224ELb0ELb1EEvPKT_PKfPKi31ggml_cuda_mm_fusion_args_devicePfi15HIP_vector_typeIjLj3EEiiiSB_iiiSB_iiii.num_vgpr, 12
	.set _ZL13mul_mat_vec_fI14__hip_bfloat16fLi1ELi224ELb0ELb1EEvPKT_PKfPKi31ggml_cuda_mm_fusion_args_devicePfi15HIP_vector_typeIjLj3EEiiiSB_iiiSB_iiii.num_agpr, 0
	.set _ZL13mul_mat_vec_fI14__hip_bfloat16fLi1ELi224ELb0ELb1EEvPKT_PKfPKi31ggml_cuda_mm_fusion_args_devicePfi15HIP_vector_typeIjLj3EEiiiSB_iiiSB_iiii.numbered_sgpr, 28
	.set _ZL13mul_mat_vec_fI14__hip_bfloat16fLi1ELi224ELb0ELb1EEvPKT_PKfPKi31ggml_cuda_mm_fusion_args_devicePfi15HIP_vector_typeIjLj3EEiiiSB_iiiSB_iiii.num_named_barrier, 0
	.set _ZL13mul_mat_vec_fI14__hip_bfloat16fLi1ELi224ELb0ELb1EEvPKT_PKfPKi31ggml_cuda_mm_fusion_args_devicePfi15HIP_vector_typeIjLj3EEiiiSB_iiiSB_iiii.private_seg_size, 0
	.set _ZL13mul_mat_vec_fI14__hip_bfloat16fLi1ELi224ELb0ELb1EEvPKT_PKfPKi31ggml_cuda_mm_fusion_args_devicePfi15HIP_vector_typeIjLj3EEiiiSB_iiiSB_iiii.uses_vcc, 1
	.set _ZL13mul_mat_vec_fI14__hip_bfloat16fLi1ELi224ELb0ELb1EEvPKT_PKfPKi31ggml_cuda_mm_fusion_args_devicePfi15HIP_vector_typeIjLj3EEiiiSB_iiiSB_iiii.uses_flat_scratch, 0
	.set _ZL13mul_mat_vec_fI14__hip_bfloat16fLi1ELi224ELb0ELb1EEvPKT_PKfPKi31ggml_cuda_mm_fusion_args_devicePfi15HIP_vector_typeIjLj3EEiiiSB_iiiSB_iiii.has_dyn_sized_stack, 0
	.set _ZL13mul_mat_vec_fI14__hip_bfloat16fLi1ELi224ELb0ELb1EEvPKT_PKfPKi31ggml_cuda_mm_fusion_args_devicePfi15HIP_vector_typeIjLj3EEiiiSB_iiiSB_iiii.has_recursion, 0
	.set _ZL13mul_mat_vec_fI14__hip_bfloat16fLi1ELi224ELb0ELb1EEvPKT_PKfPKi31ggml_cuda_mm_fusion_args_devicePfi15HIP_vector_typeIjLj3EEiiiSB_iiiSB_iiii.has_indirect_call, 0
	.section	.AMDGPU.csdata,"",@progbits
; Kernel info:
; codeLenInByte = 964
; TotalNumSgprs: 30
; NumVgprs: 12
; ScratchSize: 0
; MemoryBound: 0
; FloatMode: 240
; IeeeMode: 1
; LDSByteSize: 0 bytes/workgroup (compile time only)
; SGPRBlocks: 0
; VGPRBlocks: 1
; NumSGPRsForWavesPerEU: 30
; NumVGPRsForWavesPerEU: 12
; Occupancy: 16
; WaveLimiterHint : 1
; COMPUTE_PGM_RSRC2:SCRATCH_EN: 0
; COMPUTE_PGM_RSRC2:USER_SGPR: 6
; COMPUTE_PGM_RSRC2:TRAP_HANDLER: 0
; COMPUTE_PGM_RSRC2:TGID_X_EN: 1
; COMPUTE_PGM_RSRC2:TGID_Y_EN: 1
; COMPUTE_PGM_RSRC2:TGID_Z_EN: 1
; COMPUTE_PGM_RSRC2:TIDIG_COMP_CNT: 0
	.section	.text._ZL13mul_mat_vec_fI14__hip_bfloat16fLi1ELi256ELb1ELb1EEvPKT_PKfPKi31ggml_cuda_mm_fusion_args_devicePfi15HIP_vector_typeIjLj3EEiiiSB_iiiSB_iiii,"axG",@progbits,_ZL13mul_mat_vec_fI14__hip_bfloat16fLi1ELi256ELb1ELb1EEvPKT_PKfPKi31ggml_cuda_mm_fusion_args_devicePfi15HIP_vector_typeIjLj3EEiiiSB_iiiSB_iiii,comdat
	.globl	_ZL13mul_mat_vec_fI14__hip_bfloat16fLi1ELi256ELb1ELb1EEvPKT_PKfPKi31ggml_cuda_mm_fusion_args_devicePfi15HIP_vector_typeIjLj3EEiiiSB_iiiSB_iiii ; -- Begin function _ZL13mul_mat_vec_fI14__hip_bfloat16fLi1ELi256ELb1ELb1EEvPKT_PKfPKi31ggml_cuda_mm_fusion_args_devicePfi15HIP_vector_typeIjLj3EEiiiSB_iiiSB_iiii
	.p2align	8
	.type	_ZL13mul_mat_vec_fI14__hip_bfloat16fLi1ELi256ELb1ELb1EEvPKT_PKfPKi31ggml_cuda_mm_fusion_args_devicePfi15HIP_vector_typeIjLj3EEiiiSB_iiiSB_iiii,@function
_ZL13mul_mat_vec_fI14__hip_bfloat16fLi1ELi256ELb1ELb1EEvPKT_PKfPKi31ggml_cuda_mm_fusion_args_devicePfi15HIP_vector_typeIjLj3EEiiiSB_iiiSB_iiii: ; @_ZL13mul_mat_vec_fI14__hip_bfloat16fLi1ELi256ELb1ELb1EEvPKT_PKfPKi31ggml_cuda_mm_fusion_args_devicePfi15HIP_vector_typeIjLj3EEiiiSB_iiiSB_iiii
; %bb.0:
	s_clause 0x3
	s_load_dword s1, s[4:5], 0x8c
	s_load_dwordx8 s[20:27], s[4:5], 0x0
	s_load_dwordx4 s[36:39], s[4:5], 0x20
	s_load_dwordx8 s[12:19], s[4:5], 0x40
	v_lshl_add_u32 v8, v0, 2, 0
	s_mov_b32 s0, s7
	s_waitcnt lgkmcnt(0)
	s_mul_i32 s1, s1, s8
	s_add_i32 s2, s1, s7
	s_ashr_i32 s3, s2, 31
	s_lshl_b64 s[2:3], s[2:3], 2
	s_add_u32 s10, s24, s2
	s_addc_u32 s11, s25, s3
	s_cmp_lg_u64 s[36:37], 0
	v_cmp_gt_u32_e64 s2, 32, v0
	s_cselect_b32 s1, -1, 0
	s_cmp_eq_u64 s[36:37], 0
	s_cselect_b32 s19, -1, 0
	s_and_saveexec_b32 s3, s2
	s_cbranch_execz .LBB278_3
; %bb.1:
	v_mov_b32_e32 v1, 0
	s_andn2_b32 vcc_lo, exec_lo, s1
	ds_write_b32 v8, v1
	s_cbranch_vccnz .LBB278_3
; %bb.2:
	ds_write_b32 v8, v1 offset:128
.LBB278_3:
	s_or_b32 exec_lo, exec_lo, s3
	s_load_dword s7, s[10:11], 0x0
	s_load_dwordx4 s[28:31], s[4:5], 0x68
	v_mov_b32_e32 v7, 0
	v_mov_b32_e32 v9, 0
	s_mov_b32 s9, exec_lo
	s_waitcnt lgkmcnt(0)
	s_barrier
	buffer_gl0_inv
	v_cmpx_gt_i32_e64 s12, v0
	s_cbranch_execz .LBB278_9
; %bb.4:
	s_mul_hi_u32 s3, s13, s0
	s_mul_i32 s10, s7, s28
	s_add_i32 s3, s0, s3
	s_mul_i32 s11, s16, s6
	s_lshr_b32 s3, s3, s14
	s_ashr_i32 s13, s10, 31
	s_mul_i32 s3, s3, s15
	s_ashr_i32 s14, s11, 31
	s_sub_i32 s3, s0, s3
	s_add_u32 s10, s10, s11
	s_addc_u32 s11, s13, s14
	s_mul_i32 s13, s8, s17
	s_mul_i32 s14, s3, s29
	s_lshl_b32 s16, s13, 1
	s_ashr_i32 s15, s14, 31
	s_ashr_i32 s17, s16, 31
	s_and_b32 s3, s1, exec_lo
	s_cselect_b32 s29, s11, 0
	s_cselect_b32 s28, s10, 0
	v_lshlrev_b32_e32 v5, 2, v0
	s_cselect_b32 s3, s37, 0
	s_cselect_b32 s13, s36, 0
	s_lshl_b64 s[28:29], s[28:29], 1
	v_lshlrev_b32_e32 v3, 3, v0
	s_add_u32 s13, s13, s28
	s_addc_u32 s3, s3, s29
	v_add_co_u32 v1, s13, s13, v5
	s_lshl_b64 s[14:15], s[14:15], 2
	s_lshl_b64 s[16:17], s[16:17], 2
	v_add_co_ci_u32_e64 v2, null, s3, 0, s13
	s_add_u32 s3, s22, s14
	s_addc_u32 s13, s23, s15
	s_add_u32 s3, s3, s16
	s_addc_u32 s13, s13, s17
	v_add_co_u32 v3, s3, s3, v3
	s_lshl_b64 s[10:11], s[10:11], 1
	v_add_co_ci_u32_e64 v4, null, s13, 0, s3
	s_add_u32 s3, s20, s10
	v_add_co_u32 v3, vcc_lo, v3, 4
	s_addc_u32 s10, s21, s11
	v_add_co_u32 v5, s3, s3, v5
	v_mov_b32_e32 v7, 0
	v_add_co_ci_u32_e64 v4, null, 0, v4, vcc_lo
	v_add_co_ci_u32_e64 v6, null, s10, 0, s3
	v_mov_b32_e32 v10, v0
	v_mov_b32_e32 v9, 0
	s_mov_b32 s10, 0
	s_inst_prefetch 0x1
	s_branch .LBB278_6
	.p2align	6
.LBB278_5:                              ;   in Loop: Header=BB278_6 Depth=1
	global_load_dwordx2 v[14:15], v[3:4], off offset:-4
	s_waitcnt vmcnt(1)
	v_lshlrev_b32_e32 v16, 16, v13
	v_add_nc_u32_e32 v10, 0x100, v10
	v_add_co_u32 v1, vcc_lo, 0x400, v1
	v_and_b32_e32 v13, 0xffff0000, v13
	v_add_co_ci_u32_e64 v2, null, 0, v2, vcc_lo
	v_add_co_u32 v3, vcc_lo, 0x800, v3
	v_add_co_ci_u32_e64 v4, null, 0, v4, vcc_lo
	v_cmp_le_i32_e32 vcc_lo, s12, v10
	v_add_co_u32 v5, s3, 0x400, v5
	v_add_co_ci_u32_e64 v6, null, 0, v6, s3
	s_or_b32 s10, vcc_lo, s10
	s_waitcnt vmcnt(0)
	v_fma_f32 v12, v12, v14, v7
	v_fmac_f32_e32 v9, v14, v16
	v_fmac_f32_e32 v12, v11, v15
	;; [unrolled: 1-line block ×3, first 2 shown]
	v_cndmask_b32_e64 v7, v7, v12, s1
	s_andn2_b32 exec_lo, exec_lo, s10
	s_cbranch_execz .LBB278_8
.LBB278_6:                              ; =>This Inner Loop Header: Depth=1
	global_load_dword v13, v[5:6], off
	v_mov_b32_e32 v11, 0
	v_mov_b32_e32 v12, 0
	s_andn2_b32 vcc_lo, exec_lo, s1
	s_cbranch_vccnz .LBB278_5
; %bb.7:                                ;   in Loop: Header=BB278_6 Depth=1
	global_load_dword v11, v[1:2], off
	s_waitcnt vmcnt(0)
	v_lshlrev_b32_e32 v12, 16, v11
	v_and_b32_e32 v11, 0xffff0000, v11
	s_branch .LBB278_5
.LBB278_8:
	s_inst_prefetch 0x2
	s_or_b32 exec_lo, exec_lo, s10
.LBB278_9:
	s_or_b32 exec_lo, exec_lo, s9
	v_mbcnt_lo_u32_b32 v1, -1, 0
	s_load_dword s9, s[4:5], 0x30
	s_mov_b32 s3, -1
	v_xor_b32_e32 v2, 16, v1
	v_xor_b32_e32 v3, 8, v1
	v_cmp_gt_i32_e32 vcc_lo, 32, v2
	v_cndmask_b32_e32 v2, v1, v2, vcc_lo
	v_cmp_gt_i32_e32 vcc_lo, 32, v3
	v_lshlrev_b32_e32 v2, 2, v2
	v_cndmask_b32_e32 v3, v1, v3, vcc_lo
	ds_bpermute_b32 v4, v2, v9
	v_lshlrev_b32_e32 v3, 2, v3
	s_waitcnt lgkmcnt(0)
	v_add_f32_e32 v5, v9, v4
	v_xor_b32_e32 v4, 4, v1
	ds_bpermute_b32 v6, v3, v5
	v_cmp_gt_i32_e32 vcc_lo, 32, v4
	v_cndmask_b32_e32 v4, v1, v4, vcc_lo
	v_lshlrev_b32_e32 v4, 2, v4
	s_waitcnt lgkmcnt(0)
	v_add_f32_e32 v6, v5, v6
	v_xor_b32_e32 v5, 2, v1
	ds_bpermute_b32 v9, v4, v6
	v_cmp_gt_i32_e32 vcc_lo, 32, v5
	v_cndmask_b32_e32 v5, v1, v5, vcc_lo
	;; [unrolled: 7-line block ×3, first 2 shown]
	s_and_b32 vcc_lo, exec_lo, s19
	v_lshlrev_b32_e32 v6, 2, v1
	s_waitcnt lgkmcnt(0)
	v_add_f32_e32 v1, v9, v10
	v_lshrrev_b32_e32 v10, 5, v0
	ds_bpermute_b32 v9, v6, v1
	s_waitcnt lgkmcnt(0)
	v_add_f32_e32 v1, v1, v9
	v_lshl_add_u32 v9, v10, 2, 0
	s_cbranch_vccz .LBB278_11
; %bb.10:
	s_mov_b32 s3, 0
	ds_write_b32 v9, v1
.LBB278_11:
	s_andn2_b32 vcc_lo, exec_lo, s3
	s_cbranch_vccnz .LBB278_13
; %bb.12:
	ds_bpermute_b32 v10, v2, v7
	s_waitcnt lgkmcnt(0)
	v_add_f32_e32 v7, v7, v10
	ds_bpermute_b32 v10, v3, v7
	s_waitcnt lgkmcnt(0)
	v_add_f32_e32 v7, v7, v10
	;; [unrolled: 3-line block ×5, first 2 shown]
	ds_write2_b32 v9, v1, v7 offset1:32
.LBB278_13:
	s_waitcnt lgkmcnt(0)
	s_barrier
	buffer_gl0_inv
	s_and_saveexec_b32 s3, s2
	s_cbranch_execz .LBB278_17
; %bb.14:
	ds_read_b32 v1, v8
	s_andn2_b32 vcc_lo, exec_lo, s1
	s_waitcnt lgkmcnt(0)
	ds_bpermute_b32 v9, v2, v1
	s_waitcnt lgkmcnt(0)
	v_add_f32_e32 v1, v1, v9
	ds_bpermute_b32 v9, v3, v1
	s_waitcnt lgkmcnt(0)
	v_add_f32_e32 v1, v1, v9
	;; [unrolled: 3-line block ×4, first 2 shown]
	ds_bpermute_b32 v9, v6, v1
	s_cbranch_vccnz .LBB278_16
; %bb.15:
	ds_read_b32 v7, v8 offset:128
	s_waitcnt lgkmcnt(0)
	ds_bpermute_b32 v2, v2, v7
	s_waitcnt lgkmcnt(0)
	v_add_f32_e32 v2, v7, v2
	ds_bpermute_b32 v3, v3, v2
	s_waitcnt lgkmcnt(0)
	v_add_f32_e32 v2, v2, v3
	;; [unrolled: 3-line block ×5, first 2 shown]
.LBB278_16:
	s_waitcnt lgkmcnt(0)
	v_add_f32_e32 v1, v1, v9
.LBB278_17:
	s_or_b32 exec_lo, exec_lo, s3
	s_barrier
	buffer_gl0_inv
	s_mov_b32 s2, exec_lo
	v_cmpx_eq_u32_e32 0, v0
	s_cbranch_execz .LBB278_41
; %bb.18:
	s_cmp_eq_u64 s[26:27], 0
	s_cselect_b32 s10, -1, 0
	s_cmp_eq_u64 s[24:25], 0
	s_cselect_b32 s2, s0, s7
	s_mul_i32 s2, s2, s30
	s_ashr_i32 s3, s2, 31
	s_and_b32 vcc_lo, exec_lo, s10
	s_cbranch_vccnz .LBB278_20
; %bb.19:
	s_cselect_b32 s7, 0, s27
	s_cselect_b32 s12, 0, s26
	s_lshl_b64 s[10:11], s[2:3], 2
	s_add_u32 s12, s12, s10
	s_addc_u32 s13, s7, s11
	s_ashr_i32 s7, s6, 31
	s_lshl_b64 s[10:11], s[6:7], 2
	s_add_u32 s10, s12, s10
	s_addc_u32 s11, s13, s11
	s_load_dword s7, s[10:11], 0x0
	s_waitcnt lgkmcnt(0)
	v_add_f32_e32 v1, s7, v1
.LBB278_20:
	s_andn2_b32 vcc_lo, exec_lo, s1
	s_cbranch_vccnz .LBB278_40
; %bb.21:
	s_cmp_lg_u64 s[38:39], 0
	s_cselect_b32 s7, -1, 0
	s_and_b32 s1, s7, s1
	s_andn2_b32 vcc_lo, exec_lo, s1
	s_cbranch_vccnz .LBB278_23
; %bb.22:
	s_and_b32 s7, s7, exec_lo
	s_cselect_b32 s7, s39, 0
	s_cselect_b32 s10, s38, 0
	s_and_b32 s1, s1, exec_lo
	s_cselect_b32 s3, s3, 0
	s_cselect_b32 s2, s2, 0
	s_lshl_b64 s[2:3], s[2:3], 2
	s_add_u32 s1, s10, s2
	s_addc_u32 s10, s7, s3
	s_ashr_i32 s7, s6, 31
	s_lshl_b64 s[2:3], s[6:7], 2
	s_add_u32 s2, s1, s2
	s_addc_u32 s3, s10, s3
	s_load_dword s1, s[2:3], 0x0
	s_waitcnt lgkmcnt(0)
	v_add_f32_e32 v7, s1, v7
.LBB278_23:
	s_cmp_lt_i32 s9, 2
	s_cbranch_scc1 .LBB278_28
; %bb.24:
	s_cmp_lt_i32 s9, 3
	s_cbranch_scc1 .LBB278_29
; %bb.25:
	v_mov_b32_e32 v0, v1
	s_cmp_eq_u32 s9, 3
	s_cbranch_scc0 .LBB278_27
; %bb.26:
	v_max_f32_e32 v0, v7, v7
	v_min_f32_e32 v0, 0x40e00000, v0
	v_mul_f32_e32 v2, 0xbfd9db23, v0
	v_mul_f32_e32 v3, 0x3fb8aa3b, v2
	v_cmp_ngt_f32_e32 vcc_lo, 0xc2ce8ed0, v2
	v_fma_f32 v4, 0x3fb8aa3b, v2, -v3
	v_rndne_f32_e32 v5, v3
	v_fmamk_f32 v4, v2, 0x32a5705f, v4
	v_sub_f32_e32 v3, v3, v5
	v_add_f32_e32 v3, v3, v4
	v_cvt_i32_f32_e32 v4, v5
	v_exp_f32_e32 v3, v3
	v_ldexp_f32 v3, v3, v4
	v_cndmask_b32_e32 v3, 0, v3, vcc_lo
	v_cmp_nlt_f32_e32 vcc_lo, 0x42b17218, v2
	v_cndmask_b32_e32 v2, 0x7f800000, v3, vcc_lo
	v_add_f32_e32 v2, 1.0, v2
	v_div_scale_f32 v3, null, v2, v2, v0
	v_div_scale_f32 v6, vcc_lo, v0, v2, v0
	v_rcp_f32_e32 v4, v3
	v_fma_f32 v5, -v3, v4, 1.0
	v_fmac_f32_e32 v4, v5, v4
	v_mul_f32_e32 v5, v6, v4
	v_fma_f32 v8, -v3, v5, v6
	v_fmac_f32_e32 v5, v8, v4
	v_max_f32_e32 v8, v1, v1
	v_fma_f32 v3, -v3, v5, v6
	v_min_f32_e32 v6, 0x40e00000, v8
	v_div_fmas_f32 v3, v3, v4, v5
	v_max_f32_e32 v4, 0xc0e00000, v6
	v_div_fixup_f32 v0, v3, v2, v0
	v_add_f32_e32 v2, 1.0, v4
	v_mul_f32_e32 v0, v2, v0
.LBB278_27:
	s_cbranch_execz .LBB278_30
	s_branch .LBB278_31
.LBB278_28:
                                        ; implicit-def: $vgpr0
	s_branch .LBB278_32
.LBB278_29:
                                        ; implicit-def: $vgpr0
.LBB278_30:
	v_mul_f32_e32 v0, 0xbfb8aa3b, v7
	v_cmp_nlt_f32_e32 vcc_lo, 0x42ce8ed0, v7
	v_rndne_f32_e32 v2, v0
	v_fma_f32 v3, 0xbfb8aa3b, v7, -v0
	v_sub_f32_e32 v0, v0, v2
	v_fmamk_f32 v3, v7, 0xb2a5705f, v3
	v_cvt_i32_f32_e32 v2, v2
	v_add_f32_e32 v0, v0, v3
	v_exp_f32_e32 v0, v0
	v_ldexp_f32 v0, v0, v2
	v_cndmask_b32_e32 v0, 0, v0, vcc_lo
	v_cmp_ngt_f32_e32 vcc_lo, 0xc2b17218, v7
	v_cndmask_b32_e32 v0, 0x7f800000, v0, vcc_lo
	v_add_f32_e32 v0, 1.0, v0
	v_div_scale_f32 v2, null, v0, v0, v7
	v_rcp_f32_e32 v3, v2
	v_fma_f32 v4, -v2, v3, 1.0
	v_fmac_f32_e32 v3, v4, v3
	v_div_scale_f32 v4, vcc_lo, v7, v0, v7
	v_mul_f32_e32 v5, v4, v3
	v_fma_f32 v6, -v2, v5, v4
	v_fmac_f32_e32 v5, v6, v3
	v_fma_f32 v2, -v2, v5, v4
	v_div_fmas_f32 v2, v2, v3, v5
	v_div_fixup_f32 v0, v2, v0, v7
	v_mul_f32_e32 v0, v1, v0
.LBB278_31:
	s_cbranch_execnz .LBB278_39
.LBB278_32:
	s_cmp_eq_u32 s9, 1
	s_cbranch_scc0 .LBB278_38
; %bb.33:
	v_mul_f32_e32 v0, 0x3d372713, v7
	v_mul_f32_e32 v2, 0x3f4c422a, v7
	v_fma_f32 v0, v7, v0, 1.0
	v_mul_f32_e32 v0, v2, v0
                                        ; implicit-def: $vgpr2
	v_cmp_ngt_f32_e64 s1, 0x3f200000, |v0|
	s_and_saveexec_b32 s2, s1
	s_xor_b32 s1, exec_lo, s2
	s_cbranch_execz .LBB278_35
; %bb.34:
	v_add_f32_e64 v2, |v0|, |v0|
	v_mul_f32_e32 v3, 0x3fb8aa3b, v2
	v_cmp_ngt_f32_e32 vcc_lo, 0xc2ce8ed0, v2
	v_rndne_f32_e32 v4, v3
	v_fma_f32 v5, 0x3fb8aa3b, v2, -v3
	v_sub_f32_e32 v3, v3, v4
	v_fmamk_f32 v5, v2, 0x32a5705f, v5
	v_cvt_i32_f32_e32 v4, v4
	v_add_f32_e32 v3, v3, v5
	v_exp_f32_e32 v3, v3
	v_ldexp_f32 v3, v3, v4
	v_cndmask_b32_e32 v3, 0, v3, vcc_lo
	v_cmp_nlt_f32_e32 vcc_lo, 0x42b17218, v2
	v_cndmask_b32_e32 v2, 0x7f800000, v3, vcc_lo
	v_add_f32_e32 v2, 1.0, v2
	v_rcp_f32_e32 v2, v2
	v_fma_f32 v2, v2, -2.0, 1.0
.LBB278_35:
	s_andn2_saveexec_b32 s1, s1
	s_cbranch_execz .LBB278_37
; %bb.36:
	v_mul_f32_e32 v2, v0, v0
	s_mov_b32 s2, 0xbbbac73d
	v_fmaak_f32 v3, s2, v2, 0x3ca908c9
	v_fmaak_f32 v3, v2, v3, 0xbd5c1c4e
	;; [unrolled: 1-line block ×4, first 2 shown]
	v_mul_f32_e64 v3, |v0|, v3
	v_fma_f32 v2, v2, v3, |v0|
.LBB278_37:
	s_or_b32 exec_lo, exec_lo, s1
	v_bfi_b32 v0, 0x7fffffff, v2, v0
	v_mul_f32_e32 v2, 0.5, v7
	v_add_f32_e32 v0, 1.0, v0
	v_mul_f32_e32 v0, v2, v0
	v_mul_f32_e32 v1, v1, v0
.LBB278_38:
	v_mov_b32_e32 v0, v1
.LBB278_39:
	v_mov_b32_e32 v1, v0
.LBB278_40:
	s_load_dwordx2 s[2:3], s[4:5], 0x38
	s_mul_i32 s0, s30, s0
	s_mul_i32 s4, s18, s8
	s_ashr_i32 s1, s0, 31
	v_mov_b32_e32 v0, 0
	s_lshl_b64 s[0:1], s[0:1], 2
	s_waitcnt lgkmcnt(0)
	s_add_u32 s2, s2, s0
	s_addc_u32 s3, s3, s1
	s_ashr_i32 s5, s4, 31
	s_lshl_b64 s[0:1], s[4:5], 2
	s_add_u32 s2, s2, s0
	s_addc_u32 s3, s3, s1
	s_ashr_i32 s7, s6, 31
	s_lshl_b64 s[0:1], s[6:7], 2
	s_add_u32 s0, s2, s0
	s_addc_u32 s1, s3, s1
	global_store_dword v0, v1, s[0:1]
.LBB278_41:
	s_endpgm
	.section	.rodata,"a",@progbits
	.p2align	6, 0x0
	.amdhsa_kernel _ZL13mul_mat_vec_fI14__hip_bfloat16fLi1ELi256ELb1ELb1EEvPKT_PKfPKi31ggml_cuda_mm_fusion_args_devicePfi15HIP_vector_typeIjLj3EEiiiSB_iiiSB_iiii
		.amdhsa_group_segment_fixed_size 0
		.amdhsa_private_segment_fixed_size 0
		.amdhsa_kernarg_size 144
		.amdhsa_user_sgpr_count 6
		.amdhsa_user_sgpr_private_segment_buffer 1
		.amdhsa_user_sgpr_dispatch_ptr 0
		.amdhsa_user_sgpr_queue_ptr 0
		.amdhsa_user_sgpr_kernarg_segment_ptr 1
		.amdhsa_user_sgpr_dispatch_id 0
		.amdhsa_user_sgpr_flat_scratch_init 0
		.amdhsa_user_sgpr_private_segment_size 0
		.amdhsa_wavefront_size32 1
		.amdhsa_uses_dynamic_stack 0
		.amdhsa_system_sgpr_private_segment_wavefront_offset 0
		.amdhsa_system_sgpr_workgroup_id_x 1
		.amdhsa_system_sgpr_workgroup_id_y 1
		.amdhsa_system_sgpr_workgroup_id_z 1
		.amdhsa_system_sgpr_workgroup_info 0
		.amdhsa_system_vgpr_workitem_id 0
		.amdhsa_next_free_vgpr 17
		.amdhsa_next_free_sgpr 40
		.amdhsa_reserve_vcc 1
		.amdhsa_reserve_flat_scratch 0
		.amdhsa_float_round_mode_32 0
		.amdhsa_float_round_mode_16_64 0
		.amdhsa_float_denorm_mode_32 3
		.amdhsa_float_denorm_mode_16_64 3
		.amdhsa_dx10_clamp 1
		.amdhsa_ieee_mode 1
		.amdhsa_fp16_overflow 0
		.amdhsa_workgroup_processor_mode 1
		.amdhsa_memory_ordered 1
		.amdhsa_forward_progress 1
		.amdhsa_shared_vgpr_count 0
		.amdhsa_exception_fp_ieee_invalid_op 0
		.amdhsa_exception_fp_denorm_src 0
		.amdhsa_exception_fp_ieee_div_zero 0
		.amdhsa_exception_fp_ieee_overflow 0
		.amdhsa_exception_fp_ieee_underflow 0
		.amdhsa_exception_fp_ieee_inexact 0
		.amdhsa_exception_int_div_zero 0
	.end_amdhsa_kernel
	.section	.text._ZL13mul_mat_vec_fI14__hip_bfloat16fLi1ELi256ELb1ELb1EEvPKT_PKfPKi31ggml_cuda_mm_fusion_args_devicePfi15HIP_vector_typeIjLj3EEiiiSB_iiiSB_iiii,"axG",@progbits,_ZL13mul_mat_vec_fI14__hip_bfloat16fLi1ELi256ELb1ELb1EEvPKT_PKfPKi31ggml_cuda_mm_fusion_args_devicePfi15HIP_vector_typeIjLj3EEiiiSB_iiiSB_iiii,comdat
.Lfunc_end278:
	.size	_ZL13mul_mat_vec_fI14__hip_bfloat16fLi1ELi256ELb1ELb1EEvPKT_PKfPKi31ggml_cuda_mm_fusion_args_devicePfi15HIP_vector_typeIjLj3EEiiiSB_iiiSB_iiii, .Lfunc_end278-_ZL13mul_mat_vec_fI14__hip_bfloat16fLi1ELi256ELb1ELb1EEvPKT_PKfPKi31ggml_cuda_mm_fusion_args_devicePfi15HIP_vector_typeIjLj3EEiiiSB_iiiSB_iiii
                                        ; -- End function
	.set _ZL13mul_mat_vec_fI14__hip_bfloat16fLi1ELi256ELb1ELb1EEvPKT_PKfPKi31ggml_cuda_mm_fusion_args_devicePfi15HIP_vector_typeIjLj3EEiiiSB_iiiSB_iiii.num_vgpr, 17
	.set _ZL13mul_mat_vec_fI14__hip_bfloat16fLi1ELi256ELb1ELb1EEvPKT_PKfPKi31ggml_cuda_mm_fusion_args_devicePfi15HIP_vector_typeIjLj3EEiiiSB_iiiSB_iiii.num_agpr, 0
	.set _ZL13mul_mat_vec_fI14__hip_bfloat16fLi1ELi256ELb1ELb1EEvPKT_PKfPKi31ggml_cuda_mm_fusion_args_devicePfi15HIP_vector_typeIjLj3EEiiiSB_iiiSB_iiii.numbered_sgpr, 40
	.set _ZL13mul_mat_vec_fI14__hip_bfloat16fLi1ELi256ELb1ELb1EEvPKT_PKfPKi31ggml_cuda_mm_fusion_args_devicePfi15HIP_vector_typeIjLj3EEiiiSB_iiiSB_iiii.num_named_barrier, 0
	.set _ZL13mul_mat_vec_fI14__hip_bfloat16fLi1ELi256ELb1ELb1EEvPKT_PKfPKi31ggml_cuda_mm_fusion_args_devicePfi15HIP_vector_typeIjLj3EEiiiSB_iiiSB_iiii.private_seg_size, 0
	.set _ZL13mul_mat_vec_fI14__hip_bfloat16fLi1ELi256ELb1ELb1EEvPKT_PKfPKi31ggml_cuda_mm_fusion_args_devicePfi15HIP_vector_typeIjLj3EEiiiSB_iiiSB_iiii.uses_vcc, 1
	.set _ZL13mul_mat_vec_fI14__hip_bfloat16fLi1ELi256ELb1ELb1EEvPKT_PKfPKi31ggml_cuda_mm_fusion_args_devicePfi15HIP_vector_typeIjLj3EEiiiSB_iiiSB_iiii.uses_flat_scratch, 0
	.set _ZL13mul_mat_vec_fI14__hip_bfloat16fLi1ELi256ELb1ELb1EEvPKT_PKfPKi31ggml_cuda_mm_fusion_args_devicePfi15HIP_vector_typeIjLj3EEiiiSB_iiiSB_iiii.has_dyn_sized_stack, 0
	.set _ZL13mul_mat_vec_fI14__hip_bfloat16fLi1ELi256ELb1ELb1EEvPKT_PKfPKi31ggml_cuda_mm_fusion_args_devicePfi15HIP_vector_typeIjLj3EEiiiSB_iiiSB_iiii.has_recursion, 0
	.set _ZL13mul_mat_vec_fI14__hip_bfloat16fLi1ELi256ELb1ELb1EEvPKT_PKfPKi31ggml_cuda_mm_fusion_args_devicePfi15HIP_vector_typeIjLj3EEiiiSB_iiiSB_iiii.has_indirect_call, 0
	.section	.AMDGPU.csdata,"",@progbits
; Kernel info:
; codeLenInByte = 2160
; TotalNumSgprs: 42
; NumVgprs: 17
; ScratchSize: 0
; MemoryBound: 0
; FloatMode: 240
; IeeeMode: 1
; LDSByteSize: 0 bytes/workgroup (compile time only)
; SGPRBlocks: 0
; VGPRBlocks: 2
; NumSGPRsForWavesPerEU: 42
; NumVGPRsForWavesPerEU: 17
; Occupancy: 16
; WaveLimiterHint : 1
; COMPUTE_PGM_RSRC2:SCRATCH_EN: 0
; COMPUTE_PGM_RSRC2:USER_SGPR: 6
; COMPUTE_PGM_RSRC2:TRAP_HANDLER: 0
; COMPUTE_PGM_RSRC2:TGID_X_EN: 1
; COMPUTE_PGM_RSRC2:TGID_Y_EN: 1
; COMPUTE_PGM_RSRC2:TGID_Z_EN: 1
; COMPUTE_PGM_RSRC2:TIDIG_COMP_CNT: 0
	.section	.text._ZL13mul_mat_vec_fI14__hip_bfloat16fLi1ELi256ELb0ELb1EEvPKT_PKfPKi31ggml_cuda_mm_fusion_args_devicePfi15HIP_vector_typeIjLj3EEiiiSB_iiiSB_iiii,"axG",@progbits,_ZL13mul_mat_vec_fI14__hip_bfloat16fLi1ELi256ELb0ELb1EEvPKT_PKfPKi31ggml_cuda_mm_fusion_args_devicePfi15HIP_vector_typeIjLj3EEiiiSB_iiiSB_iiii,comdat
	.globl	_ZL13mul_mat_vec_fI14__hip_bfloat16fLi1ELi256ELb0ELb1EEvPKT_PKfPKi31ggml_cuda_mm_fusion_args_devicePfi15HIP_vector_typeIjLj3EEiiiSB_iiiSB_iiii ; -- Begin function _ZL13mul_mat_vec_fI14__hip_bfloat16fLi1ELi256ELb0ELb1EEvPKT_PKfPKi31ggml_cuda_mm_fusion_args_devicePfi15HIP_vector_typeIjLj3EEiiiSB_iiiSB_iiii
	.p2align	8
	.type	_ZL13mul_mat_vec_fI14__hip_bfloat16fLi1ELi256ELb0ELb1EEvPKT_PKfPKi31ggml_cuda_mm_fusion_args_devicePfi15HIP_vector_typeIjLj3EEiiiSB_iiiSB_iiii,@function
_ZL13mul_mat_vec_fI14__hip_bfloat16fLi1ELi256ELb0ELb1EEvPKT_PKfPKi31ggml_cuda_mm_fusion_args_devicePfi15HIP_vector_typeIjLj3EEiiiSB_iiiSB_iiii: ; @_ZL13mul_mat_vec_fI14__hip_bfloat16fLi1ELi256ELb0ELb1EEvPKT_PKfPKi31ggml_cuda_mm_fusion_args_devicePfi15HIP_vector_typeIjLj3EEiiiSB_iiiSB_iiii
; %bb.0:
	s_clause 0x2
	s_load_dword s2, s[4:5], 0x8c
	s_load_dwordx2 s[0:1], s[4:5], 0x10
	s_load_dwordx8 s[12:19], s[4:5], 0x40
	v_cmp_gt_u32_e32 vcc_lo, 32, v0
	v_lshl_add_u32 v5, v0, 2, 0
	s_waitcnt lgkmcnt(0)
	s_mul_i32 s2, s2, s8
	s_add_i32 s2, s2, s7
	s_ashr_i32 s3, s2, 31
	s_lshl_b64 s[2:3], s[2:3], 2
	s_add_u32 s2, s0, s2
	s_addc_u32 s3, s1, s3
	s_and_saveexec_b32 s0, vcc_lo
; %bb.1:
	v_mov_b32_e32 v1, 0
	ds_write_b32 v5, v1
; %bb.2:
	s_or_b32 exec_lo, exec_lo, s0
	s_load_dwordx4 s[20:23], s[4:5], 0x68
	v_mov_b32_e32 v6, 0
	s_mov_b32 s9, exec_lo
	s_waitcnt lgkmcnt(0)
	s_barrier
	buffer_gl0_inv
	v_cmpx_gt_i32_e64 s12, v0
	s_cbranch_execz .LBB279_6
; %bb.3:
	s_load_dword s19, s[2:3], 0x0
	s_load_dwordx4 s[24:27], s[4:5], 0x0
	s_mul_hi_u32 s0, s13, s7
	s_mul_i32 s1, s8, s17
	s_add_i32 s0, s7, s0
	s_mul_i32 s2, s16, s6
	s_lshr_b32 s0, s0, s14
	v_lshlrev_b32_e32 v1, 3, v0
	s_mul_i32 s10, s0, s15
	s_lshl_b32 s0, s1, 1
	s_sub_i32 s10, s7, s10
	s_ashr_i32 s1, s0, 31
	s_mul_i32 s10, s10, s21
	s_ashr_i32 s3, s2, 31
	s_ashr_i32 s11, s10, 31
	s_lshl_b64 s[0:1], s[0:1], 2
	s_lshl_b64 s[10:11], s[10:11], 2
	v_lshlrev_b32_e32 v3, 2, v0
	v_mov_b32_e32 v6, 0
	v_mov_b32_e32 v7, v0
	s_waitcnt lgkmcnt(0)
	s_mul_i32 s14, s19, s20
	s_ashr_i32 s15, s14, 31
	s_add_u32 s10, s26, s10
	s_addc_u32 s11, s27, s11
	s_add_u32 s0, s10, s0
	s_addc_u32 s1, s11, s1
	v_add_co_u32 v1, s0, s0, v1
	v_add_co_ci_u32_e64 v2, null, s1, 0, s0
	s_lshl_b64 s[10:11], s[14:15], 1
	v_add_co_u32 v1, s0, v1, 4
	v_add_co_ci_u32_e64 v2, null, 0, v2, s0
	s_lshl_b64 s[0:1], s[2:3], 1
	s_add_u32 s2, s24, s10
	s_addc_u32 s3, s25, s11
	s_add_u32 s0, s2, s0
	s_addc_u32 s1, s3, s1
	v_add_co_u32 v3, s0, s0, v3
	v_add_co_ci_u32_e64 v4, null, s1, 0, s0
	s_mov_b32 s2, 0
	.p2align	6
.LBB279_4:                              ; =>This Inner Loop Header: Depth=1
	global_load_dword v10, v[3:4], off
	global_load_dwordx2 v[8:9], v[1:2], off offset:-4
	v_add_nc_u32_e32 v7, 0x100, v7
	v_add_co_u32 v1, s0, 0x800, v1
	v_add_co_ci_u32_e64 v2, null, 0, v2, s0
	v_add_co_u32 v3, s0, 0x400, v3
	v_cmp_le_i32_e64 s1, s12, v7
	v_add_co_ci_u32_e64 v4, null, 0, v4, s0
	s_or_b32 s2, s1, s2
	s_waitcnt vmcnt(1)
	v_lshlrev_b32_e32 v11, 16, v10
	v_and_b32_e32 v10, 0xffff0000, v10
	s_waitcnt vmcnt(0)
	v_fmac_f32_e32 v6, v8, v11
	v_fmac_f32_e32 v6, v9, v10
	s_andn2_b32 exec_lo, exec_lo, s2
	s_cbranch_execnz .LBB279_4
; %bb.5:
	s_or_b32 exec_lo, exec_lo, s2
.LBB279_6:
	s_or_b32 exec_lo, exec_lo, s9
	v_mbcnt_lo_u32_b32 v2, -1, 0
	v_xor_b32_e32 v1, 16, v2
	v_xor_b32_e32 v3, 8, v2
	v_cmp_gt_i32_e64 s0, 32, v1
	v_cndmask_b32_e64 v1, v2, v1, s0
	v_cmp_gt_i32_e64 s0, 32, v3
	v_lshlrev_b32_e32 v1, 2, v1
	v_cndmask_b32_e64 v3, v2, v3, s0
	ds_bpermute_b32 v4, v1, v6
	v_lshlrev_b32_e32 v3, 2, v3
	s_waitcnt lgkmcnt(0)
	v_add_f32_e32 v6, v6, v4
	v_xor_b32_e32 v4, 4, v2
	ds_bpermute_b32 v7, v3, v6
	v_cmp_gt_i32_e64 s0, 32, v4
	v_cndmask_b32_e64 v4, v2, v4, s0
	v_lshlrev_b32_e32 v4, 2, v4
	s_waitcnt lgkmcnt(0)
	v_add_f32_e32 v7, v6, v7
	v_xor_b32_e32 v6, 2, v2
	ds_bpermute_b32 v8, v4, v7
	v_cmp_gt_i32_e64 s0, 32, v6
	v_cndmask_b32_e64 v6, v2, v6, s0
	;; [unrolled: 7-line block ×3, first 2 shown]
	v_lshlrev_b32_e32 v7, 2, v2
	s_waitcnt lgkmcnt(0)
	v_add_f32_e32 v2, v8, v9
	v_lshrrev_b32_e32 v9, 3, v0
	ds_bpermute_b32 v8, v7, v2
	v_and_b32_e32 v9, 0x7c, v9
	v_add_nc_u32_e32 v9, 0, v9
	s_waitcnt lgkmcnt(0)
	v_add_f32_e32 v2, v2, v8
	ds_write_b32 v9, v2
	s_waitcnt lgkmcnt(0)
	s_barrier
	buffer_gl0_inv
	s_and_saveexec_b32 s0, vcc_lo
	s_cbranch_execz .LBB279_8
; %bb.7:
	ds_read_b32 v2, v5
	s_waitcnt lgkmcnt(0)
	ds_bpermute_b32 v1, v1, v2
	s_waitcnt lgkmcnt(0)
	v_add_f32_e32 v1, v2, v1
	ds_bpermute_b32 v2, v3, v1
	s_waitcnt lgkmcnt(0)
	v_add_f32_e32 v1, v1, v2
	;; [unrolled: 3-line block ×5, first 2 shown]
.LBB279_8:
	s_or_b32 exec_lo, exec_lo, s0
	s_barrier
	buffer_gl0_inv
	s_mov_b32 s0, exec_lo
	v_cmpx_eq_u32_e32 0, v0
	s_cbranch_execz .LBB279_10
; %bb.9:
	s_load_dwordx2 s[0:1], s[4:5], 0x38
	s_mul_i32 s2, s22, s7
	s_mul_i32 s4, s18, s8
	s_ashr_i32 s3, s2, 31
	v_mov_b32_e32 v0, 0
	s_lshl_b64 s[2:3], s[2:3], 2
	s_waitcnt lgkmcnt(0)
	s_add_u32 s2, s0, s2
	s_addc_u32 s3, s1, s3
	s_ashr_i32 s5, s4, 31
	s_lshl_b64 s[0:1], s[4:5], 2
	s_add_u32 s2, s2, s0
	s_addc_u32 s3, s3, s1
	s_ashr_i32 s7, s6, 31
	s_lshl_b64 s[0:1], s[6:7], 2
	s_add_u32 s0, s2, s0
	s_addc_u32 s1, s3, s1
	global_store_dword v0, v2, s[0:1]
.LBB279_10:
	s_endpgm
	.section	.rodata,"a",@progbits
	.p2align	6, 0x0
	.amdhsa_kernel _ZL13mul_mat_vec_fI14__hip_bfloat16fLi1ELi256ELb0ELb1EEvPKT_PKfPKi31ggml_cuda_mm_fusion_args_devicePfi15HIP_vector_typeIjLj3EEiiiSB_iiiSB_iiii
		.amdhsa_group_segment_fixed_size 0
		.amdhsa_private_segment_fixed_size 0
		.amdhsa_kernarg_size 144
		.amdhsa_user_sgpr_count 6
		.amdhsa_user_sgpr_private_segment_buffer 1
		.amdhsa_user_sgpr_dispatch_ptr 0
		.amdhsa_user_sgpr_queue_ptr 0
		.amdhsa_user_sgpr_kernarg_segment_ptr 1
		.amdhsa_user_sgpr_dispatch_id 0
		.amdhsa_user_sgpr_flat_scratch_init 0
		.amdhsa_user_sgpr_private_segment_size 0
		.amdhsa_wavefront_size32 1
		.amdhsa_uses_dynamic_stack 0
		.amdhsa_system_sgpr_private_segment_wavefront_offset 0
		.amdhsa_system_sgpr_workgroup_id_x 1
		.amdhsa_system_sgpr_workgroup_id_y 1
		.amdhsa_system_sgpr_workgroup_id_z 1
		.amdhsa_system_sgpr_workgroup_info 0
		.amdhsa_system_vgpr_workitem_id 0
		.amdhsa_next_free_vgpr 12
		.amdhsa_next_free_sgpr 28
		.amdhsa_reserve_vcc 1
		.amdhsa_reserve_flat_scratch 0
		.amdhsa_float_round_mode_32 0
		.amdhsa_float_round_mode_16_64 0
		.amdhsa_float_denorm_mode_32 3
		.amdhsa_float_denorm_mode_16_64 3
		.amdhsa_dx10_clamp 1
		.amdhsa_ieee_mode 1
		.amdhsa_fp16_overflow 0
		.amdhsa_workgroup_processor_mode 1
		.amdhsa_memory_ordered 1
		.amdhsa_forward_progress 1
		.amdhsa_shared_vgpr_count 0
		.amdhsa_exception_fp_ieee_invalid_op 0
		.amdhsa_exception_fp_denorm_src 0
		.amdhsa_exception_fp_ieee_div_zero 0
		.amdhsa_exception_fp_ieee_overflow 0
		.amdhsa_exception_fp_ieee_underflow 0
		.amdhsa_exception_fp_ieee_inexact 0
		.amdhsa_exception_int_div_zero 0
	.end_amdhsa_kernel
	.section	.text._ZL13mul_mat_vec_fI14__hip_bfloat16fLi1ELi256ELb0ELb1EEvPKT_PKfPKi31ggml_cuda_mm_fusion_args_devicePfi15HIP_vector_typeIjLj3EEiiiSB_iiiSB_iiii,"axG",@progbits,_ZL13mul_mat_vec_fI14__hip_bfloat16fLi1ELi256ELb0ELb1EEvPKT_PKfPKi31ggml_cuda_mm_fusion_args_devicePfi15HIP_vector_typeIjLj3EEiiiSB_iiiSB_iiii,comdat
.Lfunc_end279:
	.size	_ZL13mul_mat_vec_fI14__hip_bfloat16fLi1ELi256ELb0ELb1EEvPKT_PKfPKi31ggml_cuda_mm_fusion_args_devicePfi15HIP_vector_typeIjLj3EEiiiSB_iiiSB_iiii, .Lfunc_end279-_ZL13mul_mat_vec_fI14__hip_bfloat16fLi1ELi256ELb0ELb1EEvPKT_PKfPKi31ggml_cuda_mm_fusion_args_devicePfi15HIP_vector_typeIjLj3EEiiiSB_iiiSB_iiii
                                        ; -- End function
	.set _ZL13mul_mat_vec_fI14__hip_bfloat16fLi1ELi256ELb0ELb1EEvPKT_PKfPKi31ggml_cuda_mm_fusion_args_devicePfi15HIP_vector_typeIjLj3EEiiiSB_iiiSB_iiii.num_vgpr, 12
	.set _ZL13mul_mat_vec_fI14__hip_bfloat16fLi1ELi256ELb0ELb1EEvPKT_PKfPKi31ggml_cuda_mm_fusion_args_devicePfi15HIP_vector_typeIjLj3EEiiiSB_iiiSB_iiii.num_agpr, 0
	.set _ZL13mul_mat_vec_fI14__hip_bfloat16fLi1ELi256ELb0ELb1EEvPKT_PKfPKi31ggml_cuda_mm_fusion_args_devicePfi15HIP_vector_typeIjLj3EEiiiSB_iiiSB_iiii.numbered_sgpr, 28
	.set _ZL13mul_mat_vec_fI14__hip_bfloat16fLi1ELi256ELb0ELb1EEvPKT_PKfPKi31ggml_cuda_mm_fusion_args_devicePfi15HIP_vector_typeIjLj3EEiiiSB_iiiSB_iiii.num_named_barrier, 0
	.set _ZL13mul_mat_vec_fI14__hip_bfloat16fLi1ELi256ELb0ELb1EEvPKT_PKfPKi31ggml_cuda_mm_fusion_args_devicePfi15HIP_vector_typeIjLj3EEiiiSB_iiiSB_iiii.private_seg_size, 0
	.set _ZL13mul_mat_vec_fI14__hip_bfloat16fLi1ELi256ELb0ELb1EEvPKT_PKfPKi31ggml_cuda_mm_fusion_args_devicePfi15HIP_vector_typeIjLj3EEiiiSB_iiiSB_iiii.uses_vcc, 1
	.set _ZL13mul_mat_vec_fI14__hip_bfloat16fLi1ELi256ELb0ELb1EEvPKT_PKfPKi31ggml_cuda_mm_fusion_args_devicePfi15HIP_vector_typeIjLj3EEiiiSB_iiiSB_iiii.uses_flat_scratch, 0
	.set _ZL13mul_mat_vec_fI14__hip_bfloat16fLi1ELi256ELb0ELb1EEvPKT_PKfPKi31ggml_cuda_mm_fusion_args_devicePfi15HIP_vector_typeIjLj3EEiiiSB_iiiSB_iiii.has_dyn_sized_stack, 0
	.set _ZL13mul_mat_vec_fI14__hip_bfloat16fLi1ELi256ELb0ELb1EEvPKT_PKfPKi31ggml_cuda_mm_fusion_args_devicePfi15HIP_vector_typeIjLj3EEiiiSB_iiiSB_iiii.has_recursion, 0
	.set _ZL13mul_mat_vec_fI14__hip_bfloat16fLi1ELi256ELb0ELb1EEvPKT_PKfPKi31ggml_cuda_mm_fusion_args_devicePfi15HIP_vector_typeIjLj3EEiiiSB_iiiSB_iiii.has_indirect_call, 0
	.section	.AMDGPU.csdata,"",@progbits
; Kernel info:
; codeLenInByte = 964
; TotalNumSgprs: 30
; NumVgprs: 12
; ScratchSize: 0
; MemoryBound: 0
; FloatMode: 240
; IeeeMode: 1
; LDSByteSize: 0 bytes/workgroup (compile time only)
; SGPRBlocks: 0
; VGPRBlocks: 1
; NumSGPRsForWavesPerEU: 30
; NumVGPRsForWavesPerEU: 12
; Occupancy: 16
; WaveLimiterHint : 1
; COMPUTE_PGM_RSRC2:SCRATCH_EN: 0
; COMPUTE_PGM_RSRC2:USER_SGPR: 6
; COMPUTE_PGM_RSRC2:TRAP_HANDLER: 0
; COMPUTE_PGM_RSRC2:TGID_X_EN: 1
; COMPUTE_PGM_RSRC2:TGID_Y_EN: 1
; COMPUTE_PGM_RSRC2:TGID_Z_EN: 1
; COMPUTE_PGM_RSRC2:TIDIG_COMP_CNT: 0
	.section	.text._ZL13mul_mat_vec_fI14__hip_bfloat16fLi1ELi32ELb1ELb0EEvPKT_PKfPKi31ggml_cuda_mm_fusion_args_devicePfi15HIP_vector_typeIjLj3EEiiiSB_iiiSB_iiii,"axG",@progbits,_ZL13mul_mat_vec_fI14__hip_bfloat16fLi1ELi32ELb1ELb0EEvPKT_PKfPKi31ggml_cuda_mm_fusion_args_devicePfi15HIP_vector_typeIjLj3EEiiiSB_iiiSB_iiii,comdat
	.globl	_ZL13mul_mat_vec_fI14__hip_bfloat16fLi1ELi32ELb1ELb0EEvPKT_PKfPKi31ggml_cuda_mm_fusion_args_devicePfi15HIP_vector_typeIjLj3EEiiiSB_iiiSB_iiii ; -- Begin function _ZL13mul_mat_vec_fI14__hip_bfloat16fLi1ELi32ELb1ELb0EEvPKT_PKfPKi31ggml_cuda_mm_fusion_args_devicePfi15HIP_vector_typeIjLj3EEiiiSB_iiiSB_iiii
	.p2align	8
	.type	_ZL13mul_mat_vec_fI14__hip_bfloat16fLi1ELi32ELb1ELb0EEvPKT_PKfPKi31ggml_cuda_mm_fusion_args_devicePfi15HIP_vector_typeIjLj3EEiiiSB_iiiSB_iiii,@function
_ZL13mul_mat_vec_fI14__hip_bfloat16fLi1ELi32ELb1ELb0EEvPKT_PKfPKi31ggml_cuda_mm_fusion_args_devicePfi15HIP_vector_typeIjLj3EEiiiSB_iiiSB_iiii: ; @_ZL13mul_mat_vec_fI14__hip_bfloat16fLi1ELi32ELb1ELb0EEvPKT_PKfPKi31ggml_cuda_mm_fusion_args_devicePfi15HIP_vector_typeIjLj3EEiiiSB_iiiSB_iiii
; %bb.0:
	s_clause 0x3
	s_load_dwordx8 s[12:19], s[4:5], 0x0
	s_load_dwordx4 s[24:27], s[4:5], 0x20
	s_load_dwordx4 s[36:39], s[4:5], 0x40
	;; [unrolled: 1-line block ×3, first 2 shown]
	s_mov_b32 s0, s7
	s_waitcnt lgkmcnt(0)
	s_cmp_eq_u64 s[16:17], 0
	s_cselect_b32 s1, -1, 0
	s_cmp_lg_u64 s[16:17], 0
	s_cselect_b32 s10, -1, 0
	s_and_b32 vcc_lo, exec_lo, s1
	s_cbranch_vccnz .LBB280_2
; %bb.1:
	s_mul_i32 s2, s31, s8
	s_mov_b32 s3, 0
	s_add_i32 s2, s2, s0
	s_lshl_b64 s[20:21], s[2:3], 2
	s_add_u32 s16, s16, s20
	s_addc_u32 s17, s17, s21
	s_load_dword s7, s[16:17], 0x0
	s_branch .LBB280_3
.LBB280_2:
	s_mov_b32 s3, -1
                                        ; implicit-def: $sgpr7
.LBB280_3:
	s_clause 0x1
	s_load_dwordx4 s[20:23], s[4:5], 0x68
	s_load_dword s2, s[4:5], 0x50
	s_andn2_b32 vcc_lo, exec_lo, s3
	s_waitcnt lgkmcnt(0)
	s_mov_b32 s9, s7
	s_cbranch_vccnz .LBB280_5
; %bb.4:
	s_load_dwordx2 s[16:17], s[4:5], 0x5c
	s_mov_b32 s7, s0
	s_waitcnt lgkmcnt(0)
	s_mul_hi_u32 s3, s16, s0
	s_add_i32 s3, s0, s3
	s_lshr_b32 s9, s3, s17
.LBB280_5:
	s_load_dword s16, s[4:5], 0x78
	s_andn2_b32 vcc_lo, exec_lo, s10
	s_mov_b32 s10, s0
	s_cbranch_vccnz .LBB280_7
; %bb.6:
	s_mul_hi_u32 s3, s37, s0
	s_add_i32 s3, s0, s3
	s_lshr_b32 s3, s3, s38
	s_mul_i32 s3, s3, s39
	s_sub_i32 s10, s0, s3
.LBB280_7:
	s_and_b32 s1, exec_lo, s1
	v_mov_b32_e32 v7, 0
	v_mov_b32_e32 v8, 0
	s_cselect_b32 s11, s8, 0
	s_cmp_lg_u64 s[24:25], 0
	s_mov_b32 s8, 0
	s_cselect_b32 s1, -1, 0
	s_mov_b32 s3, exec_lo
	v_cmpx_gt_i32_e64 s36, v0
	s_cbranch_execz .LBB280_13
; %bb.8:
	s_mul_hi_u32 s17, s23, s11
	s_mul_i32 s9, s9, s20
	s_add_i32 s17, s11, s17
	s_mul_i32 s2, s2, s6
	s_waitcnt lgkmcnt(0)
	s_lshr_b32 s16, s17, s16
	s_ashr_i32 s20, s9, 31
	s_mul_hi_i32 s17, s16, s28
	s_mul_i32 s16, s16, s28
	s_ashr_i32 s23, s2, 31
	s_add_u32 s2, s16, s2
	s_addc_u32 s17, s17, s23
	s_add_u32 s16, s2, s9
	s_addc_u32 s17, s17, s20
	s_mul_i32 s20, s10, s21
	s_and_b32 s2, s1, exec_lo
	s_cselect_b32 s35, s17, 0
	s_cselect_b32 s34, s16, 0
	s_ashr_i32 s21, s20, 31
	s_and_b32 s2, s1, exec_lo
	v_lshlrev_b32_e32 v5, 2, v0
	s_cselect_b32 s2, s25, 0
	s_cselect_b32 s9, s24, 0
	s_lshl_b64 s[24:25], s[34:35], 1
	v_lshlrev_b32_e32 v3, 3, v0
	s_add_u32 s9, s9, s24
	s_addc_u32 s2, s2, s25
	s_mul_hi_i32 s25, s11, s29
	s_mul_i32 s24, s11, s29
	v_add_co_u32 v1, s9, s9, v5
	s_lshl_b64 s[20:21], s[20:21], 2
	s_lshl_b64 s[24:25], s[24:25], 2
	v_add_co_ci_u32_e64 v2, null, s2, 0, s9
	s_add_u32 s2, s14, s20
	s_addc_u32 s9, s15, s21
	s_add_u32 s2, s2, s24
	s_addc_u32 s9, s9, s25
	v_add_co_u32 v3, s2, s2, v3
	s_lshl_b64 s[14:15], s[16:17], 1
	v_add_co_ci_u32_e64 v4, null, s9, 0, s2
	s_add_u32 s2, s12, s14
	v_add_co_u32 v3, vcc_lo, v3, 4
	s_addc_u32 s9, s13, s15
	v_add_co_u32 v5, s2, s2, v5
	v_mov_b32_e32 v7, 0
	v_add_co_ci_u32_e64 v4, null, 0, v4, vcc_lo
	v_add_co_ci_u32_e64 v6, null, s9, 0, s2
	v_mov_b32_e32 v9, v0
	v_mov_b32_e32 v8, 0
	s_inst_prefetch 0x1
	s_branch .LBB280_10
	.p2align	6
.LBB280_9:                              ;   in Loop: Header=BB280_10 Depth=1
	global_load_dwordx2 v[13:14], v[3:4], off offset:-4
	s_waitcnt vmcnt(1)
	v_lshlrev_b32_e32 v15, 16, v12
	v_add_nc_u32_e32 v9, 32, v9
	v_add_co_u32 v1, vcc_lo, 0x80, v1
	v_and_b32_e32 v12, 0xffff0000, v12
	v_add_co_ci_u32_e64 v2, null, 0, v2, vcc_lo
	v_add_co_u32 v3, vcc_lo, 0x100, v3
	v_add_co_ci_u32_e64 v4, null, 0, v4, vcc_lo
	v_cmp_le_i32_e32 vcc_lo, s36, v9
	v_add_co_u32 v5, s2, 0x80, v5
	v_add_co_ci_u32_e64 v6, null, 0, v6, s2
	s_or_b32 s8, vcc_lo, s8
	s_waitcnt vmcnt(0)
	v_fma_f32 v11, v11, v13, v7
	v_fmac_f32_e32 v8, v13, v15
	v_fmac_f32_e32 v11, v10, v14
	v_fmac_f32_e32 v8, v14, v12
	v_cndmask_b32_e64 v7, v7, v11, s1
	s_andn2_b32 exec_lo, exec_lo, s8
	s_cbranch_execz .LBB280_12
.LBB280_10:                             ; =>This Inner Loop Header: Depth=1
	global_load_dword v12, v[5:6], off
	v_mov_b32_e32 v10, 0
	v_mov_b32_e32 v11, 0
	s_andn2_b32 vcc_lo, exec_lo, s1
	s_cbranch_vccnz .LBB280_9
; %bb.11:                               ;   in Loop: Header=BB280_10 Depth=1
	global_load_dword v10, v[1:2], off
	s_waitcnt vmcnt(0)
	v_lshlrev_b32_e32 v11, 16, v10
	v_and_b32_e32 v10, 0xffff0000, v10
	s_branch .LBB280_9
.LBB280_12:
	s_inst_prefetch 0x2
	s_or_b32 exec_lo, exec_lo, s8
.LBB280_13:
	s_or_b32 exec_lo, exec_lo, s3
	v_mbcnt_lo_u32_b32 v2, -1, 0
	s_load_dword s10, s[4:5], 0x30
	v_xor_b32_e32 v1, 16, v2
	v_xor_b32_e32 v4, 8, v2
	;; [unrolled: 1-line block ×3, first 2 shown]
	v_cmp_gt_i32_e32 vcc_lo, 32, v1
	v_cndmask_b32_e32 v1, v2, v1, vcc_lo
	v_cmp_gt_i32_e32 vcc_lo, 32, v4
	v_lshlrev_b32_e32 v1, 2, v1
	v_cndmask_b32_e32 v4, v2, v4, vcc_lo
	v_cmp_gt_i32_e32 vcc_lo, 32, v5
	ds_bpermute_b32 v3, v1, v8
	v_lshlrev_b32_e32 v4, 2, v4
	v_cndmask_b32_e32 v5, v2, v5, vcc_lo
	v_lshlrev_b32_e32 v5, 2, v5
	s_waitcnt lgkmcnt(0)
	v_add_f32_e32 v3, v8, v3
	ds_bpermute_b32 v6, v4, v3
	s_waitcnt lgkmcnt(0)
	v_add_f32_e32 v3, v3, v6
	v_xor_b32_e32 v6, 2, v2
	ds_bpermute_b32 v8, v5, v3
	v_cmp_gt_i32_e32 vcc_lo, 32, v6
	v_cndmask_b32_e32 v6, v2, v6, vcc_lo
	v_lshlrev_b32_e32 v6, 2, v6
	s_waitcnt lgkmcnt(0)
	v_add_f32_e32 v3, v3, v8
	v_xor_b32_e32 v8, 1, v2
	ds_bpermute_b32 v9, v6, v3
	v_cmp_gt_i32_e32 vcc_lo, 32, v8
	v_cndmask_b32_e32 v2, v2, v8, vcc_lo
	s_and_b32 vcc_lo, exec_lo, s1
	v_lshlrev_b32_e32 v8, 2, v2
	s_waitcnt lgkmcnt(0)
	v_add_f32_e32 v2, v3, v9
	ds_bpermute_b32 v3, v8, v2
	s_cbranch_vccz .LBB280_15
; %bb.14:
	ds_bpermute_b32 v1, v1, v7
	s_waitcnt lgkmcnt(0)
	v_add_f32_e32 v1, v7, v1
	ds_bpermute_b32 v4, v4, v1
	s_waitcnt lgkmcnt(0)
	v_add_f32_e32 v1, v1, v4
	;; [unrolled: 3-line block ×5, first 2 shown]
.LBB280_15:
	s_mov_b32 s2, exec_lo
	v_cmpx_eq_u32_e32 0, v0
	s_cbranch_execz .LBB280_39
; %bb.16:
	s_cmp_eq_u64 s[18:19], 0
	s_waitcnt lgkmcnt(0)
	v_add_f32_e32 v0, v2, v3
	s_mul_i32 s8, s7, s22
	s_cselect_b32 s2, -1, 0
	s_ashr_i32 s9, s8, 31
	s_mul_hi_i32 s3, s30, s11
	s_and_b32 vcc_lo, exec_lo, s2
	s_mul_i32 s2, s30, s11
	s_cbranch_vccnz .LBB280_18
; %bb.17:
	s_cselect_b32 s7, 0, s19
	s_cselect_b32 s11, 0, s18
	s_lshl_b64 s[12:13], s[2:3], 2
	s_add_u32 s11, s11, s12
	s_addc_u32 s7, s7, s13
	s_lshl_b64 s[12:13], s[8:9], 2
	s_add_u32 s11, s11, s12
	s_addc_u32 s14, s7, s13
	s_ashr_i32 s7, s6, 31
	s_lshl_b64 s[12:13], s[6:7], 2
	s_add_u32 s12, s11, s12
	s_addc_u32 s13, s14, s13
	s_load_dword s7, s[12:13], 0x0
	s_waitcnt lgkmcnt(0)
	v_add_f32_e32 v0, s7, v0
.LBB280_18:
	s_andn2_b32 vcc_lo, exec_lo, s1
	s_cbranch_vccnz .LBB280_38
; %bb.19:
	s_cmp_lg_u64 s[26:27], 0
	s_cselect_b32 s7, -1, 0
	s_and_b32 s1, s7, s1
	s_andn2_b32 vcc_lo, exec_lo, s1
	s_cbranch_vccnz .LBB280_21
; %bb.20:
	s_and_b32 s1, s7, exec_lo
	s_cselect_b32 s1, s27, 0
	s_cselect_b32 s7, s26, 0
	s_lshl_b64 s[12:13], s[2:3], 2
	s_add_u32 s7, s7, s12
	s_addc_u32 s1, s1, s13
	s_lshl_b64 s[8:9], s[8:9], 2
	s_add_u32 s11, s7, s8
	s_addc_u32 s1, s1, s9
	s_ashr_i32 s7, s6, 31
	s_lshl_b64 s[8:9], s[6:7], 2
	s_add_u32 s8, s11, s8
	s_addc_u32 s9, s1, s9
	s_load_dword s1, s[8:9], 0x0
	s_waitcnt lgkmcnt(0)
	v_add_f32_e32 v7, s1, v7
.LBB280_21:
	s_cmp_lt_i32 s10, 2
	s_cbranch_scc1 .LBB280_26
; %bb.22:
	s_cmp_lt_i32 s10, 3
	s_cbranch_scc1 .LBB280_27
; %bb.23:
	v_mov_b32_e32 v1, v0
	s_cmp_eq_u32 s10, 3
	s_cbranch_scc0 .LBB280_25
; %bb.24:
	v_max_f32_e32 v1, v7, v7
	v_min_f32_e32 v1, 0x40e00000, v1
	v_mul_f32_e32 v2, 0xbfd9db23, v1
	v_mul_f32_e32 v3, 0x3fb8aa3b, v2
	v_cmp_ngt_f32_e32 vcc_lo, 0xc2ce8ed0, v2
	v_fma_f32 v4, 0x3fb8aa3b, v2, -v3
	v_rndne_f32_e32 v5, v3
	v_fmamk_f32 v4, v2, 0x32a5705f, v4
	v_sub_f32_e32 v3, v3, v5
	v_add_f32_e32 v3, v3, v4
	v_cvt_i32_f32_e32 v4, v5
	v_exp_f32_e32 v3, v3
	v_ldexp_f32 v3, v3, v4
	v_cndmask_b32_e32 v3, 0, v3, vcc_lo
	v_cmp_nlt_f32_e32 vcc_lo, 0x42b17218, v2
	v_cndmask_b32_e32 v2, 0x7f800000, v3, vcc_lo
	v_add_f32_e32 v2, 1.0, v2
	v_div_scale_f32 v3, null, v2, v2, v1
	v_div_scale_f32 v6, vcc_lo, v1, v2, v1
	v_rcp_f32_e32 v4, v3
	v_fma_f32 v5, -v3, v4, 1.0
	v_fmac_f32_e32 v4, v5, v4
	v_mul_f32_e32 v5, v6, v4
	v_fma_f32 v8, -v3, v5, v6
	v_fmac_f32_e32 v5, v8, v4
	v_max_f32_e32 v8, v0, v0
	v_fma_f32 v3, -v3, v5, v6
	v_min_f32_e32 v6, 0x40e00000, v8
	v_div_fmas_f32 v3, v3, v4, v5
	v_max_f32_e32 v4, 0xc0e00000, v6
	v_div_fixup_f32 v1, v3, v2, v1
	v_add_f32_e32 v2, 1.0, v4
	v_mul_f32_e32 v1, v2, v1
.LBB280_25:
	s_cbranch_execz .LBB280_28
	s_branch .LBB280_29
.LBB280_26:
                                        ; implicit-def: $vgpr1
	s_branch .LBB280_30
.LBB280_27:
                                        ; implicit-def: $vgpr1
.LBB280_28:
	v_mul_f32_e32 v1, 0xbfb8aa3b, v7
	v_cmp_nlt_f32_e32 vcc_lo, 0x42ce8ed0, v7
	v_rndne_f32_e32 v2, v1
	v_fma_f32 v3, 0xbfb8aa3b, v7, -v1
	v_sub_f32_e32 v1, v1, v2
	v_fmamk_f32 v3, v7, 0xb2a5705f, v3
	v_cvt_i32_f32_e32 v2, v2
	v_add_f32_e32 v1, v1, v3
	v_exp_f32_e32 v1, v1
	v_ldexp_f32 v1, v1, v2
	v_cndmask_b32_e32 v1, 0, v1, vcc_lo
	v_cmp_ngt_f32_e32 vcc_lo, 0xc2b17218, v7
	v_cndmask_b32_e32 v1, 0x7f800000, v1, vcc_lo
	v_add_f32_e32 v1, 1.0, v1
	v_div_scale_f32 v2, null, v1, v1, v7
	v_rcp_f32_e32 v3, v2
	v_fma_f32 v4, -v2, v3, 1.0
	v_fmac_f32_e32 v3, v4, v3
	v_div_scale_f32 v4, vcc_lo, v7, v1, v7
	v_mul_f32_e32 v5, v4, v3
	v_fma_f32 v6, -v2, v5, v4
	v_fmac_f32_e32 v5, v6, v3
	v_fma_f32 v2, -v2, v5, v4
	v_div_fmas_f32 v2, v2, v3, v5
	v_div_fixup_f32 v1, v2, v1, v7
	v_mul_f32_e32 v1, v0, v1
.LBB280_29:
	s_cbranch_execnz .LBB280_37
.LBB280_30:
	s_cmp_eq_u32 s10, 1
	s_cbranch_scc0 .LBB280_36
; %bb.31:
	v_mul_f32_e32 v1, 0x3d372713, v7
	v_mul_f32_e32 v2, 0x3f4c422a, v7
	v_fma_f32 v1, v7, v1, 1.0
	v_mul_f32_e32 v1, v2, v1
                                        ; implicit-def: $vgpr2
	v_cmp_ngt_f32_e64 s1, 0x3f200000, |v1|
	s_and_saveexec_b32 s7, s1
	s_xor_b32 s1, exec_lo, s7
	s_cbranch_execz .LBB280_33
; %bb.32:
	v_add_f32_e64 v2, |v1|, |v1|
	v_mul_f32_e32 v3, 0x3fb8aa3b, v2
	v_cmp_ngt_f32_e32 vcc_lo, 0xc2ce8ed0, v2
	v_rndne_f32_e32 v4, v3
	v_fma_f32 v5, 0x3fb8aa3b, v2, -v3
	v_sub_f32_e32 v3, v3, v4
	v_fmamk_f32 v5, v2, 0x32a5705f, v5
	v_cvt_i32_f32_e32 v4, v4
	v_add_f32_e32 v3, v3, v5
	v_exp_f32_e32 v3, v3
	v_ldexp_f32 v3, v3, v4
	v_cndmask_b32_e32 v3, 0, v3, vcc_lo
	v_cmp_nlt_f32_e32 vcc_lo, 0x42b17218, v2
	v_cndmask_b32_e32 v2, 0x7f800000, v3, vcc_lo
	v_add_f32_e32 v2, 1.0, v2
	v_rcp_f32_e32 v2, v2
	v_fma_f32 v2, v2, -2.0, 1.0
.LBB280_33:
	s_andn2_saveexec_b32 s1, s1
	s_cbranch_execz .LBB280_35
; %bb.34:
	v_mul_f32_e32 v2, v1, v1
	s_mov_b32 s7, 0xbbbac73d
	v_fmaak_f32 v3, s7, v2, 0x3ca908c9
	v_fmaak_f32 v3, v2, v3, 0xbd5c1c4e
	;; [unrolled: 1-line block ×4, first 2 shown]
	v_mul_f32_e64 v3, |v1|, v3
	v_fma_f32 v2, v2, v3, |v1|
.LBB280_35:
	s_or_b32 exec_lo, exec_lo, s1
	v_bfi_b32 v1, 0x7fffffff, v2, v1
	v_mul_f32_e32 v2, 0.5, v7
	v_add_f32_e32 v1, 1.0, v1
	v_mul_f32_e32 v1, v2, v1
	v_mul_f32_e32 v0, v0, v1
.LBB280_36:
	v_mov_b32_e32 v1, v0
.LBB280_37:
	v_mov_b32_e32 v0, v1
.LBB280_38:
	s_load_dwordx2 s[4:5], s[4:5], 0x38
	s_lshl_b64 s[2:3], s[2:3], 2
	s_mul_i32 s0, s22, s0
	v_mov_b32_e32 v1, 0
	s_waitcnt lgkmcnt(0)
	s_add_u32 s2, s4, s2
	s_addc_u32 s3, s5, s3
	s_ashr_i32 s1, s0, 31
	s_lshl_b64 s[0:1], s[0:1], 2
	s_add_u32 s2, s2, s0
	s_addc_u32 s3, s3, s1
	s_ashr_i32 s7, s6, 31
	s_lshl_b64 s[0:1], s[6:7], 2
	s_add_u32 s0, s2, s0
	s_addc_u32 s1, s3, s1
	global_store_dword v1, v0, s[0:1]
.LBB280_39:
	s_endpgm
	.section	.rodata,"a",@progbits
	.p2align	6, 0x0
	.amdhsa_kernel _ZL13mul_mat_vec_fI14__hip_bfloat16fLi1ELi32ELb1ELb0EEvPKT_PKfPKi31ggml_cuda_mm_fusion_args_devicePfi15HIP_vector_typeIjLj3EEiiiSB_iiiSB_iiii
		.amdhsa_group_segment_fixed_size 0
		.amdhsa_private_segment_fixed_size 0
		.amdhsa_kernarg_size 144
		.amdhsa_user_sgpr_count 6
		.amdhsa_user_sgpr_private_segment_buffer 1
		.amdhsa_user_sgpr_dispatch_ptr 0
		.amdhsa_user_sgpr_queue_ptr 0
		.amdhsa_user_sgpr_kernarg_segment_ptr 1
		.amdhsa_user_sgpr_dispatch_id 0
		.amdhsa_user_sgpr_flat_scratch_init 0
		.amdhsa_user_sgpr_private_segment_size 0
		.amdhsa_wavefront_size32 1
		.amdhsa_uses_dynamic_stack 0
		.amdhsa_system_sgpr_private_segment_wavefront_offset 0
		.amdhsa_system_sgpr_workgroup_id_x 1
		.amdhsa_system_sgpr_workgroup_id_y 1
		.amdhsa_system_sgpr_workgroup_id_z 1
		.amdhsa_system_sgpr_workgroup_info 0
		.amdhsa_system_vgpr_workitem_id 0
		.amdhsa_next_free_vgpr 16
		.amdhsa_next_free_sgpr 40
		.amdhsa_reserve_vcc 1
		.amdhsa_reserve_flat_scratch 0
		.amdhsa_float_round_mode_32 0
		.amdhsa_float_round_mode_16_64 0
		.amdhsa_float_denorm_mode_32 3
		.amdhsa_float_denorm_mode_16_64 3
		.amdhsa_dx10_clamp 1
		.amdhsa_ieee_mode 1
		.amdhsa_fp16_overflow 0
		.amdhsa_workgroup_processor_mode 1
		.amdhsa_memory_ordered 1
		.amdhsa_forward_progress 1
		.amdhsa_shared_vgpr_count 0
		.amdhsa_exception_fp_ieee_invalid_op 0
		.amdhsa_exception_fp_denorm_src 0
		.amdhsa_exception_fp_ieee_div_zero 0
		.amdhsa_exception_fp_ieee_overflow 0
		.amdhsa_exception_fp_ieee_underflow 0
		.amdhsa_exception_fp_ieee_inexact 0
		.amdhsa_exception_int_div_zero 0
	.end_amdhsa_kernel
	.section	.text._ZL13mul_mat_vec_fI14__hip_bfloat16fLi1ELi32ELb1ELb0EEvPKT_PKfPKi31ggml_cuda_mm_fusion_args_devicePfi15HIP_vector_typeIjLj3EEiiiSB_iiiSB_iiii,"axG",@progbits,_ZL13mul_mat_vec_fI14__hip_bfloat16fLi1ELi32ELb1ELb0EEvPKT_PKfPKi31ggml_cuda_mm_fusion_args_devicePfi15HIP_vector_typeIjLj3EEiiiSB_iiiSB_iiii,comdat
.Lfunc_end280:
	.size	_ZL13mul_mat_vec_fI14__hip_bfloat16fLi1ELi32ELb1ELb0EEvPKT_PKfPKi31ggml_cuda_mm_fusion_args_devicePfi15HIP_vector_typeIjLj3EEiiiSB_iiiSB_iiii, .Lfunc_end280-_ZL13mul_mat_vec_fI14__hip_bfloat16fLi1ELi32ELb1ELb0EEvPKT_PKfPKi31ggml_cuda_mm_fusion_args_devicePfi15HIP_vector_typeIjLj3EEiiiSB_iiiSB_iiii
                                        ; -- End function
	.set _ZL13mul_mat_vec_fI14__hip_bfloat16fLi1ELi32ELb1ELb0EEvPKT_PKfPKi31ggml_cuda_mm_fusion_args_devicePfi15HIP_vector_typeIjLj3EEiiiSB_iiiSB_iiii.num_vgpr, 16
	.set _ZL13mul_mat_vec_fI14__hip_bfloat16fLi1ELi32ELb1ELb0EEvPKT_PKfPKi31ggml_cuda_mm_fusion_args_devicePfi15HIP_vector_typeIjLj3EEiiiSB_iiiSB_iiii.num_agpr, 0
	.set _ZL13mul_mat_vec_fI14__hip_bfloat16fLi1ELi32ELb1ELb0EEvPKT_PKfPKi31ggml_cuda_mm_fusion_args_devicePfi15HIP_vector_typeIjLj3EEiiiSB_iiiSB_iiii.numbered_sgpr, 40
	.set _ZL13mul_mat_vec_fI14__hip_bfloat16fLi1ELi32ELb1ELb0EEvPKT_PKfPKi31ggml_cuda_mm_fusion_args_devicePfi15HIP_vector_typeIjLj3EEiiiSB_iiiSB_iiii.num_named_barrier, 0
	.set _ZL13mul_mat_vec_fI14__hip_bfloat16fLi1ELi32ELb1ELb0EEvPKT_PKfPKi31ggml_cuda_mm_fusion_args_devicePfi15HIP_vector_typeIjLj3EEiiiSB_iiiSB_iiii.private_seg_size, 0
	.set _ZL13mul_mat_vec_fI14__hip_bfloat16fLi1ELi32ELb1ELb0EEvPKT_PKfPKi31ggml_cuda_mm_fusion_args_devicePfi15HIP_vector_typeIjLj3EEiiiSB_iiiSB_iiii.uses_vcc, 1
	.set _ZL13mul_mat_vec_fI14__hip_bfloat16fLi1ELi32ELb1ELb0EEvPKT_PKfPKi31ggml_cuda_mm_fusion_args_devicePfi15HIP_vector_typeIjLj3EEiiiSB_iiiSB_iiii.uses_flat_scratch, 0
	.set _ZL13mul_mat_vec_fI14__hip_bfloat16fLi1ELi32ELb1ELb0EEvPKT_PKfPKi31ggml_cuda_mm_fusion_args_devicePfi15HIP_vector_typeIjLj3EEiiiSB_iiiSB_iiii.has_dyn_sized_stack, 0
	.set _ZL13mul_mat_vec_fI14__hip_bfloat16fLi1ELi32ELb1ELb0EEvPKT_PKfPKi31ggml_cuda_mm_fusion_args_devicePfi15HIP_vector_typeIjLj3EEiiiSB_iiiSB_iiii.has_recursion, 0
	.set _ZL13mul_mat_vec_fI14__hip_bfloat16fLi1ELi32ELb1ELb0EEvPKT_PKfPKi31ggml_cuda_mm_fusion_args_devicePfi15HIP_vector_typeIjLj3EEiiiSB_iiiSB_iiii.has_indirect_call, 0
	.section	.AMDGPU.csdata,"",@progbits
; Kernel info:
; codeLenInByte = 1948
; TotalNumSgprs: 42
; NumVgprs: 16
; ScratchSize: 0
; MemoryBound: 0
; FloatMode: 240
; IeeeMode: 1
; LDSByteSize: 0 bytes/workgroup (compile time only)
; SGPRBlocks: 0
; VGPRBlocks: 1
; NumSGPRsForWavesPerEU: 42
; NumVGPRsForWavesPerEU: 16
; Occupancy: 16
; WaveLimiterHint : 1
; COMPUTE_PGM_RSRC2:SCRATCH_EN: 0
; COMPUTE_PGM_RSRC2:USER_SGPR: 6
; COMPUTE_PGM_RSRC2:TRAP_HANDLER: 0
; COMPUTE_PGM_RSRC2:TGID_X_EN: 1
; COMPUTE_PGM_RSRC2:TGID_Y_EN: 1
; COMPUTE_PGM_RSRC2:TGID_Z_EN: 1
; COMPUTE_PGM_RSRC2:TIDIG_COMP_CNT: 0
	.section	.text._ZL13mul_mat_vec_fI14__hip_bfloat16fLi1ELi32ELb0ELb0EEvPKT_PKfPKi31ggml_cuda_mm_fusion_args_devicePfi15HIP_vector_typeIjLj3EEiiiSB_iiiSB_iiii,"axG",@progbits,_ZL13mul_mat_vec_fI14__hip_bfloat16fLi1ELi32ELb0ELb0EEvPKT_PKfPKi31ggml_cuda_mm_fusion_args_devicePfi15HIP_vector_typeIjLj3EEiiiSB_iiiSB_iiii,comdat
	.globl	_ZL13mul_mat_vec_fI14__hip_bfloat16fLi1ELi32ELb0ELb0EEvPKT_PKfPKi31ggml_cuda_mm_fusion_args_devicePfi15HIP_vector_typeIjLj3EEiiiSB_iiiSB_iiii ; -- Begin function _ZL13mul_mat_vec_fI14__hip_bfloat16fLi1ELi32ELb0ELb0EEvPKT_PKfPKi31ggml_cuda_mm_fusion_args_devicePfi15HIP_vector_typeIjLj3EEiiiSB_iiiSB_iiii
	.p2align	8
	.type	_ZL13mul_mat_vec_fI14__hip_bfloat16fLi1ELi32ELb0ELb0EEvPKT_PKfPKi31ggml_cuda_mm_fusion_args_devicePfi15HIP_vector_typeIjLj3EEiiiSB_iiiSB_iiii,@function
_ZL13mul_mat_vec_fI14__hip_bfloat16fLi1ELi32ELb0ELb0EEvPKT_PKfPKi31ggml_cuda_mm_fusion_args_devicePfi15HIP_vector_typeIjLj3EEiiiSB_iiiSB_iiii: ; @_ZL13mul_mat_vec_fI14__hip_bfloat16fLi1ELi32ELb0ELb0EEvPKT_PKfPKi31ggml_cuda_mm_fusion_args_devicePfi15HIP_vector_typeIjLj3EEiiiSB_iiiSB_iiii
; %bb.0:
	s_clause 0x2
	s_load_dwordx2 s[12:13], s[4:5], 0x10
	s_load_dwordx4 s[16:19], s[4:5], 0x40
	s_load_dwordx4 s[0:3], s[4:5], 0x80
	s_waitcnt lgkmcnt(0)
	s_cmp_eq_u64 s[12:13], 0
	s_cselect_b32 s9, -1, 0
	s_cmp_lg_u64 s[12:13], 0
	s_cselect_b32 s23, -1, 0
	s_and_b32 vcc_lo, exec_lo, s9
	s_cbranch_vccnz .LBB281_2
; %bb.1:
	s_mul_i32 s3, s3, s8
	s_mov_b32 s11, 0
	s_add_i32 s10, s3, s7
	s_lshl_b64 s[14:15], s[10:11], 2
	s_add_u32 s12, s12, s14
	s_addc_u32 s13, s13, s15
	s_load_dword s21, s[12:13], 0x0
	s_clause 0x1
	s_load_dwordx4 s[12:15], s[4:5], 0x68
	s_load_dword s22, s[4:5], 0x50
	s_cbranch_execz .LBB281_3
	s_branch .LBB281_4
.LBB281_2:
                                        ; implicit-def: $sgpr21
	s_clause 0x1
	s_load_dwordx4 s[12:15], s[4:5], 0x68
	s_load_dword s22, s[4:5], 0x50
.LBB281_3:
	s_load_dwordx2 s[10:11], s[4:5], 0x5c
	s_waitcnt lgkmcnt(0)
	s_mul_hi_u32 s3, s10, s7
	s_add_i32 s3, s7, s3
	s_lshr_b32 s21, s3, s11
.LBB281_4:
	s_load_dword s20, s[4:5], 0x78
	s_andn2_b32 vcc_lo, exec_lo, s23
	s_mov_b32 s23, s7
	s_cbranch_vccnz .LBB281_6
; %bb.5:
	s_mul_hi_u32 s3, s17, s7
	s_add_i32 s3, s7, s3
	s_lshr_b32 s3, s3, s18
	s_mul_i32 s3, s3, s19
	s_sub_i32 s23, s7, s3
.LBB281_6:
	v_mov_b32_e32 v5, 0
	s_and_b32 s3, exec_lo, s9
	s_mov_b32 s18, 0
	s_cselect_b32 s3, s8, 0
	s_mov_b32 s17, exec_lo
	v_cmpx_gt_i32_e64 s16, v0
	s_cbranch_execz .LBB281_10
; %bb.7:
	s_load_dwordx4 s[8:11], s[4:5], 0x0
	s_waitcnt lgkmcnt(0)
	s_mul_hi_u32 s15, s15, s3
	s_mul_i32 s24, s23, s13
	s_mul_hi_i32 s27, s3, s1
	s_mul_i32 s26, s3, s1
	s_add_i32 s1, s3, s15
	s_ashr_i32 s25, s24, 31
	s_mul_i32 s12, s21, s12
	s_mul_i32 s22, s22, s6
	s_lshr_b32 s15, s1, s20
	s_lshl_b64 s[20:21], s[24:25], 2
	v_lshlrev_b32_e32 v1, 3, v0
	s_ashr_i32 s13, s12, 31
	s_ashr_i32 s23, s22, 31
	s_lshl_b64 s[26:27], s[26:27], 2
	s_mul_hi_i32 s1, s15, s0
	s_mul_i32 s0, s15, s0
	v_lshlrev_b32_e32 v3, 2, v0
	v_mov_b32_e32 v5, 0
	v_mov_b32_e32 v6, v0
	s_add_u32 s10, s10, s20
	s_addc_u32 s11, s11, s21
	s_add_u32 s10, s10, s26
	s_addc_u32 s11, s11, s27
	v_add_co_u32 v1, s10, s10, v1
	v_add_co_ci_u32_e64 v2, null, s11, 0, s10
	s_lshl_b64 s[10:11], s[12:13], 1
	s_lshl_b64 s[0:1], s[0:1], 1
	;; [unrolled: 1-line block ×3, first 2 shown]
	s_add_u32 s8, s8, s10
	s_addc_u32 s9, s9, s11
	s_add_u32 s8, s8, s12
	s_addc_u32 s9, s9, s13
	s_add_u32 s0, s8, s0
	v_add_co_u32 v1, vcc_lo, v1, 4
	s_addc_u32 s1, s9, s1
	v_add_co_u32 v3, s0, s0, v3
	v_add_co_ci_u32_e64 v2, null, 0, v2, vcc_lo
	v_add_co_ci_u32_e64 v4, null, s1, 0, s0
	.p2align	6
.LBB281_8:                              ; =>This Inner Loop Header: Depth=1
	global_load_dword v9, v[3:4], off
	global_load_dwordx2 v[7:8], v[1:2], off offset:-4
	v_add_nc_u32_e32 v6, 32, v6
	v_add_co_u32 v1, vcc_lo, 0x100, v1
	v_add_co_ci_u32_e64 v2, null, 0, v2, vcc_lo
	v_add_co_u32 v3, vcc_lo, 0x80, v3
	v_cmp_le_i32_e64 s0, s16, v6
	v_add_co_ci_u32_e64 v4, null, 0, v4, vcc_lo
	s_or_b32 s18, s0, s18
	s_waitcnt vmcnt(1)
	v_lshlrev_b32_e32 v10, 16, v9
	v_and_b32_e32 v9, 0xffff0000, v9
	s_waitcnt vmcnt(0)
	v_fmac_f32_e32 v5, v7, v10
	v_fmac_f32_e32 v5, v8, v9
	s_andn2_b32 exec_lo, exec_lo, s18
	s_cbranch_execnz .LBB281_8
; %bb.9:
	s_or_b32 exec_lo, exec_lo, s18
.LBB281_10:
	s_or_b32 exec_lo, exec_lo, s17
	v_mbcnt_lo_u32_b32 v1, -1, 0
	s_mov_b32 s0, exec_lo
	v_xor_b32_e32 v2, 16, v1
	v_xor_b32_e32 v3, 8, v1
	;; [unrolled: 1-line block ×3, first 2 shown]
	v_cmp_gt_i32_e32 vcc_lo, 32, v2
	v_cndmask_b32_e32 v2, v1, v2, vcc_lo
	v_cmp_gt_i32_e32 vcc_lo, 32, v3
	v_lshlrev_b32_e32 v2, 2, v2
	v_cndmask_b32_e32 v3, v1, v3, vcc_lo
	v_cmp_gt_i32_e32 vcc_lo, 32, v4
	ds_bpermute_b32 v2, v2, v5
	v_lshlrev_b32_e32 v3, 2, v3
	v_cndmask_b32_e32 v4, v1, v4, vcc_lo
	v_lshlrev_b32_e32 v4, 2, v4
	s_waitcnt lgkmcnt(0)
	v_add_f32_e32 v2, v5, v2
	ds_bpermute_b32 v3, v3, v2
	s_waitcnt lgkmcnt(0)
	v_add_f32_e32 v2, v2, v3
	ds_bpermute_b32 v3, v4, v2
	v_xor_b32_e32 v4, 2, v1
	v_cmp_gt_i32_e32 vcc_lo, 32, v4
	v_cndmask_b32_e32 v4, v1, v4, vcc_lo
	v_lshlrev_b32_e32 v4, 2, v4
	s_waitcnt lgkmcnt(0)
	v_add_f32_e32 v2, v2, v3
	ds_bpermute_b32 v3, v4, v2
	v_xor_b32_e32 v4, 1, v1
	v_cmp_gt_i32_e32 vcc_lo, 32, v4
	v_cndmask_b32_e32 v1, v1, v4, vcc_lo
	v_lshlrev_b32_e32 v4, 2, v1
	s_waitcnt lgkmcnt(0)
	v_add_f32_e32 v1, v2, v3
	ds_bpermute_b32 v2, v4, v1
	v_cmpx_eq_u32_e32 0, v0
	s_cbranch_execz .LBB281_12
; %bb.11:
	s_load_dwordx2 s[0:1], s[4:5], 0x38
	s_mul_hi_i32 s5, s2, s3
	s_mul_i32 s4, s2, s3
	s_mul_i32 s2, s14, s7
	s_lshl_b64 s[4:5], s[4:5], 2
	s_ashr_i32 s3, s2, 31
	s_waitcnt lgkmcnt(0)
	v_add_f32_e32 v0, v1, v2
	v_mov_b32_e32 v1, 0
	s_add_u32 s4, s0, s4
	s_addc_u32 s5, s1, s5
	s_lshl_b64 s[0:1], s[2:3], 2
	s_add_u32 s2, s4, s0
	s_addc_u32 s3, s5, s1
	s_ashr_i32 s7, s6, 31
	s_lshl_b64 s[0:1], s[6:7], 2
	s_add_u32 s0, s2, s0
	s_addc_u32 s1, s3, s1
	global_store_dword v1, v0, s[0:1]
.LBB281_12:
	s_endpgm
	.section	.rodata,"a",@progbits
	.p2align	6, 0x0
	.amdhsa_kernel _ZL13mul_mat_vec_fI14__hip_bfloat16fLi1ELi32ELb0ELb0EEvPKT_PKfPKi31ggml_cuda_mm_fusion_args_devicePfi15HIP_vector_typeIjLj3EEiiiSB_iiiSB_iiii
		.amdhsa_group_segment_fixed_size 0
		.amdhsa_private_segment_fixed_size 0
		.amdhsa_kernarg_size 144
		.amdhsa_user_sgpr_count 6
		.amdhsa_user_sgpr_private_segment_buffer 1
		.amdhsa_user_sgpr_dispatch_ptr 0
		.amdhsa_user_sgpr_queue_ptr 0
		.amdhsa_user_sgpr_kernarg_segment_ptr 1
		.amdhsa_user_sgpr_dispatch_id 0
		.amdhsa_user_sgpr_flat_scratch_init 0
		.amdhsa_user_sgpr_private_segment_size 0
		.amdhsa_wavefront_size32 1
		.amdhsa_uses_dynamic_stack 0
		.amdhsa_system_sgpr_private_segment_wavefront_offset 0
		.amdhsa_system_sgpr_workgroup_id_x 1
		.amdhsa_system_sgpr_workgroup_id_y 1
		.amdhsa_system_sgpr_workgroup_id_z 1
		.amdhsa_system_sgpr_workgroup_info 0
		.amdhsa_system_vgpr_workitem_id 0
		.amdhsa_next_free_vgpr 11
		.amdhsa_next_free_sgpr 28
		.amdhsa_reserve_vcc 1
		.amdhsa_reserve_flat_scratch 0
		.amdhsa_float_round_mode_32 0
		.amdhsa_float_round_mode_16_64 0
		.amdhsa_float_denorm_mode_32 3
		.amdhsa_float_denorm_mode_16_64 3
		.amdhsa_dx10_clamp 1
		.amdhsa_ieee_mode 1
		.amdhsa_fp16_overflow 0
		.amdhsa_workgroup_processor_mode 1
		.amdhsa_memory_ordered 1
		.amdhsa_forward_progress 1
		.amdhsa_shared_vgpr_count 0
		.amdhsa_exception_fp_ieee_invalid_op 0
		.amdhsa_exception_fp_denorm_src 0
		.amdhsa_exception_fp_ieee_div_zero 0
		.amdhsa_exception_fp_ieee_overflow 0
		.amdhsa_exception_fp_ieee_underflow 0
		.amdhsa_exception_fp_ieee_inexact 0
		.amdhsa_exception_int_div_zero 0
	.end_amdhsa_kernel
	.section	.text._ZL13mul_mat_vec_fI14__hip_bfloat16fLi1ELi32ELb0ELb0EEvPKT_PKfPKi31ggml_cuda_mm_fusion_args_devicePfi15HIP_vector_typeIjLj3EEiiiSB_iiiSB_iiii,"axG",@progbits,_ZL13mul_mat_vec_fI14__hip_bfloat16fLi1ELi32ELb0ELb0EEvPKT_PKfPKi31ggml_cuda_mm_fusion_args_devicePfi15HIP_vector_typeIjLj3EEiiiSB_iiiSB_iiii,comdat
.Lfunc_end281:
	.size	_ZL13mul_mat_vec_fI14__hip_bfloat16fLi1ELi32ELb0ELb0EEvPKT_PKfPKi31ggml_cuda_mm_fusion_args_devicePfi15HIP_vector_typeIjLj3EEiiiSB_iiiSB_iiii, .Lfunc_end281-_ZL13mul_mat_vec_fI14__hip_bfloat16fLi1ELi32ELb0ELb0EEvPKT_PKfPKi31ggml_cuda_mm_fusion_args_devicePfi15HIP_vector_typeIjLj3EEiiiSB_iiiSB_iiii
                                        ; -- End function
	.set _ZL13mul_mat_vec_fI14__hip_bfloat16fLi1ELi32ELb0ELb0EEvPKT_PKfPKi31ggml_cuda_mm_fusion_args_devicePfi15HIP_vector_typeIjLj3EEiiiSB_iiiSB_iiii.num_vgpr, 11
	.set _ZL13mul_mat_vec_fI14__hip_bfloat16fLi1ELi32ELb0ELb0EEvPKT_PKfPKi31ggml_cuda_mm_fusion_args_devicePfi15HIP_vector_typeIjLj3EEiiiSB_iiiSB_iiii.num_agpr, 0
	.set _ZL13mul_mat_vec_fI14__hip_bfloat16fLi1ELi32ELb0ELb0EEvPKT_PKfPKi31ggml_cuda_mm_fusion_args_devicePfi15HIP_vector_typeIjLj3EEiiiSB_iiiSB_iiii.numbered_sgpr, 28
	.set _ZL13mul_mat_vec_fI14__hip_bfloat16fLi1ELi32ELb0ELb0EEvPKT_PKfPKi31ggml_cuda_mm_fusion_args_devicePfi15HIP_vector_typeIjLj3EEiiiSB_iiiSB_iiii.num_named_barrier, 0
	.set _ZL13mul_mat_vec_fI14__hip_bfloat16fLi1ELi32ELb0ELb0EEvPKT_PKfPKi31ggml_cuda_mm_fusion_args_devicePfi15HIP_vector_typeIjLj3EEiiiSB_iiiSB_iiii.private_seg_size, 0
	.set _ZL13mul_mat_vec_fI14__hip_bfloat16fLi1ELi32ELb0ELb0EEvPKT_PKfPKi31ggml_cuda_mm_fusion_args_devicePfi15HIP_vector_typeIjLj3EEiiiSB_iiiSB_iiii.uses_vcc, 1
	.set _ZL13mul_mat_vec_fI14__hip_bfloat16fLi1ELi32ELb0ELb0EEvPKT_PKfPKi31ggml_cuda_mm_fusion_args_devicePfi15HIP_vector_typeIjLj3EEiiiSB_iiiSB_iiii.uses_flat_scratch, 0
	.set _ZL13mul_mat_vec_fI14__hip_bfloat16fLi1ELi32ELb0ELb0EEvPKT_PKfPKi31ggml_cuda_mm_fusion_args_devicePfi15HIP_vector_typeIjLj3EEiiiSB_iiiSB_iiii.has_dyn_sized_stack, 0
	.set _ZL13mul_mat_vec_fI14__hip_bfloat16fLi1ELi32ELb0ELb0EEvPKT_PKfPKi31ggml_cuda_mm_fusion_args_devicePfi15HIP_vector_typeIjLj3EEiiiSB_iiiSB_iiii.has_recursion, 0
	.set _ZL13mul_mat_vec_fI14__hip_bfloat16fLi1ELi32ELb0ELb0EEvPKT_PKfPKi31ggml_cuda_mm_fusion_args_devicePfi15HIP_vector_typeIjLj3EEiiiSB_iiiSB_iiii.has_indirect_call, 0
	.section	.AMDGPU.csdata,"",@progbits
; Kernel info:
; codeLenInByte = 824
; TotalNumSgprs: 30
; NumVgprs: 11
; ScratchSize: 0
; MemoryBound: 0
; FloatMode: 240
; IeeeMode: 1
; LDSByteSize: 0 bytes/workgroup (compile time only)
; SGPRBlocks: 0
; VGPRBlocks: 1
; NumSGPRsForWavesPerEU: 30
; NumVGPRsForWavesPerEU: 11
; Occupancy: 16
; WaveLimiterHint : 0
; COMPUTE_PGM_RSRC2:SCRATCH_EN: 0
; COMPUTE_PGM_RSRC2:USER_SGPR: 6
; COMPUTE_PGM_RSRC2:TRAP_HANDLER: 0
; COMPUTE_PGM_RSRC2:TGID_X_EN: 1
; COMPUTE_PGM_RSRC2:TGID_Y_EN: 1
; COMPUTE_PGM_RSRC2:TGID_Z_EN: 1
; COMPUTE_PGM_RSRC2:TIDIG_COMP_CNT: 0
	.section	.text._ZL13mul_mat_vec_fI14__hip_bfloat16fLi1ELi64ELb1ELb0EEvPKT_PKfPKi31ggml_cuda_mm_fusion_args_devicePfi15HIP_vector_typeIjLj3EEiiiSB_iiiSB_iiii,"axG",@progbits,_ZL13mul_mat_vec_fI14__hip_bfloat16fLi1ELi64ELb1ELb0EEvPKT_PKfPKi31ggml_cuda_mm_fusion_args_devicePfi15HIP_vector_typeIjLj3EEiiiSB_iiiSB_iiii,comdat
	.globl	_ZL13mul_mat_vec_fI14__hip_bfloat16fLi1ELi64ELb1ELb0EEvPKT_PKfPKi31ggml_cuda_mm_fusion_args_devicePfi15HIP_vector_typeIjLj3EEiiiSB_iiiSB_iiii ; -- Begin function _ZL13mul_mat_vec_fI14__hip_bfloat16fLi1ELi64ELb1ELb0EEvPKT_PKfPKi31ggml_cuda_mm_fusion_args_devicePfi15HIP_vector_typeIjLj3EEiiiSB_iiiSB_iiii
	.p2align	8
	.type	_ZL13mul_mat_vec_fI14__hip_bfloat16fLi1ELi64ELb1ELb0EEvPKT_PKfPKi31ggml_cuda_mm_fusion_args_devicePfi15HIP_vector_typeIjLj3EEiiiSB_iiiSB_iiii,@function
_ZL13mul_mat_vec_fI14__hip_bfloat16fLi1ELi64ELb1ELb0EEvPKT_PKfPKi31ggml_cuda_mm_fusion_args_devicePfi15HIP_vector_typeIjLj3EEiiiSB_iiiSB_iiii: ; @_ZL13mul_mat_vec_fI14__hip_bfloat16fLi1ELi64ELb1ELb0EEvPKT_PKfPKi31ggml_cuda_mm_fusion_args_devicePfi15HIP_vector_typeIjLj3EEiiiSB_iiiSB_iiii
; %bb.0:
	s_clause 0x3
	s_load_dwordx8 s[12:19], s[4:5], 0x0
	s_load_dwordx4 s[24:27], s[4:5], 0x20
	s_load_dwordx4 s[36:39], s[4:5], 0x40
	;; [unrolled: 1-line block ×3, first 2 shown]
	s_mov_b32 s0, s7
	s_waitcnt lgkmcnt(0)
	s_cmp_eq_u64 s[16:17], 0
	s_cselect_b32 s11, -1, 0
	s_cmp_lg_u64 s[16:17], 0
	s_cselect_b32 s1, -1, 0
	s_and_b32 vcc_lo, exec_lo, s11
	s_cbranch_vccnz .LBB282_2
; %bb.1:
	s_mul_i32 s2, s31, s8
	s_mov_b32 s3, 0
	s_add_i32 s2, s2, s0
	s_lshl_b64 s[20:21], s[2:3], 2
	s_add_u32 s16, s16, s20
	s_addc_u32 s17, s17, s21
	s_load_dword s7, s[16:17], 0x0
	s_load_dword s16, s[4:5], 0x50
	s_waitcnt lgkmcnt(0)
	s_mov_b32 s3, s7
	s_cbranch_execz .LBB282_3
	s_branch .LBB282_4
.LBB282_2:
                                        ; implicit-def: $sgpr7
	s_load_dword s16, s[4:5], 0x50
	s_mov_b32 s3, s7
.LBB282_3:
	s_load_dwordx2 s[2:3], s[4:5], 0x5c
	s_mov_b32 s7, s0
	s_waitcnt lgkmcnt(0)
	s_mul_hi_u32 s2, s2, s0
	s_add_i32 s2, s0, s2
	s_lshr_b32 s3, s2, s3
.LBB282_4:
	s_load_dwordx4 s[20:23], s[4:5], 0x68
	s_andn2_b32 vcc_lo, exec_lo, s1
	s_mov_b32 s17, s0
	s_cbranch_vccnz .LBB282_6
; %bb.5:
	s_mul_hi_u32 s1, s37, s0
	s_add_i32 s1, s0, s1
	s_lshr_b32 s1, s1, s38
	s_mul_i32 s1, s1, s39
	s_sub_i32 s17, s0, s1
.LBB282_6:
	s_load_dword s31, s[4:5], 0x78
	s_cmp_lg_u64 s[24:25], 0
	v_cmp_gt_u32_e64 s2, 32, v0
	v_lshl_add_u32 v8, v0, 2, 0
	s_cselect_b32 s1, -1, 0
	s_cmp_eq_u64 s[24:25], 0
	s_cselect_b32 s9, -1, 0
	s_and_saveexec_b32 s10, s2
	s_cbranch_execz .LBB282_9
; %bb.7:
	v_mov_b32_e32 v1, 0
	s_andn2_b32 vcc_lo, exec_lo, s1
	ds_write_b32 v8, v1
	s_cbranch_vccnz .LBB282_9
; %bb.8:
	ds_write_b32 v8, v1 offset:128
.LBB282_9:
	s_or_b32 exec_lo, exec_lo, s10
	v_mov_b32_e32 v7, 0
	v_mov_b32_e32 v9, 0
	s_and_b32 s11, exec_lo, s11
	s_mov_b32 s10, 0
	s_cselect_b32 s11, s8, 0
	s_mov_b32 s8, exec_lo
	s_waitcnt lgkmcnt(0)
	s_barrier
	buffer_gl0_inv
	v_cmpx_gt_i32_e64 s36, v0
	s_cbranch_execz .LBB282_15
; %bb.10:
	s_mul_hi_u32 s23, s23, s11
	s_mul_i32 s3, s3, s20
	s_add_i32 s23, s11, s23
	s_mul_i32 s16, s16, s6
	s_lshr_b32 s20, s23, s31
	s_ashr_i32 s31, s16, 31
	s_mul_hi_i32 s23, s20, s28
	s_mul_i32 s20, s20, s28
	s_ashr_i32 s28, s3, 31
	s_add_u32 s16, s20, s16
	s_addc_u32 s23, s23, s31
	s_mul_i32 s20, s17, s21
	s_add_u32 s16, s16, s3
	s_addc_u32 s17, s23, s28
	s_ashr_i32 s21, s20, 31
	s_and_b32 s3, s1, exec_lo
	s_cselect_b32 s3, s25, 0
	s_cselect_b32 s23, s24, 0
	;; [unrolled: 1-line block ×4, first 2 shown]
	v_lshlrev_b32_e32 v5, 2, v0
	s_lshl_b64 s[24:25], s[24:25], 1
	v_lshlrev_b32_e32 v3, 3, v0
	s_add_u32 s23, s23, s24
	s_addc_u32 s3, s3, s25
	s_mul_hi_i32 s25, s11, s29
	s_mul_i32 s24, s11, s29
	v_add_co_u32 v1, s23, s23, v5
	s_lshl_b64 s[20:21], s[20:21], 2
	s_lshl_b64 s[24:25], s[24:25], 2
	v_add_co_ci_u32_e64 v2, null, s3, 0, s23
	s_add_u32 s3, s14, s20
	s_addc_u32 s14, s15, s21
	s_add_u32 s3, s3, s24
	s_addc_u32 s14, s14, s25
	v_add_co_u32 v3, s3, s3, v3
	v_add_co_ci_u32_e64 v4, null, s14, 0, s3
	s_lshl_b64 s[14:15], s[16:17], 1
	v_add_co_u32 v3, vcc_lo, v3, 4
	s_add_u32 s3, s12, s14
	s_addc_u32 s12, s13, s15
	v_add_co_u32 v5, s3, s3, v5
	v_mov_b32_e32 v7, 0
	v_add_co_ci_u32_e64 v4, null, 0, v4, vcc_lo
	v_add_co_ci_u32_e64 v6, null, s12, 0, s3
	v_mov_b32_e32 v10, v0
	v_mov_b32_e32 v9, 0
	s_inst_prefetch 0x1
	s_branch .LBB282_12
	.p2align	6
.LBB282_11:                             ;   in Loop: Header=BB282_12 Depth=1
	global_load_dwordx2 v[14:15], v[3:4], off offset:-4
	s_waitcnt vmcnt(1)
	v_lshlrev_b32_e32 v16, 16, v13
	v_add_nc_u32_e32 v10, 64, v10
	v_add_co_u32 v1, vcc_lo, 0x100, v1
	v_and_b32_e32 v13, 0xffff0000, v13
	v_add_co_ci_u32_e64 v2, null, 0, v2, vcc_lo
	v_add_co_u32 v3, vcc_lo, 0x200, v3
	v_add_co_ci_u32_e64 v4, null, 0, v4, vcc_lo
	v_cmp_le_i32_e32 vcc_lo, s36, v10
	v_add_co_u32 v5, s3, 0x100, v5
	v_add_co_ci_u32_e64 v6, null, 0, v6, s3
	s_or_b32 s10, vcc_lo, s10
	s_waitcnt vmcnt(0)
	v_fma_f32 v12, v12, v14, v7
	v_fmac_f32_e32 v9, v14, v16
	v_fmac_f32_e32 v12, v11, v15
	;; [unrolled: 1-line block ×3, first 2 shown]
	v_cndmask_b32_e64 v7, v7, v12, s1
	s_andn2_b32 exec_lo, exec_lo, s10
	s_cbranch_execz .LBB282_14
.LBB282_12:                             ; =>This Inner Loop Header: Depth=1
	global_load_dword v13, v[5:6], off
	v_mov_b32_e32 v11, 0
	v_mov_b32_e32 v12, 0
	s_andn2_b32 vcc_lo, exec_lo, s1
	s_cbranch_vccnz .LBB282_11
; %bb.13:                               ;   in Loop: Header=BB282_12 Depth=1
	global_load_dword v11, v[1:2], off
	s_waitcnt vmcnt(0)
	v_lshlrev_b32_e32 v12, 16, v11
	v_and_b32_e32 v11, 0xffff0000, v11
	s_branch .LBB282_11
.LBB282_14:
	s_inst_prefetch 0x2
	s_or_b32 exec_lo, exec_lo, s10
.LBB282_15:
	s_or_b32 exec_lo, exec_lo, s8
	v_mbcnt_lo_u32_b32 v1, -1, 0
	s_load_dword s10, s[4:5], 0x30
	s_mov_b32 s3, -1
	v_xor_b32_e32 v2, 16, v1
	v_xor_b32_e32 v3, 8, v1
	v_cmp_gt_i32_e32 vcc_lo, 32, v2
	v_cndmask_b32_e32 v2, v1, v2, vcc_lo
	v_cmp_gt_i32_e32 vcc_lo, 32, v3
	v_lshlrev_b32_e32 v2, 2, v2
	v_cndmask_b32_e32 v3, v1, v3, vcc_lo
	ds_bpermute_b32 v4, v2, v9
	v_lshlrev_b32_e32 v3, 2, v3
	s_waitcnt lgkmcnt(0)
	v_add_f32_e32 v5, v9, v4
	v_xor_b32_e32 v4, 4, v1
	ds_bpermute_b32 v6, v3, v5
	v_cmp_gt_i32_e32 vcc_lo, 32, v4
	v_cndmask_b32_e32 v4, v1, v4, vcc_lo
	v_lshlrev_b32_e32 v4, 2, v4
	s_waitcnt lgkmcnt(0)
	v_add_f32_e32 v6, v5, v6
	v_xor_b32_e32 v5, 2, v1
	ds_bpermute_b32 v9, v4, v6
	v_cmp_gt_i32_e32 vcc_lo, 32, v5
	v_cndmask_b32_e32 v5, v1, v5, vcc_lo
	;; [unrolled: 7-line block ×3, first 2 shown]
	s_and_b32 vcc_lo, exec_lo, s9
	v_lshlrev_b32_e32 v6, 2, v1
	s_waitcnt lgkmcnt(0)
	v_add_f32_e32 v1, v9, v10
	v_lshrrev_b32_e32 v10, 5, v0
	ds_bpermute_b32 v9, v6, v1
	s_waitcnt lgkmcnt(0)
	v_add_f32_e32 v1, v1, v9
	v_lshl_add_u32 v9, v10, 2, 0
	s_cbranch_vccz .LBB282_17
; %bb.16:
	s_mov_b32 s3, 0
	ds_write_b32 v9, v1
.LBB282_17:
	s_andn2_b32 vcc_lo, exec_lo, s3
	s_cbranch_vccnz .LBB282_19
; %bb.18:
	ds_bpermute_b32 v10, v2, v7
	s_waitcnt lgkmcnt(0)
	v_add_f32_e32 v7, v7, v10
	ds_bpermute_b32 v10, v3, v7
	s_waitcnt lgkmcnt(0)
	v_add_f32_e32 v7, v7, v10
	ds_bpermute_b32 v10, v4, v7
	s_waitcnt lgkmcnt(0)
	v_add_f32_e32 v7, v7, v10
	ds_bpermute_b32 v10, v5, v7
	s_waitcnt lgkmcnt(0)
	v_add_f32_e32 v7, v7, v10
	ds_bpermute_b32 v10, v6, v7
	s_waitcnt lgkmcnt(0)
	v_add_f32_e32 v7, v7, v10
	ds_write2_b32 v9, v1, v7 offset1:32
.LBB282_19:
	s_waitcnt lgkmcnt(0)
	s_barrier
	buffer_gl0_inv
	s_and_saveexec_b32 s3, s2
	s_cbranch_execz .LBB282_23
; %bb.20:
	ds_read_b32 v1, v8
	s_andn2_b32 vcc_lo, exec_lo, s1
	s_waitcnt lgkmcnt(0)
	ds_bpermute_b32 v9, v2, v1
	s_waitcnt lgkmcnt(0)
	v_add_f32_e32 v1, v1, v9
	ds_bpermute_b32 v9, v3, v1
	s_waitcnt lgkmcnt(0)
	v_add_f32_e32 v1, v1, v9
	;; [unrolled: 3-line block ×4, first 2 shown]
	ds_bpermute_b32 v9, v6, v1
	s_cbranch_vccnz .LBB282_22
; %bb.21:
	ds_read_b32 v7, v8 offset:128
	s_waitcnt lgkmcnt(0)
	ds_bpermute_b32 v2, v2, v7
	s_waitcnt lgkmcnt(0)
	v_add_f32_e32 v2, v7, v2
	ds_bpermute_b32 v3, v3, v2
	s_waitcnt lgkmcnt(0)
	v_add_f32_e32 v2, v2, v3
	;; [unrolled: 3-line block ×5, first 2 shown]
.LBB282_22:
	s_waitcnt lgkmcnt(0)
	v_add_f32_e32 v1, v1, v9
.LBB282_23:
	s_or_b32 exec_lo, exec_lo, s3
	s_barrier
	buffer_gl0_inv
	s_mov_b32 s2, exec_lo
	v_cmpx_eq_u32_e32 0, v0
	s_cbranch_execz .LBB282_47
; %bb.24:
	s_cmp_eq_u64 s[18:19], 0
	s_mul_i32 s8, s7, s22
	s_cselect_b32 s2, -1, 0
	s_ashr_i32 s9, s8, 31
	s_mul_hi_i32 s3, s30, s11
	s_and_b32 vcc_lo, exec_lo, s2
	s_mul_i32 s2, s30, s11
	s_cbranch_vccnz .LBB282_26
; %bb.25:
	s_cselect_b32 s7, 0, s19
	s_cselect_b32 s11, 0, s18
	s_lshl_b64 s[12:13], s[2:3], 2
	s_add_u32 s11, s11, s12
	s_addc_u32 s7, s7, s13
	s_lshl_b64 s[12:13], s[8:9], 2
	s_add_u32 s11, s11, s12
	s_addc_u32 s14, s7, s13
	s_ashr_i32 s7, s6, 31
	s_lshl_b64 s[12:13], s[6:7], 2
	s_add_u32 s12, s11, s12
	s_addc_u32 s13, s14, s13
	s_load_dword s7, s[12:13], 0x0
	s_waitcnt lgkmcnt(0)
	v_add_f32_e32 v1, s7, v1
.LBB282_26:
	s_andn2_b32 vcc_lo, exec_lo, s1
	s_cbranch_vccnz .LBB282_46
; %bb.27:
	s_cmp_lg_u64 s[26:27], 0
	s_cselect_b32 s7, -1, 0
	s_and_b32 s1, s7, s1
	s_andn2_b32 vcc_lo, exec_lo, s1
	s_cbranch_vccnz .LBB282_29
; %bb.28:
	s_and_b32 s1, s7, exec_lo
	s_cselect_b32 s1, s27, 0
	s_cselect_b32 s7, s26, 0
	s_lshl_b64 s[12:13], s[2:3], 2
	s_add_u32 s7, s7, s12
	s_addc_u32 s1, s1, s13
	s_lshl_b64 s[8:9], s[8:9], 2
	s_add_u32 s11, s7, s8
	s_addc_u32 s1, s1, s9
	s_ashr_i32 s7, s6, 31
	s_lshl_b64 s[8:9], s[6:7], 2
	s_add_u32 s8, s11, s8
	s_addc_u32 s9, s1, s9
	s_load_dword s1, s[8:9], 0x0
	s_waitcnt lgkmcnt(0)
	v_add_f32_e32 v7, s1, v7
.LBB282_29:
	s_cmp_lt_i32 s10, 2
	s_cbranch_scc1 .LBB282_34
; %bb.30:
	s_cmp_lt_i32 s10, 3
	s_cbranch_scc1 .LBB282_35
; %bb.31:
	v_mov_b32_e32 v0, v1
	s_cmp_eq_u32 s10, 3
	s_cbranch_scc0 .LBB282_33
; %bb.32:
	v_max_f32_e32 v0, v7, v7
	v_min_f32_e32 v0, 0x40e00000, v0
	v_mul_f32_e32 v2, 0xbfd9db23, v0
	v_mul_f32_e32 v3, 0x3fb8aa3b, v2
	v_cmp_ngt_f32_e32 vcc_lo, 0xc2ce8ed0, v2
	v_fma_f32 v4, 0x3fb8aa3b, v2, -v3
	v_rndne_f32_e32 v5, v3
	v_fmamk_f32 v4, v2, 0x32a5705f, v4
	v_sub_f32_e32 v3, v3, v5
	v_add_f32_e32 v3, v3, v4
	v_cvt_i32_f32_e32 v4, v5
	v_exp_f32_e32 v3, v3
	v_ldexp_f32 v3, v3, v4
	v_cndmask_b32_e32 v3, 0, v3, vcc_lo
	v_cmp_nlt_f32_e32 vcc_lo, 0x42b17218, v2
	v_cndmask_b32_e32 v2, 0x7f800000, v3, vcc_lo
	v_add_f32_e32 v2, 1.0, v2
	v_div_scale_f32 v3, null, v2, v2, v0
	v_div_scale_f32 v6, vcc_lo, v0, v2, v0
	v_rcp_f32_e32 v4, v3
	v_fma_f32 v5, -v3, v4, 1.0
	v_fmac_f32_e32 v4, v5, v4
	v_mul_f32_e32 v5, v6, v4
	v_fma_f32 v8, -v3, v5, v6
	v_fmac_f32_e32 v5, v8, v4
	v_max_f32_e32 v8, v1, v1
	v_fma_f32 v3, -v3, v5, v6
	v_min_f32_e32 v6, 0x40e00000, v8
	v_div_fmas_f32 v3, v3, v4, v5
	v_max_f32_e32 v4, 0xc0e00000, v6
	v_div_fixup_f32 v0, v3, v2, v0
	v_add_f32_e32 v2, 1.0, v4
	v_mul_f32_e32 v0, v2, v0
.LBB282_33:
	s_cbranch_execz .LBB282_36
	s_branch .LBB282_37
.LBB282_34:
                                        ; implicit-def: $vgpr0
	s_branch .LBB282_38
.LBB282_35:
                                        ; implicit-def: $vgpr0
.LBB282_36:
	v_mul_f32_e32 v0, 0xbfb8aa3b, v7
	v_cmp_nlt_f32_e32 vcc_lo, 0x42ce8ed0, v7
	v_rndne_f32_e32 v2, v0
	v_fma_f32 v3, 0xbfb8aa3b, v7, -v0
	v_sub_f32_e32 v0, v0, v2
	v_fmamk_f32 v3, v7, 0xb2a5705f, v3
	v_cvt_i32_f32_e32 v2, v2
	v_add_f32_e32 v0, v0, v3
	v_exp_f32_e32 v0, v0
	v_ldexp_f32 v0, v0, v2
	v_cndmask_b32_e32 v0, 0, v0, vcc_lo
	v_cmp_ngt_f32_e32 vcc_lo, 0xc2b17218, v7
	v_cndmask_b32_e32 v0, 0x7f800000, v0, vcc_lo
	v_add_f32_e32 v0, 1.0, v0
	v_div_scale_f32 v2, null, v0, v0, v7
	v_rcp_f32_e32 v3, v2
	v_fma_f32 v4, -v2, v3, 1.0
	v_fmac_f32_e32 v3, v4, v3
	v_div_scale_f32 v4, vcc_lo, v7, v0, v7
	v_mul_f32_e32 v5, v4, v3
	v_fma_f32 v6, -v2, v5, v4
	v_fmac_f32_e32 v5, v6, v3
	v_fma_f32 v2, -v2, v5, v4
	v_div_fmas_f32 v2, v2, v3, v5
	v_div_fixup_f32 v0, v2, v0, v7
	v_mul_f32_e32 v0, v1, v0
.LBB282_37:
	s_cbranch_execnz .LBB282_45
.LBB282_38:
	s_cmp_eq_u32 s10, 1
	s_cbranch_scc0 .LBB282_44
; %bb.39:
	v_mul_f32_e32 v0, 0x3d372713, v7
	v_mul_f32_e32 v2, 0x3f4c422a, v7
	v_fma_f32 v0, v7, v0, 1.0
	v_mul_f32_e32 v0, v2, v0
                                        ; implicit-def: $vgpr2
	v_cmp_ngt_f32_e64 s1, 0x3f200000, |v0|
	s_and_saveexec_b32 s7, s1
	s_xor_b32 s1, exec_lo, s7
	s_cbranch_execz .LBB282_41
; %bb.40:
	v_add_f32_e64 v2, |v0|, |v0|
	v_mul_f32_e32 v3, 0x3fb8aa3b, v2
	v_cmp_ngt_f32_e32 vcc_lo, 0xc2ce8ed0, v2
	v_rndne_f32_e32 v4, v3
	v_fma_f32 v5, 0x3fb8aa3b, v2, -v3
	v_sub_f32_e32 v3, v3, v4
	v_fmamk_f32 v5, v2, 0x32a5705f, v5
	v_cvt_i32_f32_e32 v4, v4
	v_add_f32_e32 v3, v3, v5
	v_exp_f32_e32 v3, v3
	v_ldexp_f32 v3, v3, v4
	v_cndmask_b32_e32 v3, 0, v3, vcc_lo
	v_cmp_nlt_f32_e32 vcc_lo, 0x42b17218, v2
	v_cndmask_b32_e32 v2, 0x7f800000, v3, vcc_lo
	v_add_f32_e32 v2, 1.0, v2
	v_rcp_f32_e32 v2, v2
	v_fma_f32 v2, v2, -2.0, 1.0
.LBB282_41:
	s_andn2_saveexec_b32 s1, s1
	s_cbranch_execz .LBB282_43
; %bb.42:
	v_mul_f32_e32 v2, v0, v0
	s_mov_b32 s7, 0xbbbac73d
	v_fmaak_f32 v3, s7, v2, 0x3ca908c9
	v_fmaak_f32 v3, v2, v3, 0xbd5c1c4e
	;; [unrolled: 1-line block ×4, first 2 shown]
	v_mul_f32_e64 v3, |v0|, v3
	v_fma_f32 v2, v2, v3, |v0|
.LBB282_43:
	s_or_b32 exec_lo, exec_lo, s1
	v_bfi_b32 v0, 0x7fffffff, v2, v0
	v_mul_f32_e32 v2, 0.5, v7
	v_add_f32_e32 v0, 1.0, v0
	v_mul_f32_e32 v0, v2, v0
	v_mul_f32_e32 v1, v1, v0
.LBB282_44:
	v_mov_b32_e32 v0, v1
.LBB282_45:
	v_mov_b32_e32 v1, v0
.LBB282_46:
	s_load_dwordx2 s[4:5], s[4:5], 0x38
	s_mul_i32 s0, s22, s0
	s_lshl_b64 s[2:3], s[2:3], 2
	s_ashr_i32 s1, s0, 31
	v_mov_b32_e32 v0, 0
	s_waitcnt lgkmcnt(0)
	s_add_u32 s2, s4, s2
	s_addc_u32 s3, s5, s3
	s_lshl_b64 s[0:1], s[0:1], 2
	s_add_u32 s2, s2, s0
	s_addc_u32 s3, s3, s1
	s_ashr_i32 s7, s6, 31
	s_lshl_b64 s[0:1], s[6:7], 2
	s_add_u32 s0, s2, s0
	s_addc_u32 s1, s3, s1
	global_store_dword v0, v1, s[0:1]
.LBB282_47:
	s_endpgm
	.section	.rodata,"a",@progbits
	.p2align	6, 0x0
	.amdhsa_kernel _ZL13mul_mat_vec_fI14__hip_bfloat16fLi1ELi64ELb1ELb0EEvPKT_PKfPKi31ggml_cuda_mm_fusion_args_devicePfi15HIP_vector_typeIjLj3EEiiiSB_iiiSB_iiii
		.amdhsa_group_segment_fixed_size 0
		.amdhsa_private_segment_fixed_size 0
		.amdhsa_kernarg_size 144
		.amdhsa_user_sgpr_count 6
		.amdhsa_user_sgpr_private_segment_buffer 1
		.amdhsa_user_sgpr_dispatch_ptr 0
		.amdhsa_user_sgpr_queue_ptr 0
		.amdhsa_user_sgpr_kernarg_segment_ptr 1
		.amdhsa_user_sgpr_dispatch_id 0
		.amdhsa_user_sgpr_flat_scratch_init 0
		.amdhsa_user_sgpr_private_segment_size 0
		.amdhsa_wavefront_size32 1
		.amdhsa_uses_dynamic_stack 0
		.amdhsa_system_sgpr_private_segment_wavefront_offset 0
		.amdhsa_system_sgpr_workgroup_id_x 1
		.amdhsa_system_sgpr_workgroup_id_y 1
		.amdhsa_system_sgpr_workgroup_id_z 1
		.amdhsa_system_sgpr_workgroup_info 0
		.amdhsa_system_vgpr_workitem_id 0
		.amdhsa_next_free_vgpr 17
		.amdhsa_next_free_sgpr 40
		.amdhsa_reserve_vcc 1
		.amdhsa_reserve_flat_scratch 0
		.amdhsa_float_round_mode_32 0
		.amdhsa_float_round_mode_16_64 0
		.amdhsa_float_denorm_mode_32 3
		.amdhsa_float_denorm_mode_16_64 3
		.amdhsa_dx10_clamp 1
		.amdhsa_ieee_mode 1
		.amdhsa_fp16_overflow 0
		.amdhsa_workgroup_processor_mode 1
		.amdhsa_memory_ordered 1
		.amdhsa_forward_progress 1
		.amdhsa_shared_vgpr_count 0
		.amdhsa_exception_fp_ieee_invalid_op 0
		.amdhsa_exception_fp_denorm_src 0
		.amdhsa_exception_fp_ieee_div_zero 0
		.amdhsa_exception_fp_ieee_overflow 0
		.amdhsa_exception_fp_ieee_underflow 0
		.amdhsa_exception_fp_ieee_inexact 0
		.amdhsa_exception_int_div_zero 0
	.end_amdhsa_kernel
	.section	.text._ZL13mul_mat_vec_fI14__hip_bfloat16fLi1ELi64ELb1ELb0EEvPKT_PKfPKi31ggml_cuda_mm_fusion_args_devicePfi15HIP_vector_typeIjLj3EEiiiSB_iiiSB_iiii,"axG",@progbits,_ZL13mul_mat_vec_fI14__hip_bfloat16fLi1ELi64ELb1ELb0EEvPKT_PKfPKi31ggml_cuda_mm_fusion_args_devicePfi15HIP_vector_typeIjLj3EEiiiSB_iiiSB_iiii,comdat
.Lfunc_end282:
	.size	_ZL13mul_mat_vec_fI14__hip_bfloat16fLi1ELi64ELb1ELb0EEvPKT_PKfPKi31ggml_cuda_mm_fusion_args_devicePfi15HIP_vector_typeIjLj3EEiiiSB_iiiSB_iiii, .Lfunc_end282-_ZL13mul_mat_vec_fI14__hip_bfloat16fLi1ELi64ELb1ELb0EEvPKT_PKfPKi31ggml_cuda_mm_fusion_args_devicePfi15HIP_vector_typeIjLj3EEiiiSB_iiiSB_iiii
                                        ; -- End function
	.set _ZL13mul_mat_vec_fI14__hip_bfloat16fLi1ELi64ELb1ELb0EEvPKT_PKfPKi31ggml_cuda_mm_fusion_args_devicePfi15HIP_vector_typeIjLj3EEiiiSB_iiiSB_iiii.num_vgpr, 17
	.set _ZL13mul_mat_vec_fI14__hip_bfloat16fLi1ELi64ELb1ELb0EEvPKT_PKfPKi31ggml_cuda_mm_fusion_args_devicePfi15HIP_vector_typeIjLj3EEiiiSB_iiiSB_iiii.num_agpr, 0
	.set _ZL13mul_mat_vec_fI14__hip_bfloat16fLi1ELi64ELb1ELb0EEvPKT_PKfPKi31ggml_cuda_mm_fusion_args_devicePfi15HIP_vector_typeIjLj3EEiiiSB_iiiSB_iiii.numbered_sgpr, 40
	.set _ZL13mul_mat_vec_fI14__hip_bfloat16fLi1ELi64ELb1ELb0EEvPKT_PKfPKi31ggml_cuda_mm_fusion_args_devicePfi15HIP_vector_typeIjLj3EEiiiSB_iiiSB_iiii.num_named_barrier, 0
	.set _ZL13mul_mat_vec_fI14__hip_bfloat16fLi1ELi64ELb1ELb0EEvPKT_PKfPKi31ggml_cuda_mm_fusion_args_devicePfi15HIP_vector_typeIjLj3EEiiiSB_iiiSB_iiii.private_seg_size, 0
	.set _ZL13mul_mat_vec_fI14__hip_bfloat16fLi1ELi64ELb1ELb0EEvPKT_PKfPKi31ggml_cuda_mm_fusion_args_devicePfi15HIP_vector_typeIjLj3EEiiiSB_iiiSB_iiii.uses_vcc, 1
	.set _ZL13mul_mat_vec_fI14__hip_bfloat16fLi1ELi64ELb1ELb0EEvPKT_PKfPKi31ggml_cuda_mm_fusion_args_devicePfi15HIP_vector_typeIjLj3EEiiiSB_iiiSB_iiii.uses_flat_scratch, 0
	.set _ZL13mul_mat_vec_fI14__hip_bfloat16fLi1ELi64ELb1ELb0EEvPKT_PKfPKi31ggml_cuda_mm_fusion_args_devicePfi15HIP_vector_typeIjLj3EEiiiSB_iiiSB_iiii.has_dyn_sized_stack, 0
	.set _ZL13mul_mat_vec_fI14__hip_bfloat16fLi1ELi64ELb1ELb0EEvPKT_PKfPKi31ggml_cuda_mm_fusion_args_devicePfi15HIP_vector_typeIjLj3EEiiiSB_iiiSB_iiii.has_recursion, 0
	.set _ZL13mul_mat_vec_fI14__hip_bfloat16fLi1ELi64ELb1ELb0EEvPKT_PKfPKi31ggml_cuda_mm_fusion_args_devicePfi15HIP_vector_typeIjLj3EEiiiSB_iiiSB_iiii.has_indirect_call, 0
	.section	.AMDGPU.csdata,"",@progbits
; Kernel info:
; codeLenInByte = 2288
; TotalNumSgprs: 42
; NumVgprs: 17
; ScratchSize: 0
; MemoryBound: 0
; FloatMode: 240
; IeeeMode: 1
; LDSByteSize: 0 bytes/workgroup (compile time only)
; SGPRBlocks: 0
; VGPRBlocks: 2
; NumSGPRsForWavesPerEU: 42
; NumVGPRsForWavesPerEU: 17
; Occupancy: 16
; WaveLimiterHint : 1
; COMPUTE_PGM_RSRC2:SCRATCH_EN: 0
; COMPUTE_PGM_RSRC2:USER_SGPR: 6
; COMPUTE_PGM_RSRC2:TRAP_HANDLER: 0
; COMPUTE_PGM_RSRC2:TGID_X_EN: 1
; COMPUTE_PGM_RSRC2:TGID_Y_EN: 1
; COMPUTE_PGM_RSRC2:TGID_Z_EN: 1
; COMPUTE_PGM_RSRC2:TIDIG_COMP_CNT: 0
	.section	.text._ZL13mul_mat_vec_fI14__hip_bfloat16fLi1ELi64ELb0ELb0EEvPKT_PKfPKi31ggml_cuda_mm_fusion_args_devicePfi15HIP_vector_typeIjLj3EEiiiSB_iiiSB_iiii,"axG",@progbits,_ZL13mul_mat_vec_fI14__hip_bfloat16fLi1ELi64ELb0ELb0EEvPKT_PKfPKi31ggml_cuda_mm_fusion_args_devicePfi15HIP_vector_typeIjLj3EEiiiSB_iiiSB_iiii,comdat
	.globl	_ZL13mul_mat_vec_fI14__hip_bfloat16fLi1ELi64ELb0ELb0EEvPKT_PKfPKi31ggml_cuda_mm_fusion_args_devicePfi15HIP_vector_typeIjLj3EEiiiSB_iiiSB_iiii ; -- Begin function _ZL13mul_mat_vec_fI14__hip_bfloat16fLi1ELi64ELb0ELb0EEvPKT_PKfPKi31ggml_cuda_mm_fusion_args_devicePfi15HIP_vector_typeIjLj3EEiiiSB_iiiSB_iiii
	.p2align	8
	.type	_ZL13mul_mat_vec_fI14__hip_bfloat16fLi1ELi64ELb0ELb0EEvPKT_PKfPKi31ggml_cuda_mm_fusion_args_devicePfi15HIP_vector_typeIjLj3EEiiiSB_iiiSB_iiii,@function
_ZL13mul_mat_vec_fI14__hip_bfloat16fLi1ELi64ELb0ELb0EEvPKT_PKfPKi31ggml_cuda_mm_fusion_args_devicePfi15HIP_vector_typeIjLj3EEiiiSB_iiiSB_iiii: ; @_ZL13mul_mat_vec_fI14__hip_bfloat16fLi1ELi64ELb0ELb0EEvPKT_PKfPKi31ggml_cuda_mm_fusion_args_devicePfi15HIP_vector_typeIjLj3EEiiiSB_iiiSB_iiii
; %bb.0:
	s_clause 0x2
	s_load_dwordx2 s[2:3], s[4:5], 0x10
	s_load_dwordx4 s[20:23], s[4:5], 0x40
	s_load_dwordx4 s[12:15], s[4:5], 0x80
	s_waitcnt lgkmcnt(0)
	s_cmp_eq_u64 s[2:3], 0
	s_cselect_b32 s9, -1, 0
	s_cmp_lg_u64 s[2:3], 0
	s_cselect_b32 s10, -1, 0
	s_and_b32 vcc_lo, exec_lo, s9
	s_cbranch_vccnz .LBB283_2
; %bb.1:
	s_mul_i32 s0, s15, s8
	s_mov_b32 s1, 0
	s_add_i32 s0, s0, s7
	s_lshl_b64 s[16:17], s[0:1], 2
	s_add_u32 s2, s2, s16
	s_addc_u32 s3, s3, s17
	s_load_dword s24, s[2:3], 0x0
	s_load_dword s25, s[4:5], 0x50
	s_cbranch_execz .LBB283_3
	s_branch .LBB283_4
.LBB283_2:
                                        ; implicit-def: $sgpr24
	s_load_dword s25, s[4:5], 0x50
.LBB283_3:
	s_load_dwordx2 s[0:1], s[4:5], 0x5c
	s_waitcnt lgkmcnt(0)
	s_mul_hi_u32 s0, s0, s7
	s_add_i32 s0, s7, s0
	s_lshr_b32 s24, s0, s1
.LBB283_4:
	s_load_dwordx4 s[16:19], s[4:5], 0x68
	s_andn2_b32 vcc_lo, exec_lo, s10
	s_mov_b32 s26, s7
	s_cbranch_vccnz .LBB283_6
; %bb.5:
	s_mul_hi_u32 s0, s21, s7
	s_add_i32 s0, s7, s0
	s_lshr_b32 s0, s0, s22
	s_mul_i32 s0, s0, s23
	s_sub_i32 s26, s7, s0
.LBB283_6:
	s_load_dword s1, s[4:5], 0x78
	v_cmp_gt_u32_e32 vcc_lo, 32, v0
	v_lshl_add_u32 v5, v0, 2, 0
	s_and_saveexec_b32 s0, vcc_lo
; %bb.7:
	v_mov_b32_e32 v1, 0
	ds_write_b32 v5, v1
; %bb.8:
	s_or_b32 exec_lo, exec_lo, s0
	v_mov_b32_e32 v6, 0
	s_and_b32 s0, exec_lo, s9
	s_mov_b32 s3, 0
	s_cselect_b32 s2, s8, 0
	s_mov_b32 s15, exec_lo
	s_waitcnt lgkmcnt(0)
	s_barrier
	buffer_gl0_inv
	v_cmpx_gt_i32_e64 s20, v0
	s_cbranch_execz .LBB283_12
; %bb.9:
	s_load_dwordx4 s[8:11], s[4:5], 0x0
	s_mul_hi_u32 s0, s19, s2
	s_mul_i32 s16, s24, s16
	s_mul_i32 s24, s26, s17
	;; [unrolled: 1-line block ×3, first 2 shown]
	s_add_i32 s0, s2, s0
	s_ashr_i32 s25, s24, 31
	s_mul_hi_i32 s27, s2, s13
	s_mul_i32 s26, s2, s13
	s_lshr_b32 s19, s0, s1
	s_lshl_b64 s[0:1], s[24:25], 2
	v_lshlrev_b32_e32 v1, 3, v0
	s_ashr_i32 s17, s16, 31
	s_ashr_i32 s23, s22, 31
	s_lshl_b64 s[26:27], s[26:27], 2
	s_mul_hi_i32 s13, s19, s12
	s_mul_i32 s12, s19, s12
	v_lshlrev_b32_e32 v3, 2, v0
	v_mov_b32_e32 v6, 0
	v_mov_b32_e32 v7, v0
	s_waitcnt lgkmcnt(0)
	s_add_u32 s0, s10, s0
	s_addc_u32 s1, s11, s1
	s_add_u32 s0, s0, s26
	s_addc_u32 s1, s1, s27
	v_add_co_u32 v1, s0, s0, v1
	v_add_co_ci_u32_e64 v2, null, s1, 0, s0
	s_lshl_b64 s[10:11], s[12:13], 1
	v_add_co_u32 v1, s0, v1, 4
	v_add_co_ci_u32_e64 v2, null, 0, v2, s0
	s_lshl_b64 s[0:1], s[16:17], 1
	s_lshl_b64 s[12:13], s[22:23], 1
	s_add_u32 s0, s8, s0
	s_addc_u32 s1, s9, s1
	s_add_u32 s0, s0, s12
	s_addc_u32 s1, s1, s13
	;; [unrolled: 2-line block ×3, first 2 shown]
	v_add_co_u32 v3, s0, s0, v3
	v_add_co_ci_u32_e64 v4, null, s1, 0, s0
	.p2align	6
.LBB283_10:                             ; =>This Inner Loop Header: Depth=1
	global_load_dword v10, v[3:4], off
	global_load_dwordx2 v[8:9], v[1:2], off offset:-4
	v_add_nc_u32_e32 v7, 64, v7
	v_add_co_u32 v1, s0, 0x200, v1
	v_add_co_ci_u32_e64 v2, null, 0, v2, s0
	v_add_co_u32 v3, s0, 0x100, v3
	v_cmp_le_i32_e64 s1, s20, v7
	v_add_co_ci_u32_e64 v4, null, 0, v4, s0
	s_or_b32 s3, s1, s3
	s_waitcnt vmcnt(1)
	v_lshlrev_b32_e32 v11, 16, v10
	v_and_b32_e32 v10, 0xffff0000, v10
	s_waitcnt vmcnt(0)
	v_fmac_f32_e32 v6, v8, v11
	v_fmac_f32_e32 v6, v9, v10
	s_andn2_b32 exec_lo, exec_lo, s3
	s_cbranch_execnz .LBB283_10
; %bb.11:
	s_or_b32 exec_lo, exec_lo, s3
.LBB283_12:
	s_or_b32 exec_lo, exec_lo, s15
	v_mbcnt_lo_u32_b32 v2, -1, 0
	v_xor_b32_e32 v1, 16, v2
	v_xor_b32_e32 v3, 8, v2
	v_cmp_gt_i32_e64 s0, 32, v1
	v_cndmask_b32_e64 v1, v2, v1, s0
	v_cmp_gt_i32_e64 s0, 32, v3
	v_lshlrev_b32_e32 v1, 2, v1
	v_cndmask_b32_e64 v3, v2, v3, s0
	ds_bpermute_b32 v4, v1, v6
	v_lshlrev_b32_e32 v3, 2, v3
	s_waitcnt lgkmcnt(0)
	v_add_f32_e32 v6, v6, v4
	v_xor_b32_e32 v4, 4, v2
	ds_bpermute_b32 v7, v3, v6
	v_cmp_gt_i32_e64 s0, 32, v4
	v_cndmask_b32_e64 v4, v2, v4, s0
	v_lshlrev_b32_e32 v4, 2, v4
	s_waitcnt lgkmcnt(0)
	v_add_f32_e32 v7, v6, v7
	v_xor_b32_e32 v6, 2, v2
	ds_bpermute_b32 v8, v4, v7
	v_cmp_gt_i32_e64 s0, 32, v6
	v_cndmask_b32_e64 v6, v2, v6, s0
	v_lshlrev_b32_e32 v6, 2, v6
	s_waitcnt lgkmcnt(0)
	v_add_f32_e32 v8, v7, v8
	v_xor_b32_e32 v7, 1, v2
	ds_bpermute_b32 v9, v6, v8
	v_cmp_gt_i32_e64 s0, 32, v7
	v_cndmask_b32_e64 v2, v2, v7, s0
	v_lshlrev_b32_e32 v7, 2, v2
	s_waitcnt lgkmcnt(0)
	v_add_f32_e32 v2, v8, v9
	v_lshrrev_b32_e32 v9, 3, v0
	ds_bpermute_b32 v8, v7, v2
	v_and_b32_e32 v9, 0x7c, v9
	v_add_nc_u32_e32 v9, 0, v9
	s_waitcnt lgkmcnt(0)
	v_add_f32_e32 v2, v2, v8
	ds_write_b32 v9, v2
	s_waitcnt lgkmcnt(0)
	s_barrier
	buffer_gl0_inv
	s_and_saveexec_b32 s0, vcc_lo
	s_cbranch_execz .LBB283_14
; %bb.13:
	ds_read_b32 v2, v5
	s_waitcnt lgkmcnt(0)
	ds_bpermute_b32 v1, v1, v2
	s_waitcnt lgkmcnt(0)
	v_add_f32_e32 v1, v2, v1
	ds_bpermute_b32 v2, v3, v1
	s_waitcnt lgkmcnt(0)
	v_add_f32_e32 v1, v1, v2
	;; [unrolled: 3-line block ×5, first 2 shown]
.LBB283_14:
	s_or_b32 exec_lo, exec_lo, s0
	s_barrier
	buffer_gl0_inv
	s_mov_b32 s0, exec_lo
	v_cmpx_eq_u32_e32 0, v0
	s_cbranch_execz .LBB283_16
; %bb.15:
	s_load_dwordx2 s[0:1], s[4:5], 0x38
	s_mul_hi_i32 s3, s14, s2
	s_mul_i32 s2, s14, s2
	s_mul_i32 s4, s18, s7
	s_lshl_b64 s[2:3], s[2:3], 2
	s_ashr_i32 s5, s4, 31
	v_mov_b32_e32 v0, 0
	s_waitcnt lgkmcnt(0)
	s_add_u32 s2, s0, s2
	s_addc_u32 s3, s1, s3
	s_lshl_b64 s[0:1], s[4:5], 2
	s_add_u32 s2, s2, s0
	s_addc_u32 s3, s3, s1
	s_ashr_i32 s7, s6, 31
	s_lshl_b64 s[0:1], s[6:7], 2
	s_add_u32 s0, s2, s0
	s_addc_u32 s1, s3, s1
	global_store_dword v0, v2, s[0:1]
.LBB283_16:
	s_endpgm
	.section	.rodata,"a",@progbits
	.p2align	6, 0x0
	.amdhsa_kernel _ZL13mul_mat_vec_fI14__hip_bfloat16fLi1ELi64ELb0ELb0EEvPKT_PKfPKi31ggml_cuda_mm_fusion_args_devicePfi15HIP_vector_typeIjLj3EEiiiSB_iiiSB_iiii
		.amdhsa_group_segment_fixed_size 0
		.amdhsa_private_segment_fixed_size 0
		.amdhsa_kernarg_size 144
		.amdhsa_user_sgpr_count 6
		.amdhsa_user_sgpr_private_segment_buffer 1
		.amdhsa_user_sgpr_dispatch_ptr 0
		.amdhsa_user_sgpr_queue_ptr 0
		.amdhsa_user_sgpr_kernarg_segment_ptr 1
		.amdhsa_user_sgpr_dispatch_id 0
		.amdhsa_user_sgpr_flat_scratch_init 0
		.amdhsa_user_sgpr_private_segment_size 0
		.amdhsa_wavefront_size32 1
		.amdhsa_uses_dynamic_stack 0
		.amdhsa_system_sgpr_private_segment_wavefront_offset 0
		.amdhsa_system_sgpr_workgroup_id_x 1
		.amdhsa_system_sgpr_workgroup_id_y 1
		.amdhsa_system_sgpr_workgroup_id_z 1
		.amdhsa_system_sgpr_workgroup_info 0
		.amdhsa_system_vgpr_workitem_id 0
		.amdhsa_next_free_vgpr 12
		.amdhsa_next_free_sgpr 28
		.amdhsa_reserve_vcc 1
		.amdhsa_reserve_flat_scratch 0
		.amdhsa_float_round_mode_32 0
		.amdhsa_float_round_mode_16_64 0
		.amdhsa_float_denorm_mode_32 3
		.amdhsa_float_denorm_mode_16_64 3
		.amdhsa_dx10_clamp 1
		.amdhsa_ieee_mode 1
		.amdhsa_fp16_overflow 0
		.amdhsa_workgroup_processor_mode 1
		.amdhsa_memory_ordered 1
		.amdhsa_forward_progress 1
		.amdhsa_shared_vgpr_count 0
		.amdhsa_exception_fp_ieee_invalid_op 0
		.amdhsa_exception_fp_denorm_src 0
		.amdhsa_exception_fp_ieee_div_zero 0
		.amdhsa_exception_fp_ieee_overflow 0
		.amdhsa_exception_fp_ieee_underflow 0
		.amdhsa_exception_fp_ieee_inexact 0
		.amdhsa_exception_int_div_zero 0
	.end_amdhsa_kernel
	.section	.text._ZL13mul_mat_vec_fI14__hip_bfloat16fLi1ELi64ELb0ELb0EEvPKT_PKfPKi31ggml_cuda_mm_fusion_args_devicePfi15HIP_vector_typeIjLj3EEiiiSB_iiiSB_iiii,"axG",@progbits,_ZL13mul_mat_vec_fI14__hip_bfloat16fLi1ELi64ELb0ELb0EEvPKT_PKfPKi31ggml_cuda_mm_fusion_args_devicePfi15HIP_vector_typeIjLj3EEiiiSB_iiiSB_iiii,comdat
.Lfunc_end283:
	.size	_ZL13mul_mat_vec_fI14__hip_bfloat16fLi1ELi64ELb0ELb0EEvPKT_PKfPKi31ggml_cuda_mm_fusion_args_devicePfi15HIP_vector_typeIjLj3EEiiiSB_iiiSB_iiii, .Lfunc_end283-_ZL13mul_mat_vec_fI14__hip_bfloat16fLi1ELi64ELb0ELb0EEvPKT_PKfPKi31ggml_cuda_mm_fusion_args_devicePfi15HIP_vector_typeIjLj3EEiiiSB_iiiSB_iiii
                                        ; -- End function
	.set _ZL13mul_mat_vec_fI14__hip_bfloat16fLi1ELi64ELb0ELb0EEvPKT_PKfPKi31ggml_cuda_mm_fusion_args_devicePfi15HIP_vector_typeIjLj3EEiiiSB_iiiSB_iiii.num_vgpr, 12
	.set _ZL13mul_mat_vec_fI14__hip_bfloat16fLi1ELi64ELb0ELb0EEvPKT_PKfPKi31ggml_cuda_mm_fusion_args_devicePfi15HIP_vector_typeIjLj3EEiiiSB_iiiSB_iiii.num_agpr, 0
	.set _ZL13mul_mat_vec_fI14__hip_bfloat16fLi1ELi64ELb0ELb0EEvPKT_PKfPKi31ggml_cuda_mm_fusion_args_devicePfi15HIP_vector_typeIjLj3EEiiiSB_iiiSB_iiii.numbered_sgpr, 28
	.set _ZL13mul_mat_vec_fI14__hip_bfloat16fLi1ELi64ELb0ELb0EEvPKT_PKfPKi31ggml_cuda_mm_fusion_args_devicePfi15HIP_vector_typeIjLj3EEiiiSB_iiiSB_iiii.num_named_barrier, 0
	.set _ZL13mul_mat_vec_fI14__hip_bfloat16fLi1ELi64ELb0ELb0EEvPKT_PKfPKi31ggml_cuda_mm_fusion_args_devicePfi15HIP_vector_typeIjLj3EEiiiSB_iiiSB_iiii.private_seg_size, 0
	.set _ZL13mul_mat_vec_fI14__hip_bfloat16fLi1ELi64ELb0ELb0EEvPKT_PKfPKi31ggml_cuda_mm_fusion_args_devicePfi15HIP_vector_typeIjLj3EEiiiSB_iiiSB_iiii.uses_vcc, 1
	.set _ZL13mul_mat_vec_fI14__hip_bfloat16fLi1ELi64ELb0ELb0EEvPKT_PKfPKi31ggml_cuda_mm_fusion_args_devicePfi15HIP_vector_typeIjLj3EEiiiSB_iiiSB_iiii.uses_flat_scratch, 0
	.set _ZL13mul_mat_vec_fI14__hip_bfloat16fLi1ELi64ELb0ELb0EEvPKT_PKfPKi31ggml_cuda_mm_fusion_args_devicePfi15HIP_vector_typeIjLj3EEiiiSB_iiiSB_iiii.has_dyn_sized_stack, 0
	.set _ZL13mul_mat_vec_fI14__hip_bfloat16fLi1ELi64ELb0ELb0EEvPKT_PKfPKi31ggml_cuda_mm_fusion_args_devicePfi15HIP_vector_typeIjLj3EEiiiSB_iiiSB_iiii.has_recursion, 0
	.set _ZL13mul_mat_vec_fI14__hip_bfloat16fLi1ELi64ELb0ELb0EEvPKT_PKfPKi31ggml_cuda_mm_fusion_args_devicePfi15HIP_vector_typeIjLj3EEiiiSB_iiiSB_iiii.has_indirect_call, 0
	.section	.AMDGPU.csdata,"",@progbits
; Kernel info:
; codeLenInByte = 1088
; TotalNumSgprs: 30
; NumVgprs: 12
; ScratchSize: 0
; MemoryBound: 0
; FloatMode: 240
; IeeeMode: 1
; LDSByteSize: 0 bytes/workgroup (compile time only)
; SGPRBlocks: 0
; VGPRBlocks: 1
; NumSGPRsForWavesPerEU: 30
; NumVGPRsForWavesPerEU: 12
; Occupancy: 16
; WaveLimiterHint : 0
; COMPUTE_PGM_RSRC2:SCRATCH_EN: 0
; COMPUTE_PGM_RSRC2:USER_SGPR: 6
; COMPUTE_PGM_RSRC2:TRAP_HANDLER: 0
; COMPUTE_PGM_RSRC2:TGID_X_EN: 1
; COMPUTE_PGM_RSRC2:TGID_Y_EN: 1
; COMPUTE_PGM_RSRC2:TGID_Z_EN: 1
; COMPUTE_PGM_RSRC2:TIDIG_COMP_CNT: 0
	.section	.text._ZL13mul_mat_vec_fI14__hip_bfloat16fLi1ELi96ELb1ELb0EEvPKT_PKfPKi31ggml_cuda_mm_fusion_args_devicePfi15HIP_vector_typeIjLj3EEiiiSB_iiiSB_iiii,"axG",@progbits,_ZL13mul_mat_vec_fI14__hip_bfloat16fLi1ELi96ELb1ELb0EEvPKT_PKfPKi31ggml_cuda_mm_fusion_args_devicePfi15HIP_vector_typeIjLj3EEiiiSB_iiiSB_iiii,comdat
	.globl	_ZL13mul_mat_vec_fI14__hip_bfloat16fLi1ELi96ELb1ELb0EEvPKT_PKfPKi31ggml_cuda_mm_fusion_args_devicePfi15HIP_vector_typeIjLj3EEiiiSB_iiiSB_iiii ; -- Begin function _ZL13mul_mat_vec_fI14__hip_bfloat16fLi1ELi96ELb1ELb0EEvPKT_PKfPKi31ggml_cuda_mm_fusion_args_devicePfi15HIP_vector_typeIjLj3EEiiiSB_iiiSB_iiii
	.p2align	8
	.type	_ZL13mul_mat_vec_fI14__hip_bfloat16fLi1ELi96ELb1ELb0EEvPKT_PKfPKi31ggml_cuda_mm_fusion_args_devicePfi15HIP_vector_typeIjLj3EEiiiSB_iiiSB_iiii,@function
_ZL13mul_mat_vec_fI14__hip_bfloat16fLi1ELi96ELb1ELb0EEvPKT_PKfPKi31ggml_cuda_mm_fusion_args_devicePfi15HIP_vector_typeIjLj3EEiiiSB_iiiSB_iiii: ; @_ZL13mul_mat_vec_fI14__hip_bfloat16fLi1ELi96ELb1ELb0EEvPKT_PKfPKi31ggml_cuda_mm_fusion_args_devicePfi15HIP_vector_typeIjLj3EEiiiSB_iiiSB_iiii
; %bb.0:
	s_clause 0x3
	s_load_dwordx8 s[12:19], s[4:5], 0x0
	s_load_dwordx4 s[24:27], s[4:5], 0x20
	s_load_dwordx4 s[36:39], s[4:5], 0x40
	;; [unrolled: 1-line block ×3, first 2 shown]
	s_mov_b32 s0, s7
	s_waitcnt lgkmcnt(0)
	s_cmp_eq_u64 s[16:17], 0
	s_cselect_b32 s11, -1, 0
	s_cmp_lg_u64 s[16:17], 0
	s_cselect_b32 s1, -1, 0
	s_and_b32 vcc_lo, exec_lo, s11
	s_cbranch_vccnz .LBB284_2
; %bb.1:
	s_mul_i32 s2, s31, s8
	s_mov_b32 s3, 0
	s_add_i32 s2, s2, s0
	s_lshl_b64 s[20:21], s[2:3], 2
	s_add_u32 s16, s16, s20
	s_addc_u32 s17, s17, s21
	s_load_dword s7, s[16:17], 0x0
	s_load_dword s16, s[4:5], 0x50
	s_waitcnt lgkmcnt(0)
	s_mov_b32 s3, s7
	s_cbranch_execz .LBB284_3
	s_branch .LBB284_4
.LBB284_2:
                                        ; implicit-def: $sgpr7
	s_load_dword s16, s[4:5], 0x50
	s_mov_b32 s3, s7
.LBB284_3:
	s_load_dwordx2 s[2:3], s[4:5], 0x5c
	s_mov_b32 s7, s0
	s_waitcnt lgkmcnt(0)
	s_mul_hi_u32 s2, s2, s0
	s_add_i32 s2, s0, s2
	s_lshr_b32 s3, s2, s3
.LBB284_4:
	s_load_dwordx4 s[20:23], s[4:5], 0x68
	s_andn2_b32 vcc_lo, exec_lo, s1
	s_mov_b32 s17, s0
	s_cbranch_vccnz .LBB284_6
; %bb.5:
	s_mul_hi_u32 s1, s37, s0
	s_add_i32 s1, s0, s1
	s_lshr_b32 s1, s1, s38
	s_mul_i32 s1, s1, s39
	s_sub_i32 s17, s0, s1
.LBB284_6:
	s_load_dword s31, s[4:5], 0x78
	s_cmp_lg_u64 s[24:25], 0
	v_cmp_gt_u32_e64 s2, 32, v0
	v_lshl_add_u32 v8, v0, 2, 0
	s_cselect_b32 s1, -1, 0
	s_cmp_eq_u64 s[24:25], 0
	s_cselect_b32 s9, -1, 0
	s_and_saveexec_b32 s10, s2
	s_cbranch_execz .LBB284_9
; %bb.7:
	v_mov_b32_e32 v1, 0
	s_andn2_b32 vcc_lo, exec_lo, s1
	ds_write_b32 v8, v1
	s_cbranch_vccnz .LBB284_9
; %bb.8:
	ds_write_b32 v8, v1 offset:128
.LBB284_9:
	s_or_b32 exec_lo, exec_lo, s10
	v_mov_b32_e32 v7, 0
	v_mov_b32_e32 v9, 0
	s_and_b32 s11, exec_lo, s11
	s_mov_b32 s10, 0
	s_cselect_b32 s11, s8, 0
	s_mov_b32 s8, exec_lo
	s_waitcnt lgkmcnt(0)
	s_barrier
	buffer_gl0_inv
	v_cmpx_gt_i32_e64 s36, v0
	s_cbranch_execz .LBB284_15
; %bb.10:
	s_mul_hi_u32 s23, s23, s11
	s_mul_i32 s3, s3, s20
	s_add_i32 s23, s11, s23
	s_mul_i32 s16, s16, s6
	s_lshr_b32 s20, s23, s31
	s_ashr_i32 s31, s16, 31
	s_mul_hi_i32 s23, s20, s28
	s_mul_i32 s20, s20, s28
	s_ashr_i32 s28, s3, 31
	s_add_u32 s16, s20, s16
	s_addc_u32 s23, s23, s31
	s_mul_i32 s20, s17, s21
	s_add_u32 s16, s16, s3
	s_addc_u32 s17, s23, s28
	s_ashr_i32 s21, s20, 31
	s_and_b32 s3, s1, exec_lo
	s_cselect_b32 s3, s25, 0
	s_cselect_b32 s23, s24, 0
	;; [unrolled: 1-line block ×4, first 2 shown]
	v_lshlrev_b32_e32 v5, 2, v0
	s_lshl_b64 s[24:25], s[24:25], 1
	v_lshlrev_b32_e32 v3, 3, v0
	s_add_u32 s23, s23, s24
	s_addc_u32 s3, s3, s25
	s_mul_hi_i32 s25, s11, s29
	s_mul_i32 s24, s11, s29
	v_add_co_u32 v1, s23, s23, v5
	s_lshl_b64 s[20:21], s[20:21], 2
	s_lshl_b64 s[24:25], s[24:25], 2
	v_add_co_ci_u32_e64 v2, null, s3, 0, s23
	s_add_u32 s3, s14, s20
	s_addc_u32 s14, s15, s21
	s_add_u32 s3, s3, s24
	s_addc_u32 s14, s14, s25
	v_add_co_u32 v3, s3, s3, v3
	v_add_co_ci_u32_e64 v4, null, s14, 0, s3
	s_lshl_b64 s[14:15], s[16:17], 1
	v_add_co_u32 v3, vcc_lo, v3, 4
	s_add_u32 s3, s12, s14
	s_addc_u32 s12, s13, s15
	v_add_co_u32 v5, s3, s3, v5
	v_mov_b32_e32 v7, 0
	v_add_co_ci_u32_e64 v4, null, 0, v4, vcc_lo
	v_add_co_ci_u32_e64 v6, null, s12, 0, s3
	v_mov_b32_e32 v10, v0
	v_mov_b32_e32 v9, 0
	s_inst_prefetch 0x1
	s_branch .LBB284_12
	.p2align	6
.LBB284_11:                             ;   in Loop: Header=BB284_12 Depth=1
	global_load_dwordx2 v[14:15], v[3:4], off offset:-4
	s_waitcnt vmcnt(1)
	v_lshlrev_b32_e32 v16, 16, v13
	v_add_nc_u32_e32 v10, 0x60, v10
	v_add_co_u32 v1, vcc_lo, 0x180, v1
	v_and_b32_e32 v13, 0xffff0000, v13
	v_add_co_ci_u32_e64 v2, null, 0, v2, vcc_lo
	v_add_co_u32 v3, vcc_lo, 0x300, v3
	v_add_co_ci_u32_e64 v4, null, 0, v4, vcc_lo
	v_cmp_le_i32_e32 vcc_lo, s36, v10
	v_add_co_u32 v5, s3, 0x180, v5
	v_add_co_ci_u32_e64 v6, null, 0, v6, s3
	s_or_b32 s10, vcc_lo, s10
	s_waitcnt vmcnt(0)
	v_fma_f32 v12, v12, v14, v7
	v_fmac_f32_e32 v9, v14, v16
	v_fmac_f32_e32 v12, v11, v15
	;; [unrolled: 1-line block ×3, first 2 shown]
	v_cndmask_b32_e64 v7, v7, v12, s1
	s_andn2_b32 exec_lo, exec_lo, s10
	s_cbranch_execz .LBB284_14
.LBB284_12:                             ; =>This Inner Loop Header: Depth=1
	global_load_dword v13, v[5:6], off
	v_mov_b32_e32 v11, 0
	v_mov_b32_e32 v12, 0
	s_andn2_b32 vcc_lo, exec_lo, s1
	s_cbranch_vccnz .LBB284_11
; %bb.13:                               ;   in Loop: Header=BB284_12 Depth=1
	global_load_dword v11, v[1:2], off
	s_waitcnt vmcnt(0)
	v_lshlrev_b32_e32 v12, 16, v11
	v_and_b32_e32 v11, 0xffff0000, v11
	s_branch .LBB284_11
.LBB284_14:
	s_inst_prefetch 0x2
	s_or_b32 exec_lo, exec_lo, s10
.LBB284_15:
	s_or_b32 exec_lo, exec_lo, s8
	v_mbcnt_lo_u32_b32 v1, -1, 0
	s_load_dword s10, s[4:5], 0x30
	s_mov_b32 s3, -1
	v_xor_b32_e32 v2, 16, v1
	v_xor_b32_e32 v3, 8, v1
	v_cmp_gt_i32_e32 vcc_lo, 32, v2
	v_cndmask_b32_e32 v2, v1, v2, vcc_lo
	v_cmp_gt_i32_e32 vcc_lo, 32, v3
	v_lshlrev_b32_e32 v2, 2, v2
	v_cndmask_b32_e32 v3, v1, v3, vcc_lo
	ds_bpermute_b32 v4, v2, v9
	v_lshlrev_b32_e32 v3, 2, v3
	s_waitcnt lgkmcnt(0)
	v_add_f32_e32 v5, v9, v4
	v_xor_b32_e32 v4, 4, v1
	ds_bpermute_b32 v6, v3, v5
	v_cmp_gt_i32_e32 vcc_lo, 32, v4
	v_cndmask_b32_e32 v4, v1, v4, vcc_lo
	v_lshlrev_b32_e32 v4, 2, v4
	s_waitcnt lgkmcnt(0)
	v_add_f32_e32 v6, v5, v6
	v_xor_b32_e32 v5, 2, v1
	ds_bpermute_b32 v9, v4, v6
	v_cmp_gt_i32_e32 vcc_lo, 32, v5
	v_cndmask_b32_e32 v5, v1, v5, vcc_lo
	;; [unrolled: 7-line block ×3, first 2 shown]
	s_and_b32 vcc_lo, exec_lo, s9
	v_lshlrev_b32_e32 v6, 2, v1
	s_waitcnt lgkmcnt(0)
	v_add_f32_e32 v1, v9, v10
	v_lshrrev_b32_e32 v10, 5, v0
	ds_bpermute_b32 v9, v6, v1
	s_waitcnt lgkmcnt(0)
	v_add_f32_e32 v1, v1, v9
	v_lshl_add_u32 v9, v10, 2, 0
	s_cbranch_vccz .LBB284_17
; %bb.16:
	s_mov_b32 s3, 0
	ds_write_b32 v9, v1
.LBB284_17:
	s_andn2_b32 vcc_lo, exec_lo, s3
	s_cbranch_vccnz .LBB284_19
; %bb.18:
	ds_bpermute_b32 v10, v2, v7
	s_waitcnt lgkmcnt(0)
	v_add_f32_e32 v7, v7, v10
	ds_bpermute_b32 v10, v3, v7
	s_waitcnt lgkmcnt(0)
	v_add_f32_e32 v7, v7, v10
	;; [unrolled: 3-line block ×5, first 2 shown]
	ds_write2_b32 v9, v1, v7 offset1:32
.LBB284_19:
	s_waitcnt lgkmcnt(0)
	s_barrier
	buffer_gl0_inv
	s_and_saveexec_b32 s3, s2
	s_cbranch_execz .LBB284_23
; %bb.20:
	ds_read_b32 v1, v8
	s_andn2_b32 vcc_lo, exec_lo, s1
	s_waitcnt lgkmcnt(0)
	ds_bpermute_b32 v9, v2, v1
	s_waitcnt lgkmcnt(0)
	v_add_f32_e32 v1, v1, v9
	ds_bpermute_b32 v9, v3, v1
	s_waitcnt lgkmcnt(0)
	v_add_f32_e32 v1, v1, v9
	ds_bpermute_b32 v9, v4, v1
	s_waitcnt lgkmcnt(0)
	v_add_f32_e32 v1, v1, v9
	ds_bpermute_b32 v9, v5, v1
	s_waitcnt lgkmcnt(0)
	v_add_f32_e32 v1, v1, v9
	ds_bpermute_b32 v9, v6, v1
	s_cbranch_vccnz .LBB284_22
; %bb.21:
	ds_read_b32 v7, v8 offset:128
	s_waitcnt lgkmcnt(0)
	ds_bpermute_b32 v2, v2, v7
	s_waitcnt lgkmcnt(0)
	v_add_f32_e32 v2, v7, v2
	ds_bpermute_b32 v3, v3, v2
	s_waitcnt lgkmcnt(0)
	v_add_f32_e32 v2, v2, v3
	;; [unrolled: 3-line block ×5, first 2 shown]
.LBB284_22:
	s_waitcnt lgkmcnt(0)
	v_add_f32_e32 v1, v1, v9
.LBB284_23:
	s_or_b32 exec_lo, exec_lo, s3
	s_barrier
	buffer_gl0_inv
	s_mov_b32 s2, exec_lo
	v_cmpx_eq_u32_e32 0, v0
	s_cbranch_execz .LBB284_47
; %bb.24:
	s_cmp_eq_u64 s[18:19], 0
	s_mul_i32 s8, s7, s22
	s_cselect_b32 s2, -1, 0
	s_ashr_i32 s9, s8, 31
	s_mul_hi_i32 s3, s30, s11
	s_and_b32 vcc_lo, exec_lo, s2
	s_mul_i32 s2, s30, s11
	s_cbranch_vccnz .LBB284_26
; %bb.25:
	s_cselect_b32 s7, 0, s19
	s_cselect_b32 s11, 0, s18
	s_lshl_b64 s[12:13], s[2:3], 2
	s_add_u32 s11, s11, s12
	s_addc_u32 s7, s7, s13
	s_lshl_b64 s[12:13], s[8:9], 2
	s_add_u32 s11, s11, s12
	s_addc_u32 s14, s7, s13
	s_ashr_i32 s7, s6, 31
	s_lshl_b64 s[12:13], s[6:7], 2
	s_add_u32 s12, s11, s12
	s_addc_u32 s13, s14, s13
	s_load_dword s7, s[12:13], 0x0
	s_waitcnt lgkmcnt(0)
	v_add_f32_e32 v1, s7, v1
.LBB284_26:
	s_andn2_b32 vcc_lo, exec_lo, s1
	s_cbranch_vccnz .LBB284_46
; %bb.27:
	s_cmp_lg_u64 s[26:27], 0
	s_cselect_b32 s7, -1, 0
	s_and_b32 s1, s7, s1
	s_andn2_b32 vcc_lo, exec_lo, s1
	s_cbranch_vccnz .LBB284_29
; %bb.28:
	s_and_b32 s1, s7, exec_lo
	s_cselect_b32 s1, s27, 0
	s_cselect_b32 s7, s26, 0
	s_lshl_b64 s[12:13], s[2:3], 2
	s_add_u32 s7, s7, s12
	s_addc_u32 s1, s1, s13
	s_lshl_b64 s[8:9], s[8:9], 2
	s_add_u32 s11, s7, s8
	s_addc_u32 s1, s1, s9
	s_ashr_i32 s7, s6, 31
	s_lshl_b64 s[8:9], s[6:7], 2
	s_add_u32 s8, s11, s8
	s_addc_u32 s9, s1, s9
	s_load_dword s1, s[8:9], 0x0
	s_waitcnt lgkmcnt(0)
	v_add_f32_e32 v7, s1, v7
.LBB284_29:
	s_cmp_lt_i32 s10, 2
	s_cbranch_scc1 .LBB284_34
; %bb.30:
	s_cmp_lt_i32 s10, 3
	s_cbranch_scc1 .LBB284_35
; %bb.31:
	v_mov_b32_e32 v0, v1
	s_cmp_eq_u32 s10, 3
	s_cbranch_scc0 .LBB284_33
; %bb.32:
	v_max_f32_e32 v0, v7, v7
	v_min_f32_e32 v0, 0x40e00000, v0
	v_mul_f32_e32 v2, 0xbfd9db23, v0
	v_mul_f32_e32 v3, 0x3fb8aa3b, v2
	v_cmp_ngt_f32_e32 vcc_lo, 0xc2ce8ed0, v2
	v_fma_f32 v4, 0x3fb8aa3b, v2, -v3
	v_rndne_f32_e32 v5, v3
	v_fmamk_f32 v4, v2, 0x32a5705f, v4
	v_sub_f32_e32 v3, v3, v5
	v_add_f32_e32 v3, v3, v4
	v_cvt_i32_f32_e32 v4, v5
	v_exp_f32_e32 v3, v3
	v_ldexp_f32 v3, v3, v4
	v_cndmask_b32_e32 v3, 0, v3, vcc_lo
	v_cmp_nlt_f32_e32 vcc_lo, 0x42b17218, v2
	v_cndmask_b32_e32 v2, 0x7f800000, v3, vcc_lo
	v_add_f32_e32 v2, 1.0, v2
	v_div_scale_f32 v3, null, v2, v2, v0
	v_div_scale_f32 v6, vcc_lo, v0, v2, v0
	v_rcp_f32_e32 v4, v3
	v_fma_f32 v5, -v3, v4, 1.0
	v_fmac_f32_e32 v4, v5, v4
	v_mul_f32_e32 v5, v6, v4
	v_fma_f32 v8, -v3, v5, v6
	v_fmac_f32_e32 v5, v8, v4
	v_max_f32_e32 v8, v1, v1
	v_fma_f32 v3, -v3, v5, v6
	v_min_f32_e32 v6, 0x40e00000, v8
	v_div_fmas_f32 v3, v3, v4, v5
	v_max_f32_e32 v4, 0xc0e00000, v6
	v_div_fixup_f32 v0, v3, v2, v0
	v_add_f32_e32 v2, 1.0, v4
	v_mul_f32_e32 v0, v2, v0
.LBB284_33:
	s_cbranch_execz .LBB284_36
	s_branch .LBB284_37
.LBB284_34:
                                        ; implicit-def: $vgpr0
	s_branch .LBB284_38
.LBB284_35:
                                        ; implicit-def: $vgpr0
.LBB284_36:
	v_mul_f32_e32 v0, 0xbfb8aa3b, v7
	v_cmp_nlt_f32_e32 vcc_lo, 0x42ce8ed0, v7
	v_rndne_f32_e32 v2, v0
	v_fma_f32 v3, 0xbfb8aa3b, v7, -v0
	v_sub_f32_e32 v0, v0, v2
	v_fmamk_f32 v3, v7, 0xb2a5705f, v3
	v_cvt_i32_f32_e32 v2, v2
	v_add_f32_e32 v0, v0, v3
	v_exp_f32_e32 v0, v0
	v_ldexp_f32 v0, v0, v2
	v_cndmask_b32_e32 v0, 0, v0, vcc_lo
	v_cmp_ngt_f32_e32 vcc_lo, 0xc2b17218, v7
	v_cndmask_b32_e32 v0, 0x7f800000, v0, vcc_lo
	v_add_f32_e32 v0, 1.0, v0
	v_div_scale_f32 v2, null, v0, v0, v7
	v_rcp_f32_e32 v3, v2
	v_fma_f32 v4, -v2, v3, 1.0
	v_fmac_f32_e32 v3, v4, v3
	v_div_scale_f32 v4, vcc_lo, v7, v0, v7
	v_mul_f32_e32 v5, v4, v3
	v_fma_f32 v6, -v2, v5, v4
	v_fmac_f32_e32 v5, v6, v3
	v_fma_f32 v2, -v2, v5, v4
	v_div_fmas_f32 v2, v2, v3, v5
	v_div_fixup_f32 v0, v2, v0, v7
	v_mul_f32_e32 v0, v1, v0
.LBB284_37:
	s_cbranch_execnz .LBB284_45
.LBB284_38:
	s_cmp_eq_u32 s10, 1
	s_cbranch_scc0 .LBB284_44
; %bb.39:
	v_mul_f32_e32 v0, 0x3d372713, v7
	v_mul_f32_e32 v2, 0x3f4c422a, v7
	v_fma_f32 v0, v7, v0, 1.0
	v_mul_f32_e32 v0, v2, v0
                                        ; implicit-def: $vgpr2
	v_cmp_ngt_f32_e64 s1, 0x3f200000, |v0|
	s_and_saveexec_b32 s7, s1
	s_xor_b32 s1, exec_lo, s7
	s_cbranch_execz .LBB284_41
; %bb.40:
	v_add_f32_e64 v2, |v0|, |v0|
	v_mul_f32_e32 v3, 0x3fb8aa3b, v2
	v_cmp_ngt_f32_e32 vcc_lo, 0xc2ce8ed0, v2
	v_rndne_f32_e32 v4, v3
	v_fma_f32 v5, 0x3fb8aa3b, v2, -v3
	v_sub_f32_e32 v3, v3, v4
	v_fmamk_f32 v5, v2, 0x32a5705f, v5
	v_cvt_i32_f32_e32 v4, v4
	v_add_f32_e32 v3, v3, v5
	v_exp_f32_e32 v3, v3
	v_ldexp_f32 v3, v3, v4
	v_cndmask_b32_e32 v3, 0, v3, vcc_lo
	v_cmp_nlt_f32_e32 vcc_lo, 0x42b17218, v2
	v_cndmask_b32_e32 v2, 0x7f800000, v3, vcc_lo
	v_add_f32_e32 v2, 1.0, v2
	v_rcp_f32_e32 v2, v2
	v_fma_f32 v2, v2, -2.0, 1.0
.LBB284_41:
	s_andn2_saveexec_b32 s1, s1
	s_cbranch_execz .LBB284_43
; %bb.42:
	v_mul_f32_e32 v2, v0, v0
	s_mov_b32 s7, 0xbbbac73d
	v_fmaak_f32 v3, s7, v2, 0x3ca908c9
	v_fmaak_f32 v3, v2, v3, 0xbd5c1c4e
	;; [unrolled: 1-line block ×4, first 2 shown]
	v_mul_f32_e64 v3, |v0|, v3
	v_fma_f32 v2, v2, v3, |v0|
.LBB284_43:
	s_or_b32 exec_lo, exec_lo, s1
	v_bfi_b32 v0, 0x7fffffff, v2, v0
	v_mul_f32_e32 v2, 0.5, v7
	v_add_f32_e32 v0, 1.0, v0
	v_mul_f32_e32 v0, v2, v0
	v_mul_f32_e32 v1, v1, v0
.LBB284_44:
	v_mov_b32_e32 v0, v1
.LBB284_45:
	v_mov_b32_e32 v1, v0
.LBB284_46:
	s_load_dwordx2 s[4:5], s[4:5], 0x38
	s_mul_i32 s0, s22, s0
	s_lshl_b64 s[2:3], s[2:3], 2
	s_ashr_i32 s1, s0, 31
	v_mov_b32_e32 v0, 0
	s_waitcnt lgkmcnt(0)
	s_add_u32 s2, s4, s2
	s_addc_u32 s3, s5, s3
	s_lshl_b64 s[0:1], s[0:1], 2
	s_add_u32 s2, s2, s0
	s_addc_u32 s3, s3, s1
	s_ashr_i32 s7, s6, 31
	s_lshl_b64 s[0:1], s[6:7], 2
	s_add_u32 s0, s2, s0
	s_addc_u32 s1, s3, s1
	global_store_dword v0, v1, s[0:1]
.LBB284_47:
	s_endpgm
	.section	.rodata,"a",@progbits
	.p2align	6, 0x0
	.amdhsa_kernel _ZL13mul_mat_vec_fI14__hip_bfloat16fLi1ELi96ELb1ELb0EEvPKT_PKfPKi31ggml_cuda_mm_fusion_args_devicePfi15HIP_vector_typeIjLj3EEiiiSB_iiiSB_iiii
		.amdhsa_group_segment_fixed_size 0
		.amdhsa_private_segment_fixed_size 0
		.amdhsa_kernarg_size 144
		.amdhsa_user_sgpr_count 6
		.amdhsa_user_sgpr_private_segment_buffer 1
		.amdhsa_user_sgpr_dispatch_ptr 0
		.amdhsa_user_sgpr_queue_ptr 0
		.amdhsa_user_sgpr_kernarg_segment_ptr 1
		.amdhsa_user_sgpr_dispatch_id 0
		.amdhsa_user_sgpr_flat_scratch_init 0
		.amdhsa_user_sgpr_private_segment_size 0
		.amdhsa_wavefront_size32 1
		.amdhsa_uses_dynamic_stack 0
		.amdhsa_system_sgpr_private_segment_wavefront_offset 0
		.amdhsa_system_sgpr_workgroup_id_x 1
		.amdhsa_system_sgpr_workgroup_id_y 1
		.amdhsa_system_sgpr_workgroup_id_z 1
		.amdhsa_system_sgpr_workgroup_info 0
		.amdhsa_system_vgpr_workitem_id 0
		.amdhsa_next_free_vgpr 17
		.amdhsa_next_free_sgpr 40
		.amdhsa_reserve_vcc 1
		.amdhsa_reserve_flat_scratch 0
		.amdhsa_float_round_mode_32 0
		.amdhsa_float_round_mode_16_64 0
		.amdhsa_float_denorm_mode_32 3
		.amdhsa_float_denorm_mode_16_64 3
		.amdhsa_dx10_clamp 1
		.amdhsa_ieee_mode 1
		.amdhsa_fp16_overflow 0
		.amdhsa_workgroup_processor_mode 1
		.amdhsa_memory_ordered 1
		.amdhsa_forward_progress 1
		.amdhsa_shared_vgpr_count 0
		.amdhsa_exception_fp_ieee_invalid_op 0
		.amdhsa_exception_fp_denorm_src 0
		.amdhsa_exception_fp_ieee_div_zero 0
		.amdhsa_exception_fp_ieee_overflow 0
		.amdhsa_exception_fp_ieee_underflow 0
		.amdhsa_exception_fp_ieee_inexact 0
		.amdhsa_exception_int_div_zero 0
	.end_amdhsa_kernel
	.section	.text._ZL13mul_mat_vec_fI14__hip_bfloat16fLi1ELi96ELb1ELb0EEvPKT_PKfPKi31ggml_cuda_mm_fusion_args_devicePfi15HIP_vector_typeIjLj3EEiiiSB_iiiSB_iiii,"axG",@progbits,_ZL13mul_mat_vec_fI14__hip_bfloat16fLi1ELi96ELb1ELb0EEvPKT_PKfPKi31ggml_cuda_mm_fusion_args_devicePfi15HIP_vector_typeIjLj3EEiiiSB_iiiSB_iiii,comdat
.Lfunc_end284:
	.size	_ZL13mul_mat_vec_fI14__hip_bfloat16fLi1ELi96ELb1ELb0EEvPKT_PKfPKi31ggml_cuda_mm_fusion_args_devicePfi15HIP_vector_typeIjLj3EEiiiSB_iiiSB_iiii, .Lfunc_end284-_ZL13mul_mat_vec_fI14__hip_bfloat16fLi1ELi96ELb1ELb0EEvPKT_PKfPKi31ggml_cuda_mm_fusion_args_devicePfi15HIP_vector_typeIjLj3EEiiiSB_iiiSB_iiii
                                        ; -- End function
	.set _ZL13mul_mat_vec_fI14__hip_bfloat16fLi1ELi96ELb1ELb0EEvPKT_PKfPKi31ggml_cuda_mm_fusion_args_devicePfi15HIP_vector_typeIjLj3EEiiiSB_iiiSB_iiii.num_vgpr, 17
	.set _ZL13mul_mat_vec_fI14__hip_bfloat16fLi1ELi96ELb1ELb0EEvPKT_PKfPKi31ggml_cuda_mm_fusion_args_devicePfi15HIP_vector_typeIjLj3EEiiiSB_iiiSB_iiii.num_agpr, 0
	.set _ZL13mul_mat_vec_fI14__hip_bfloat16fLi1ELi96ELb1ELb0EEvPKT_PKfPKi31ggml_cuda_mm_fusion_args_devicePfi15HIP_vector_typeIjLj3EEiiiSB_iiiSB_iiii.numbered_sgpr, 40
	.set _ZL13mul_mat_vec_fI14__hip_bfloat16fLi1ELi96ELb1ELb0EEvPKT_PKfPKi31ggml_cuda_mm_fusion_args_devicePfi15HIP_vector_typeIjLj3EEiiiSB_iiiSB_iiii.num_named_barrier, 0
	.set _ZL13mul_mat_vec_fI14__hip_bfloat16fLi1ELi96ELb1ELb0EEvPKT_PKfPKi31ggml_cuda_mm_fusion_args_devicePfi15HIP_vector_typeIjLj3EEiiiSB_iiiSB_iiii.private_seg_size, 0
	.set _ZL13mul_mat_vec_fI14__hip_bfloat16fLi1ELi96ELb1ELb0EEvPKT_PKfPKi31ggml_cuda_mm_fusion_args_devicePfi15HIP_vector_typeIjLj3EEiiiSB_iiiSB_iiii.uses_vcc, 1
	.set _ZL13mul_mat_vec_fI14__hip_bfloat16fLi1ELi96ELb1ELb0EEvPKT_PKfPKi31ggml_cuda_mm_fusion_args_devicePfi15HIP_vector_typeIjLj3EEiiiSB_iiiSB_iiii.uses_flat_scratch, 0
	.set _ZL13mul_mat_vec_fI14__hip_bfloat16fLi1ELi96ELb1ELb0EEvPKT_PKfPKi31ggml_cuda_mm_fusion_args_devicePfi15HIP_vector_typeIjLj3EEiiiSB_iiiSB_iiii.has_dyn_sized_stack, 0
	.set _ZL13mul_mat_vec_fI14__hip_bfloat16fLi1ELi96ELb1ELb0EEvPKT_PKfPKi31ggml_cuda_mm_fusion_args_devicePfi15HIP_vector_typeIjLj3EEiiiSB_iiiSB_iiii.has_recursion, 0
	.set _ZL13mul_mat_vec_fI14__hip_bfloat16fLi1ELi96ELb1ELb0EEvPKT_PKfPKi31ggml_cuda_mm_fusion_args_devicePfi15HIP_vector_typeIjLj3EEiiiSB_iiiSB_iiii.has_indirect_call, 0
	.section	.AMDGPU.csdata,"",@progbits
; Kernel info:
; codeLenInByte = 2292
; TotalNumSgprs: 42
; NumVgprs: 17
; ScratchSize: 0
; MemoryBound: 0
; FloatMode: 240
; IeeeMode: 1
; LDSByteSize: 0 bytes/workgroup (compile time only)
; SGPRBlocks: 0
; VGPRBlocks: 2
; NumSGPRsForWavesPerEU: 42
; NumVGPRsForWavesPerEU: 17
; Occupancy: 16
; WaveLimiterHint : 1
; COMPUTE_PGM_RSRC2:SCRATCH_EN: 0
; COMPUTE_PGM_RSRC2:USER_SGPR: 6
; COMPUTE_PGM_RSRC2:TRAP_HANDLER: 0
; COMPUTE_PGM_RSRC2:TGID_X_EN: 1
; COMPUTE_PGM_RSRC2:TGID_Y_EN: 1
; COMPUTE_PGM_RSRC2:TGID_Z_EN: 1
; COMPUTE_PGM_RSRC2:TIDIG_COMP_CNT: 0
	.section	.text._ZL13mul_mat_vec_fI14__hip_bfloat16fLi1ELi96ELb0ELb0EEvPKT_PKfPKi31ggml_cuda_mm_fusion_args_devicePfi15HIP_vector_typeIjLj3EEiiiSB_iiiSB_iiii,"axG",@progbits,_ZL13mul_mat_vec_fI14__hip_bfloat16fLi1ELi96ELb0ELb0EEvPKT_PKfPKi31ggml_cuda_mm_fusion_args_devicePfi15HIP_vector_typeIjLj3EEiiiSB_iiiSB_iiii,comdat
	.globl	_ZL13mul_mat_vec_fI14__hip_bfloat16fLi1ELi96ELb0ELb0EEvPKT_PKfPKi31ggml_cuda_mm_fusion_args_devicePfi15HIP_vector_typeIjLj3EEiiiSB_iiiSB_iiii ; -- Begin function _ZL13mul_mat_vec_fI14__hip_bfloat16fLi1ELi96ELb0ELb0EEvPKT_PKfPKi31ggml_cuda_mm_fusion_args_devicePfi15HIP_vector_typeIjLj3EEiiiSB_iiiSB_iiii
	.p2align	8
	.type	_ZL13mul_mat_vec_fI14__hip_bfloat16fLi1ELi96ELb0ELb0EEvPKT_PKfPKi31ggml_cuda_mm_fusion_args_devicePfi15HIP_vector_typeIjLj3EEiiiSB_iiiSB_iiii,@function
_ZL13mul_mat_vec_fI14__hip_bfloat16fLi1ELi96ELb0ELb0EEvPKT_PKfPKi31ggml_cuda_mm_fusion_args_devicePfi15HIP_vector_typeIjLj3EEiiiSB_iiiSB_iiii: ; @_ZL13mul_mat_vec_fI14__hip_bfloat16fLi1ELi96ELb0ELb0EEvPKT_PKfPKi31ggml_cuda_mm_fusion_args_devicePfi15HIP_vector_typeIjLj3EEiiiSB_iiiSB_iiii
; %bb.0:
	s_clause 0x2
	s_load_dwordx2 s[2:3], s[4:5], 0x10
	s_load_dwordx4 s[20:23], s[4:5], 0x40
	s_load_dwordx4 s[12:15], s[4:5], 0x80
	s_waitcnt lgkmcnt(0)
	s_cmp_eq_u64 s[2:3], 0
	s_cselect_b32 s9, -1, 0
	s_cmp_lg_u64 s[2:3], 0
	s_cselect_b32 s10, -1, 0
	s_and_b32 vcc_lo, exec_lo, s9
	s_cbranch_vccnz .LBB285_2
; %bb.1:
	s_mul_i32 s0, s15, s8
	s_mov_b32 s1, 0
	s_add_i32 s0, s0, s7
	s_lshl_b64 s[16:17], s[0:1], 2
	s_add_u32 s2, s2, s16
	s_addc_u32 s3, s3, s17
	s_load_dword s24, s[2:3], 0x0
	s_load_dword s25, s[4:5], 0x50
	s_cbranch_execz .LBB285_3
	s_branch .LBB285_4
.LBB285_2:
                                        ; implicit-def: $sgpr24
	s_load_dword s25, s[4:5], 0x50
.LBB285_3:
	s_load_dwordx2 s[0:1], s[4:5], 0x5c
	s_waitcnt lgkmcnt(0)
	s_mul_hi_u32 s0, s0, s7
	s_add_i32 s0, s7, s0
	s_lshr_b32 s24, s0, s1
.LBB285_4:
	s_load_dwordx4 s[16:19], s[4:5], 0x68
	s_andn2_b32 vcc_lo, exec_lo, s10
	s_mov_b32 s26, s7
	s_cbranch_vccnz .LBB285_6
; %bb.5:
	s_mul_hi_u32 s0, s21, s7
	s_add_i32 s0, s7, s0
	s_lshr_b32 s0, s0, s22
	s_mul_i32 s0, s0, s23
	s_sub_i32 s26, s7, s0
.LBB285_6:
	s_load_dword s1, s[4:5], 0x78
	v_cmp_gt_u32_e32 vcc_lo, 32, v0
	v_lshl_add_u32 v5, v0, 2, 0
	s_and_saveexec_b32 s0, vcc_lo
; %bb.7:
	v_mov_b32_e32 v1, 0
	ds_write_b32 v5, v1
; %bb.8:
	s_or_b32 exec_lo, exec_lo, s0
	v_mov_b32_e32 v6, 0
	s_and_b32 s0, exec_lo, s9
	s_mov_b32 s3, 0
	s_cselect_b32 s2, s8, 0
	s_mov_b32 s15, exec_lo
	s_waitcnt lgkmcnt(0)
	s_barrier
	buffer_gl0_inv
	v_cmpx_gt_i32_e64 s20, v0
	s_cbranch_execz .LBB285_12
; %bb.9:
	s_load_dwordx4 s[8:11], s[4:5], 0x0
	s_mul_hi_u32 s0, s19, s2
	s_mul_i32 s16, s24, s16
	s_mul_i32 s24, s26, s17
	;; [unrolled: 1-line block ×3, first 2 shown]
	s_add_i32 s0, s2, s0
	s_ashr_i32 s25, s24, 31
	s_mul_hi_i32 s27, s2, s13
	s_mul_i32 s26, s2, s13
	s_lshr_b32 s19, s0, s1
	s_lshl_b64 s[0:1], s[24:25], 2
	v_lshlrev_b32_e32 v1, 3, v0
	s_ashr_i32 s17, s16, 31
	s_ashr_i32 s23, s22, 31
	s_lshl_b64 s[26:27], s[26:27], 2
	s_mul_hi_i32 s13, s19, s12
	s_mul_i32 s12, s19, s12
	v_lshlrev_b32_e32 v3, 2, v0
	v_mov_b32_e32 v6, 0
	v_mov_b32_e32 v7, v0
	s_waitcnt lgkmcnt(0)
	s_add_u32 s0, s10, s0
	s_addc_u32 s1, s11, s1
	s_add_u32 s0, s0, s26
	s_addc_u32 s1, s1, s27
	v_add_co_u32 v1, s0, s0, v1
	v_add_co_ci_u32_e64 v2, null, s1, 0, s0
	s_lshl_b64 s[10:11], s[12:13], 1
	v_add_co_u32 v1, s0, v1, 4
	v_add_co_ci_u32_e64 v2, null, 0, v2, s0
	s_lshl_b64 s[0:1], s[16:17], 1
	s_lshl_b64 s[12:13], s[22:23], 1
	s_add_u32 s0, s8, s0
	s_addc_u32 s1, s9, s1
	s_add_u32 s0, s0, s12
	s_addc_u32 s1, s1, s13
	;; [unrolled: 2-line block ×3, first 2 shown]
	v_add_co_u32 v3, s0, s0, v3
	v_add_co_ci_u32_e64 v4, null, s1, 0, s0
	.p2align	6
.LBB285_10:                             ; =>This Inner Loop Header: Depth=1
	global_load_dword v10, v[3:4], off
	global_load_dwordx2 v[8:9], v[1:2], off offset:-4
	v_add_nc_u32_e32 v7, 0x60, v7
	v_add_co_u32 v1, s0, 0x300, v1
	v_add_co_ci_u32_e64 v2, null, 0, v2, s0
	v_add_co_u32 v3, s0, 0x180, v3
	v_cmp_le_i32_e64 s1, s20, v7
	v_add_co_ci_u32_e64 v4, null, 0, v4, s0
	s_or_b32 s3, s1, s3
	s_waitcnt vmcnt(1)
	v_lshlrev_b32_e32 v11, 16, v10
	v_and_b32_e32 v10, 0xffff0000, v10
	s_waitcnt vmcnt(0)
	v_fmac_f32_e32 v6, v8, v11
	v_fmac_f32_e32 v6, v9, v10
	s_andn2_b32 exec_lo, exec_lo, s3
	s_cbranch_execnz .LBB285_10
; %bb.11:
	s_or_b32 exec_lo, exec_lo, s3
.LBB285_12:
	s_or_b32 exec_lo, exec_lo, s15
	v_mbcnt_lo_u32_b32 v2, -1, 0
	v_xor_b32_e32 v1, 16, v2
	v_xor_b32_e32 v3, 8, v2
	v_cmp_gt_i32_e64 s0, 32, v1
	v_cndmask_b32_e64 v1, v2, v1, s0
	v_cmp_gt_i32_e64 s0, 32, v3
	v_lshlrev_b32_e32 v1, 2, v1
	v_cndmask_b32_e64 v3, v2, v3, s0
	ds_bpermute_b32 v4, v1, v6
	v_lshlrev_b32_e32 v3, 2, v3
	s_waitcnt lgkmcnt(0)
	v_add_f32_e32 v6, v6, v4
	v_xor_b32_e32 v4, 4, v2
	ds_bpermute_b32 v7, v3, v6
	v_cmp_gt_i32_e64 s0, 32, v4
	v_cndmask_b32_e64 v4, v2, v4, s0
	v_lshlrev_b32_e32 v4, 2, v4
	s_waitcnt lgkmcnt(0)
	v_add_f32_e32 v7, v6, v7
	v_xor_b32_e32 v6, 2, v2
	ds_bpermute_b32 v8, v4, v7
	v_cmp_gt_i32_e64 s0, 32, v6
	v_cndmask_b32_e64 v6, v2, v6, s0
	v_lshlrev_b32_e32 v6, 2, v6
	s_waitcnt lgkmcnt(0)
	v_add_f32_e32 v8, v7, v8
	v_xor_b32_e32 v7, 1, v2
	ds_bpermute_b32 v9, v6, v8
	v_cmp_gt_i32_e64 s0, 32, v7
	v_cndmask_b32_e64 v2, v2, v7, s0
	v_lshlrev_b32_e32 v7, 2, v2
	s_waitcnt lgkmcnt(0)
	v_add_f32_e32 v2, v8, v9
	v_lshrrev_b32_e32 v9, 3, v0
	ds_bpermute_b32 v8, v7, v2
	v_and_b32_e32 v9, 0x7c, v9
	v_add_nc_u32_e32 v9, 0, v9
	s_waitcnt lgkmcnt(0)
	v_add_f32_e32 v2, v2, v8
	ds_write_b32 v9, v2
	s_waitcnt lgkmcnt(0)
	s_barrier
	buffer_gl0_inv
	s_and_saveexec_b32 s0, vcc_lo
	s_cbranch_execz .LBB285_14
; %bb.13:
	ds_read_b32 v2, v5
	s_waitcnt lgkmcnt(0)
	ds_bpermute_b32 v1, v1, v2
	s_waitcnt lgkmcnt(0)
	v_add_f32_e32 v1, v2, v1
	ds_bpermute_b32 v2, v3, v1
	s_waitcnt lgkmcnt(0)
	v_add_f32_e32 v1, v1, v2
	ds_bpermute_b32 v2, v4, v1
	s_waitcnt lgkmcnt(0)
	v_add_f32_e32 v1, v1, v2
	ds_bpermute_b32 v2, v6, v1
	s_waitcnt lgkmcnt(0)
	v_add_f32_e32 v1, v1, v2
	ds_bpermute_b32 v2, v7, v1
	s_waitcnt lgkmcnt(0)
	v_add_f32_e32 v2, v1, v2
.LBB285_14:
	s_or_b32 exec_lo, exec_lo, s0
	s_barrier
	buffer_gl0_inv
	s_mov_b32 s0, exec_lo
	v_cmpx_eq_u32_e32 0, v0
	s_cbranch_execz .LBB285_16
; %bb.15:
	s_load_dwordx2 s[0:1], s[4:5], 0x38
	s_mul_hi_i32 s3, s14, s2
	s_mul_i32 s2, s14, s2
	s_mul_i32 s4, s18, s7
	s_lshl_b64 s[2:3], s[2:3], 2
	s_ashr_i32 s5, s4, 31
	v_mov_b32_e32 v0, 0
	s_waitcnt lgkmcnt(0)
	s_add_u32 s2, s0, s2
	s_addc_u32 s3, s1, s3
	s_lshl_b64 s[0:1], s[4:5], 2
	s_add_u32 s2, s2, s0
	s_addc_u32 s3, s3, s1
	s_ashr_i32 s7, s6, 31
	s_lshl_b64 s[0:1], s[6:7], 2
	s_add_u32 s0, s2, s0
	s_addc_u32 s1, s3, s1
	global_store_dword v0, v2, s[0:1]
.LBB285_16:
	s_endpgm
	.section	.rodata,"a",@progbits
	.p2align	6, 0x0
	.amdhsa_kernel _ZL13mul_mat_vec_fI14__hip_bfloat16fLi1ELi96ELb0ELb0EEvPKT_PKfPKi31ggml_cuda_mm_fusion_args_devicePfi15HIP_vector_typeIjLj3EEiiiSB_iiiSB_iiii
		.amdhsa_group_segment_fixed_size 0
		.amdhsa_private_segment_fixed_size 0
		.amdhsa_kernarg_size 144
		.amdhsa_user_sgpr_count 6
		.amdhsa_user_sgpr_private_segment_buffer 1
		.amdhsa_user_sgpr_dispatch_ptr 0
		.amdhsa_user_sgpr_queue_ptr 0
		.amdhsa_user_sgpr_kernarg_segment_ptr 1
		.amdhsa_user_sgpr_dispatch_id 0
		.amdhsa_user_sgpr_flat_scratch_init 0
		.amdhsa_user_sgpr_private_segment_size 0
		.amdhsa_wavefront_size32 1
		.amdhsa_uses_dynamic_stack 0
		.amdhsa_system_sgpr_private_segment_wavefront_offset 0
		.amdhsa_system_sgpr_workgroup_id_x 1
		.amdhsa_system_sgpr_workgroup_id_y 1
		.amdhsa_system_sgpr_workgroup_id_z 1
		.amdhsa_system_sgpr_workgroup_info 0
		.amdhsa_system_vgpr_workitem_id 0
		.amdhsa_next_free_vgpr 12
		.amdhsa_next_free_sgpr 28
		.amdhsa_reserve_vcc 1
		.amdhsa_reserve_flat_scratch 0
		.amdhsa_float_round_mode_32 0
		.amdhsa_float_round_mode_16_64 0
		.amdhsa_float_denorm_mode_32 3
		.amdhsa_float_denorm_mode_16_64 3
		.amdhsa_dx10_clamp 1
		.amdhsa_ieee_mode 1
		.amdhsa_fp16_overflow 0
		.amdhsa_workgroup_processor_mode 1
		.amdhsa_memory_ordered 1
		.amdhsa_forward_progress 1
		.amdhsa_shared_vgpr_count 0
		.amdhsa_exception_fp_ieee_invalid_op 0
		.amdhsa_exception_fp_denorm_src 0
		.amdhsa_exception_fp_ieee_div_zero 0
		.amdhsa_exception_fp_ieee_overflow 0
		.amdhsa_exception_fp_ieee_underflow 0
		.amdhsa_exception_fp_ieee_inexact 0
		.amdhsa_exception_int_div_zero 0
	.end_amdhsa_kernel
	.section	.text._ZL13mul_mat_vec_fI14__hip_bfloat16fLi1ELi96ELb0ELb0EEvPKT_PKfPKi31ggml_cuda_mm_fusion_args_devicePfi15HIP_vector_typeIjLj3EEiiiSB_iiiSB_iiii,"axG",@progbits,_ZL13mul_mat_vec_fI14__hip_bfloat16fLi1ELi96ELb0ELb0EEvPKT_PKfPKi31ggml_cuda_mm_fusion_args_devicePfi15HIP_vector_typeIjLj3EEiiiSB_iiiSB_iiii,comdat
.Lfunc_end285:
	.size	_ZL13mul_mat_vec_fI14__hip_bfloat16fLi1ELi96ELb0ELb0EEvPKT_PKfPKi31ggml_cuda_mm_fusion_args_devicePfi15HIP_vector_typeIjLj3EEiiiSB_iiiSB_iiii, .Lfunc_end285-_ZL13mul_mat_vec_fI14__hip_bfloat16fLi1ELi96ELb0ELb0EEvPKT_PKfPKi31ggml_cuda_mm_fusion_args_devicePfi15HIP_vector_typeIjLj3EEiiiSB_iiiSB_iiii
                                        ; -- End function
	.set _ZL13mul_mat_vec_fI14__hip_bfloat16fLi1ELi96ELb0ELb0EEvPKT_PKfPKi31ggml_cuda_mm_fusion_args_devicePfi15HIP_vector_typeIjLj3EEiiiSB_iiiSB_iiii.num_vgpr, 12
	.set _ZL13mul_mat_vec_fI14__hip_bfloat16fLi1ELi96ELb0ELb0EEvPKT_PKfPKi31ggml_cuda_mm_fusion_args_devicePfi15HIP_vector_typeIjLj3EEiiiSB_iiiSB_iiii.num_agpr, 0
	.set _ZL13mul_mat_vec_fI14__hip_bfloat16fLi1ELi96ELb0ELb0EEvPKT_PKfPKi31ggml_cuda_mm_fusion_args_devicePfi15HIP_vector_typeIjLj3EEiiiSB_iiiSB_iiii.numbered_sgpr, 28
	.set _ZL13mul_mat_vec_fI14__hip_bfloat16fLi1ELi96ELb0ELb0EEvPKT_PKfPKi31ggml_cuda_mm_fusion_args_devicePfi15HIP_vector_typeIjLj3EEiiiSB_iiiSB_iiii.num_named_barrier, 0
	.set _ZL13mul_mat_vec_fI14__hip_bfloat16fLi1ELi96ELb0ELb0EEvPKT_PKfPKi31ggml_cuda_mm_fusion_args_devicePfi15HIP_vector_typeIjLj3EEiiiSB_iiiSB_iiii.private_seg_size, 0
	.set _ZL13mul_mat_vec_fI14__hip_bfloat16fLi1ELi96ELb0ELb0EEvPKT_PKfPKi31ggml_cuda_mm_fusion_args_devicePfi15HIP_vector_typeIjLj3EEiiiSB_iiiSB_iiii.uses_vcc, 1
	.set _ZL13mul_mat_vec_fI14__hip_bfloat16fLi1ELi96ELb0ELb0EEvPKT_PKfPKi31ggml_cuda_mm_fusion_args_devicePfi15HIP_vector_typeIjLj3EEiiiSB_iiiSB_iiii.uses_flat_scratch, 0
	.set _ZL13mul_mat_vec_fI14__hip_bfloat16fLi1ELi96ELb0ELb0EEvPKT_PKfPKi31ggml_cuda_mm_fusion_args_devicePfi15HIP_vector_typeIjLj3EEiiiSB_iiiSB_iiii.has_dyn_sized_stack, 0
	.set _ZL13mul_mat_vec_fI14__hip_bfloat16fLi1ELi96ELb0ELb0EEvPKT_PKfPKi31ggml_cuda_mm_fusion_args_devicePfi15HIP_vector_typeIjLj3EEiiiSB_iiiSB_iiii.has_recursion, 0
	.set _ZL13mul_mat_vec_fI14__hip_bfloat16fLi1ELi96ELb0ELb0EEvPKT_PKfPKi31ggml_cuda_mm_fusion_args_devicePfi15HIP_vector_typeIjLj3EEiiiSB_iiiSB_iiii.has_indirect_call, 0
	.section	.AMDGPU.csdata,"",@progbits
; Kernel info:
; codeLenInByte = 1092
; TotalNumSgprs: 30
; NumVgprs: 12
; ScratchSize: 0
; MemoryBound: 0
; FloatMode: 240
; IeeeMode: 1
; LDSByteSize: 0 bytes/workgroup (compile time only)
; SGPRBlocks: 0
; VGPRBlocks: 1
; NumSGPRsForWavesPerEU: 30
; NumVGPRsForWavesPerEU: 12
; Occupancy: 16
; WaveLimiterHint : 0
; COMPUTE_PGM_RSRC2:SCRATCH_EN: 0
; COMPUTE_PGM_RSRC2:USER_SGPR: 6
; COMPUTE_PGM_RSRC2:TRAP_HANDLER: 0
; COMPUTE_PGM_RSRC2:TGID_X_EN: 1
; COMPUTE_PGM_RSRC2:TGID_Y_EN: 1
; COMPUTE_PGM_RSRC2:TGID_Z_EN: 1
; COMPUTE_PGM_RSRC2:TIDIG_COMP_CNT: 0
	.section	.text._ZL13mul_mat_vec_fI14__hip_bfloat16fLi1ELi128ELb1ELb0EEvPKT_PKfPKi31ggml_cuda_mm_fusion_args_devicePfi15HIP_vector_typeIjLj3EEiiiSB_iiiSB_iiii,"axG",@progbits,_ZL13mul_mat_vec_fI14__hip_bfloat16fLi1ELi128ELb1ELb0EEvPKT_PKfPKi31ggml_cuda_mm_fusion_args_devicePfi15HIP_vector_typeIjLj3EEiiiSB_iiiSB_iiii,comdat
	.globl	_ZL13mul_mat_vec_fI14__hip_bfloat16fLi1ELi128ELb1ELb0EEvPKT_PKfPKi31ggml_cuda_mm_fusion_args_devicePfi15HIP_vector_typeIjLj3EEiiiSB_iiiSB_iiii ; -- Begin function _ZL13mul_mat_vec_fI14__hip_bfloat16fLi1ELi128ELb1ELb0EEvPKT_PKfPKi31ggml_cuda_mm_fusion_args_devicePfi15HIP_vector_typeIjLj3EEiiiSB_iiiSB_iiii
	.p2align	8
	.type	_ZL13mul_mat_vec_fI14__hip_bfloat16fLi1ELi128ELb1ELb0EEvPKT_PKfPKi31ggml_cuda_mm_fusion_args_devicePfi15HIP_vector_typeIjLj3EEiiiSB_iiiSB_iiii,@function
_ZL13mul_mat_vec_fI14__hip_bfloat16fLi1ELi128ELb1ELb0EEvPKT_PKfPKi31ggml_cuda_mm_fusion_args_devicePfi15HIP_vector_typeIjLj3EEiiiSB_iiiSB_iiii: ; @_ZL13mul_mat_vec_fI14__hip_bfloat16fLi1ELi128ELb1ELb0EEvPKT_PKfPKi31ggml_cuda_mm_fusion_args_devicePfi15HIP_vector_typeIjLj3EEiiiSB_iiiSB_iiii
; %bb.0:
	s_clause 0x3
	s_load_dwordx8 s[12:19], s[4:5], 0x0
	s_load_dwordx4 s[24:27], s[4:5], 0x20
	s_load_dwordx4 s[36:39], s[4:5], 0x40
	s_load_dwordx4 s[28:31], s[4:5], 0x80
	s_mov_b32 s0, s7
	s_waitcnt lgkmcnt(0)
	s_cmp_eq_u64 s[16:17], 0
	s_cselect_b32 s11, -1, 0
	s_cmp_lg_u64 s[16:17], 0
	s_cselect_b32 s1, -1, 0
	s_and_b32 vcc_lo, exec_lo, s11
	s_cbranch_vccnz .LBB286_2
; %bb.1:
	s_mul_i32 s2, s31, s8
	s_mov_b32 s3, 0
	s_add_i32 s2, s2, s0
	s_lshl_b64 s[20:21], s[2:3], 2
	s_add_u32 s16, s16, s20
	s_addc_u32 s17, s17, s21
	s_load_dword s7, s[16:17], 0x0
	s_load_dword s16, s[4:5], 0x50
	s_waitcnt lgkmcnt(0)
	s_mov_b32 s3, s7
	s_cbranch_execz .LBB286_3
	s_branch .LBB286_4
.LBB286_2:
                                        ; implicit-def: $sgpr7
	s_load_dword s16, s[4:5], 0x50
	s_mov_b32 s3, s7
.LBB286_3:
	s_load_dwordx2 s[2:3], s[4:5], 0x5c
	s_mov_b32 s7, s0
	s_waitcnt lgkmcnt(0)
	s_mul_hi_u32 s2, s2, s0
	s_add_i32 s2, s0, s2
	s_lshr_b32 s3, s2, s3
.LBB286_4:
	s_load_dwordx4 s[20:23], s[4:5], 0x68
	s_andn2_b32 vcc_lo, exec_lo, s1
	s_mov_b32 s17, s0
	s_cbranch_vccnz .LBB286_6
; %bb.5:
	s_mul_hi_u32 s1, s37, s0
	s_add_i32 s1, s0, s1
	s_lshr_b32 s1, s1, s38
	s_mul_i32 s1, s1, s39
	s_sub_i32 s17, s0, s1
.LBB286_6:
	s_load_dword s31, s[4:5], 0x78
	s_cmp_lg_u64 s[24:25], 0
	v_cmp_gt_u32_e64 s2, 32, v0
	v_lshl_add_u32 v8, v0, 2, 0
	s_cselect_b32 s1, -1, 0
	s_cmp_eq_u64 s[24:25], 0
	s_cselect_b32 s9, -1, 0
	s_and_saveexec_b32 s10, s2
	s_cbranch_execz .LBB286_9
; %bb.7:
	v_mov_b32_e32 v1, 0
	s_andn2_b32 vcc_lo, exec_lo, s1
	ds_write_b32 v8, v1
	s_cbranch_vccnz .LBB286_9
; %bb.8:
	ds_write_b32 v8, v1 offset:128
.LBB286_9:
	s_or_b32 exec_lo, exec_lo, s10
	v_mov_b32_e32 v7, 0
	v_mov_b32_e32 v9, 0
	s_and_b32 s11, exec_lo, s11
	s_mov_b32 s10, 0
	s_cselect_b32 s11, s8, 0
	s_mov_b32 s8, exec_lo
	s_waitcnt lgkmcnt(0)
	s_barrier
	buffer_gl0_inv
	v_cmpx_gt_i32_e64 s36, v0
	s_cbranch_execz .LBB286_15
; %bb.10:
	s_mul_hi_u32 s23, s23, s11
	s_mul_i32 s3, s3, s20
	s_add_i32 s23, s11, s23
	s_mul_i32 s16, s16, s6
	s_lshr_b32 s20, s23, s31
	s_ashr_i32 s31, s16, 31
	s_mul_hi_i32 s23, s20, s28
	s_mul_i32 s20, s20, s28
	s_ashr_i32 s28, s3, 31
	s_add_u32 s16, s20, s16
	s_addc_u32 s23, s23, s31
	s_mul_i32 s20, s17, s21
	s_add_u32 s16, s16, s3
	s_addc_u32 s17, s23, s28
	s_ashr_i32 s21, s20, 31
	s_and_b32 s3, s1, exec_lo
	s_cselect_b32 s3, s25, 0
	s_cselect_b32 s23, s24, 0
	;; [unrolled: 1-line block ×4, first 2 shown]
	v_lshlrev_b32_e32 v5, 2, v0
	s_lshl_b64 s[24:25], s[24:25], 1
	v_lshlrev_b32_e32 v3, 3, v0
	s_add_u32 s23, s23, s24
	s_addc_u32 s3, s3, s25
	s_mul_hi_i32 s25, s11, s29
	s_mul_i32 s24, s11, s29
	v_add_co_u32 v1, s23, s23, v5
	s_lshl_b64 s[20:21], s[20:21], 2
	s_lshl_b64 s[24:25], s[24:25], 2
	v_add_co_ci_u32_e64 v2, null, s3, 0, s23
	s_add_u32 s3, s14, s20
	s_addc_u32 s14, s15, s21
	s_add_u32 s3, s3, s24
	s_addc_u32 s14, s14, s25
	v_add_co_u32 v3, s3, s3, v3
	v_add_co_ci_u32_e64 v4, null, s14, 0, s3
	s_lshl_b64 s[14:15], s[16:17], 1
	v_add_co_u32 v3, vcc_lo, v3, 4
	s_add_u32 s3, s12, s14
	s_addc_u32 s12, s13, s15
	v_add_co_u32 v5, s3, s3, v5
	v_mov_b32_e32 v7, 0
	v_add_co_ci_u32_e64 v4, null, 0, v4, vcc_lo
	v_add_co_ci_u32_e64 v6, null, s12, 0, s3
	v_mov_b32_e32 v10, v0
	v_mov_b32_e32 v9, 0
	s_inst_prefetch 0x1
	s_branch .LBB286_12
	.p2align	6
.LBB286_11:                             ;   in Loop: Header=BB286_12 Depth=1
	global_load_dwordx2 v[14:15], v[3:4], off offset:-4
	s_waitcnt vmcnt(1)
	v_lshlrev_b32_e32 v16, 16, v13
	v_add_nc_u32_e32 v10, 0x80, v10
	v_add_co_u32 v1, vcc_lo, 0x200, v1
	v_and_b32_e32 v13, 0xffff0000, v13
	v_add_co_ci_u32_e64 v2, null, 0, v2, vcc_lo
	v_add_co_u32 v3, vcc_lo, 0x400, v3
	v_add_co_ci_u32_e64 v4, null, 0, v4, vcc_lo
	v_cmp_le_i32_e32 vcc_lo, s36, v10
	v_add_co_u32 v5, s3, 0x200, v5
	v_add_co_ci_u32_e64 v6, null, 0, v6, s3
	s_or_b32 s10, vcc_lo, s10
	s_waitcnt vmcnt(0)
	v_fma_f32 v12, v12, v14, v7
	v_fmac_f32_e32 v9, v14, v16
	v_fmac_f32_e32 v12, v11, v15
	;; [unrolled: 1-line block ×3, first 2 shown]
	v_cndmask_b32_e64 v7, v7, v12, s1
	s_andn2_b32 exec_lo, exec_lo, s10
	s_cbranch_execz .LBB286_14
.LBB286_12:                             ; =>This Inner Loop Header: Depth=1
	global_load_dword v13, v[5:6], off
	v_mov_b32_e32 v11, 0
	v_mov_b32_e32 v12, 0
	s_andn2_b32 vcc_lo, exec_lo, s1
	s_cbranch_vccnz .LBB286_11
; %bb.13:                               ;   in Loop: Header=BB286_12 Depth=1
	global_load_dword v11, v[1:2], off
	s_waitcnt vmcnt(0)
	v_lshlrev_b32_e32 v12, 16, v11
	v_and_b32_e32 v11, 0xffff0000, v11
	s_branch .LBB286_11
.LBB286_14:
	s_inst_prefetch 0x2
	s_or_b32 exec_lo, exec_lo, s10
.LBB286_15:
	s_or_b32 exec_lo, exec_lo, s8
	v_mbcnt_lo_u32_b32 v1, -1, 0
	s_load_dword s10, s[4:5], 0x30
	s_mov_b32 s3, -1
	v_xor_b32_e32 v2, 16, v1
	v_xor_b32_e32 v3, 8, v1
	v_cmp_gt_i32_e32 vcc_lo, 32, v2
	v_cndmask_b32_e32 v2, v1, v2, vcc_lo
	v_cmp_gt_i32_e32 vcc_lo, 32, v3
	v_lshlrev_b32_e32 v2, 2, v2
	v_cndmask_b32_e32 v3, v1, v3, vcc_lo
	ds_bpermute_b32 v4, v2, v9
	v_lshlrev_b32_e32 v3, 2, v3
	s_waitcnt lgkmcnt(0)
	v_add_f32_e32 v5, v9, v4
	v_xor_b32_e32 v4, 4, v1
	ds_bpermute_b32 v6, v3, v5
	v_cmp_gt_i32_e32 vcc_lo, 32, v4
	v_cndmask_b32_e32 v4, v1, v4, vcc_lo
	v_lshlrev_b32_e32 v4, 2, v4
	s_waitcnt lgkmcnt(0)
	v_add_f32_e32 v6, v5, v6
	v_xor_b32_e32 v5, 2, v1
	ds_bpermute_b32 v9, v4, v6
	v_cmp_gt_i32_e32 vcc_lo, 32, v5
	v_cndmask_b32_e32 v5, v1, v5, vcc_lo
	;; [unrolled: 7-line block ×3, first 2 shown]
	s_and_b32 vcc_lo, exec_lo, s9
	v_lshlrev_b32_e32 v6, 2, v1
	s_waitcnt lgkmcnt(0)
	v_add_f32_e32 v1, v9, v10
	v_lshrrev_b32_e32 v10, 5, v0
	ds_bpermute_b32 v9, v6, v1
	s_waitcnt lgkmcnt(0)
	v_add_f32_e32 v1, v1, v9
	v_lshl_add_u32 v9, v10, 2, 0
	s_cbranch_vccz .LBB286_17
; %bb.16:
	s_mov_b32 s3, 0
	ds_write_b32 v9, v1
.LBB286_17:
	s_andn2_b32 vcc_lo, exec_lo, s3
	s_cbranch_vccnz .LBB286_19
; %bb.18:
	ds_bpermute_b32 v10, v2, v7
	s_waitcnt lgkmcnt(0)
	v_add_f32_e32 v7, v7, v10
	ds_bpermute_b32 v10, v3, v7
	s_waitcnt lgkmcnt(0)
	v_add_f32_e32 v7, v7, v10
	;; [unrolled: 3-line block ×5, first 2 shown]
	ds_write2_b32 v9, v1, v7 offset1:32
.LBB286_19:
	s_waitcnt lgkmcnt(0)
	s_barrier
	buffer_gl0_inv
	s_and_saveexec_b32 s3, s2
	s_cbranch_execz .LBB286_23
; %bb.20:
	ds_read_b32 v1, v8
	s_andn2_b32 vcc_lo, exec_lo, s1
	s_waitcnt lgkmcnt(0)
	ds_bpermute_b32 v9, v2, v1
	s_waitcnt lgkmcnt(0)
	v_add_f32_e32 v1, v1, v9
	ds_bpermute_b32 v9, v3, v1
	s_waitcnt lgkmcnt(0)
	v_add_f32_e32 v1, v1, v9
	;; [unrolled: 3-line block ×4, first 2 shown]
	ds_bpermute_b32 v9, v6, v1
	s_cbranch_vccnz .LBB286_22
; %bb.21:
	ds_read_b32 v7, v8 offset:128
	s_waitcnt lgkmcnt(0)
	ds_bpermute_b32 v2, v2, v7
	s_waitcnt lgkmcnt(0)
	v_add_f32_e32 v2, v7, v2
	ds_bpermute_b32 v3, v3, v2
	s_waitcnt lgkmcnt(0)
	v_add_f32_e32 v2, v2, v3
	;; [unrolled: 3-line block ×5, first 2 shown]
.LBB286_22:
	s_waitcnt lgkmcnt(0)
	v_add_f32_e32 v1, v1, v9
.LBB286_23:
	s_or_b32 exec_lo, exec_lo, s3
	s_barrier
	buffer_gl0_inv
	s_mov_b32 s2, exec_lo
	v_cmpx_eq_u32_e32 0, v0
	s_cbranch_execz .LBB286_47
; %bb.24:
	s_cmp_eq_u64 s[18:19], 0
	s_mul_i32 s8, s7, s22
	s_cselect_b32 s2, -1, 0
	s_ashr_i32 s9, s8, 31
	s_mul_hi_i32 s3, s30, s11
	s_and_b32 vcc_lo, exec_lo, s2
	s_mul_i32 s2, s30, s11
	s_cbranch_vccnz .LBB286_26
; %bb.25:
	s_cselect_b32 s7, 0, s19
	s_cselect_b32 s11, 0, s18
	s_lshl_b64 s[12:13], s[2:3], 2
	s_add_u32 s11, s11, s12
	s_addc_u32 s7, s7, s13
	s_lshl_b64 s[12:13], s[8:9], 2
	s_add_u32 s11, s11, s12
	s_addc_u32 s14, s7, s13
	s_ashr_i32 s7, s6, 31
	s_lshl_b64 s[12:13], s[6:7], 2
	s_add_u32 s12, s11, s12
	s_addc_u32 s13, s14, s13
	s_load_dword s7, s[12:13], 0x0
	s_waitcnt lgkmcnt(0)
	v_add_f32_e32 v1, s7, v1
.LBB286_26:
	s_andn2_b32 vcc_lo, exec_lo, s1
	s_cbranch_vccnz .LBB286_46
; %bb.27:
	s_cmp_lg_u64 s[26:27], 0
	s_cselect_b32 s7, -1, 0
	s_and_b32 s1, s7, s1
	s_andn2_b32 vcc_lo, exec_lo, s1
	s_cbranch_vccnz .LBB286_29
; %bb.28:
	s_and_b32 s1, s7, exec_lo
	s_cselect_b32 s1, s27, 0
	s_cselect_b32 s7, s26, 0
	s_lshl_b64 s[12:13], s[2:3], 2
	s_add_u32 s7, s7, s12
	s_addc_u32 s1, s1, s13
	s_lshl_b64 s[8:9], s[8:9], 2
	s_add_u32 s11, s7, s8
	s_addc_u32 s1, s1, s9
	s_ashr_i32 s7, s6, 31
	s_lshl_b64 s[8:9], s[6:7], 2
	s_add_u32 s8, s11, s8
	s_addc_u32 s9, s1, s9
	s_load_dword s1, s[8:9], 0x0
	s_waitcnt lgkmcnt(0)
	v_add_f32_e32 v7, s1, v7
.LBB286_29:
	s_cmp_lt_i32 s10, 2
	s_cbranch_scc1 .LBB286_34
; %bb.30:
	s_cmp_lt_i32 s10, 3
	s_cbranch_scc1 .LBB286_35
; %bb.31:
	v_mov_b32_e32 v0, v1
	s_cmp_eq_u32 s10, 3
	s_cbranch_scc0 .LBB286_33
; %bb.32:
	v_max_f32_e32 v0, v7, v7
	v_min_f32_e32 v0, 0x40e00000, v0
	v_mul_f32_e32 v2, 0xbfd9db23, v0
	v_mul_f32_e32 v3, 0x3fb8aa3b, v2
	v_cmp_ngt_f32_e32 vcc_lo, 0xc2ce8ed0, v2
	v_fma_f32 v4, 0x3fb8aa3b, v2, -v3
	v_rndne_f32_e32 v5, v3
	v_fmamk_f32 v4, v2, 0x32a5705f, v4
	v_sub_f32_e32 v3, v3, v5
	v_add_f32_e32 v3, v3, v4
	v_cvt_i32_f32_e32 v4, v5
	v_exp_f32_e32 v3, v3
	v_ldexp_f32 v3, v3, v4
	v_cndmask_b32_e32 v3, 0, v3, vcc_lo
	v_cmp_nlt_f32_e32 vcc_lo, 0x42b17218, v2
	v_cndmask_b32_e32 v2, 0x7f800000, v3, vcc_lo
	v_add_f32_e32 v2, 1.0, v2
	v_div_scale_f32 v3, null, v2, v2, v0
	v_div_scale_f32 v6, vcc_lo, v0, v2, v0
	v_rcp_f32_e32 v4, v3
	v_fma_f32 v5, -v3, v4, 1.0
	v_fmac_f32_e32 v4, v5, v4
	v_mul_f32_e32 v5, v6, v4
	v_fma_f32 v8, -v3, v5, v6
	v_fmac_f32_e32 v5, v8, v4
	v_max_f32_e32 v8, v1, v1
	v_fma_f32 v3, -v3, v5, v6
	v_min_f32_e32 v6, 0x40e00000, v8
	v_div_fmas_f32 v3, v3, v4, v5
	v_max_f32_e32 v4, 0xc0e00000, v6
	v_div_fixup_f32 v0, v3, v2, v0
	v_add_f32_e32 v2, 1.0, v4
	v_mul_f32_e32 v0, v2, v0
.LBB286_33:
	s_cbranch_execz .LBB286_36
	s_branch .LBB286_37
.LBB286_34:
                                        ; implicit-def: $vgpr0
	s_branch .LBB286_38
.LBB286_35:
                                        ; implicit-def: $vgpr0
.LBB286_36:
	v_mul_f32_e32 v0, 0xbfb8aa3b, v7
	v_cmp_nlt_f32_e32 vcc_lo, 0x42ce8ed0, v7
	v_rndne_f32_e32 v2, v0
	v_fma_f32 v3, 0xbfb8aa3b, v7, -v0
	v_sub_f32_e32 v0, v0, v2
	v_fmamk_f32 v3, v7, 0xb2a5705f, v3
	v_cvt_i32_f32_e32 v2, v2
	v_add_f32_e32 v0, v0, v3
	v_exp_f32_e32 v0, v0
	v_ldexp_f32 v0, v0, v2
	v_cndmask_b32_e32 v0, 0, v0, vcc_lo
	v_cmp_ngt_f32_e32 vcc_lo, 0xc2b17218, v7
	v_cndmask_b32_e32 v0, 0x7f800000, v0, vcc_lo
	v_add_f32_e32 v0, 1.0, v0
	v_div_scale_f32 v2, null, v0, v0, v7
	v_rcp_f32_e32 v3, v2
	v_fma_f32 v4, -v2, v3, 1.0
	v_fmac_f32_e32 v3, v4, v3
	v_div_scale_f32 v4, vcc_lo, v7, v0, v7
	v_mul_f32_e32 v5, v4, v3
	v_fma_f32 v6, -v2, v5, v4
	v_fmac_f32_e32 v5, v6, v3
	v_fma_f32 v2, -v2, v5, v4
	v_div_fmas_f32 v2, v2, v3, v5
	v_div_fixup_f32 v0, v2, v0, v7
	v_mul_f32_e32 v0, v1, v0
.LBB286_37:
	s_cbranch_execnz .LBB286_45
.LBB286_38:
	s_cmp_eq_u32 s10, 1
	s_cbranch_scc0 .LBB286_44
; %bb.39:
	v_mul_f32_e32 v0, 0x3d372713, v7
	v_mul_f32_e32 v2, 0x3f4c422a, v7
	v_fma_f32 v0, v7, v0, 1.0
	v_mul_f32_e32 v0, v2, v0
                                        ; implicit-def: $vgpr2
	v_cmp_ngt_f32_e64 s1, 0x3f200000, |v0|
	s_and_saveexec_b32 s7, s1
	s_xor_b32 s1, exec_lo, s7
	s_cbranch_execz .LBB286_41
; %bb.40:
	v_add_f32_e64 v2, |v0|, |v0|
	v_mul_f32_e32 v3, 0x3fb8aa3b, v2
	v_cmp_ngt_f32_e32 vcc_lo, 0xc2ce8ed0, v2
	v_rndne_f32_e32 v4, v3
	v_fma_f32 v5, 0x3fb8aa3b, v2, -v3
	v_sub_f32_e32 v3, v3, v4
	v_fmamk_f32 v5, v2, 0x32a5705f, v5
	v_cvt_i32_f32_e32 v4, v4
	v_add_f32_e32 v3, v3, v5
	v_exp_f32_e32 v3, v3
	v_ldexp_f32 v3, v3, v4
	v_cndmask_b32_e32 v3, 0, v3, vcc_lo
	v_cmp_nlt_f32_e32 vcc_lo, 0x42b17218, v2
	v_cndmask_b32_e32 v2, 0x7f800000, v3, vcc_lo
	v_add_f32_e32 v2, 1.0, v2
	v_rcp_f32_e32 v2, v2
	v_fma_f32 v2, v2, -2.0, 1.0
.LBB286_41:
	s_andn2_saveexec_b32 s1, s1
	s_cbranch_execz .LBB286_43
; %bb.42:
	v_mul_f32_e32 v2, v0, v0
	s_mov_b32 s7, 0xbbbac73d
	v_fmaak_f32 v3, s7, v2, 0x3ca908c9
	v_fmaak_f32 v3, v2, v3, 0xbd5c1c4e
	;; [unrolled: 1-line block ×4, first 2 shown]
	v_mul_f32_e64 v3, |v0|, v3
	v_fma_f32 v2, v2, v3, |v0|
.LBB286_43:
	s_or_b32 exec_lo, exec_lo, s1
	v_bfi_b32 v0, 0x7fffffff, v2, v0
	v_mul_f32_e32 v2, 0.5, v7
	v_add_f32_e32 v0, 1.0, v0
	v_mul_f32_e32 v0, v2, v0
	v_mul_f32_e32 v1, v1, v0
.LBB286_44:
	v_mov_b32_e32 v0, v1
.LBB286_45:
	v_mov_b32_e32 v1, v0
.LBB286_46:
	s_load_dwordx2 s[4:5], s[4:5], 0x38
	s_mul_i32 s0, s22, s0
	s_lshl_b64 s[2:3], s[2:3], 2
	s_ashr_i32 s1, s0, 31
	v_mov_b32_e32 v0, 0
	s_waitcnt lgkmcnt(0)
	s_add_u32 s2, s4, s2
	s_addc_u32 s3, s5, s3
	s_lshl_b64 s[0:1], s[0:1], 2
	s_add_u32 s2, s2, s0
	s_addc_u32 s3, s3, s1
	s_ashr_i32 s7, s6, 31
	s_lshl_b64 s[0:1], s[6:7], 2
	s_add_u32 s0, s2, s0
	s_addc_u32 s1, s3, s1
	global_store_dword v0, v1, s[0:1]
.LBB286_47:
	s_endpgm
	.section	.rodata,"a",@progbits
	.p2align	6, 0x0
	.amdhsa_kernel _ZL13mul_mat_vec_fI14__hip_bfloat16fLi1ELi128ELb1ELb0EEvPKT_PKfPKi31ggml_cuda_mm_fusion_args_devicePfi15HIP_vector_typeIjLj3EEiiiSB_iiiSB_iiii
		.amdhsa_group_segment_fixed_size 0
		.amdhsa_private_segment_fixed_size 0
		.amdhsa_kernarg_size 144
		.amdhsa_user_sgpr_count 6
		.amdhsa_user_sgpr_private_segment_buffer 1
		.amdhsa_user_sgpr_dispatch_ptr 0
		.amdhsa_user_sgpr_queue_ptr 0
		.amdhsa_user_sgpr_kernarg_segment_ptr 1
		.amdhsa_user_sgpr_dispatch_id 0
		.amdhsa_user_sgpr_flat_scratch_init 0
		.amdhsa_user_sgpr_private_segment_size 0
		.amdhsa_wavefront_size32 1
		.amdhsa_uses_dynamic_stack 0
		.amdhsa_system_sgpr_private_segment_wavefront_offset 0
		.amdhsa_system_sgpr_workgroup_id_x 1
		.amdhsa_system_sgpr_workgroup_id_y 1
		.amdhsa_system_sgpr_workgroup_id_z 1
		.amdhsa_system_sgpr_workgroup_info 0
		.amdhsa_system_vgpr_workitem_id 0
		.amdhsa_next_free_vgpr 17
		.amdhsa_next_free_sgpr 40
		.amdhsa_reserve_vcc 1
		.amdhsa_reserve_flat_scratch 0
		.amdhsa_float_round_mode_32 0
		.amdhsa_float_round_mode_16_64 0
		.amdhsa_float_denorm_mode_32 3
		.amdhsa_float_denorm_mode_16_64 3
		.amdhsa_dx10_clamp 1
		.amdhsa_ieee_mode 1
		.amdhsa_fp16_overflow 0
		.amdhsa_workgroup_processor_mode 1
		.amdhsa_memory_ordered 1
		.amdhsa_forward_progress 1
		.amdhsa_shared_vgpr_count 0
		.amdhsa_exception_fp_ieee_invalid_op 0
		.amdhsa_exception_fp_denorm_src 0
		.amdhsa_exception_fp_ieee_div_zero 0
		.amdhsa_exception_fp_ieee_overflow 0
		.amdhsa_exception_fp_ieee_underflow 0
		.amdhsa_exception_fp_ieee_inexact 0
		.amdhsa_exception_int_div_zero 0
	.end_amdhsa_kernel
	.section	.text._ZL13mul_mat_vec_fI14__hip_bfloat16fLi1ELi128ELb1ELb0EEvPKT_PKfPKi31ggml_cuda_mm_fusion_args_devicePfi15HIP_vector_typeIjLj3EEiiiSB_iiiSB_iiii,"axG",@progbits,_ZL13mul_mat_vec_fI14__hip_bfloat16fLi1ELi128ELb1ELb0EEvPKT_PKfPKi31ggml_cuda_mm_fusion_args_devicePfi15HIP_vector_typeIjLj3EEiiiSB_iiiSB_iiii,comdat
.Lfunc_end286:
	.size	_ZL13mul_mat_vec_fI14__hip_bfloat16fLi1ELi128ELb1ELb0EEvPKT_PKfPKi31ggml_cuda_mm_fusion_args_devicePfi15HIP_vector_typeIjLj3EEiiiSB_iiiSB_iiii, .Lfunc_end286-_ZL13mul_mat_vec_fI14__hip_bfloat16fLi1ELi128ELb1ELb0EEvPKT_PKfPKi31ggml_cuda_mm_fusion_args_devicePfi15HIP_vector_typeIjLj3EEiiiSB_iiiSB_iiii
                                        ; -- End function
	.set _ZL13mul_mat_vec_fI14__hip_bfloat16fLi1ELi128ELb1ELb0EEvPKT_PKfPKi31ggml_cuda_mm_fusion_args_devicePfi15HIP_vector_typeIjLj3EEiiiSB_iiiSB_iiii.num_vgpr, 17
	.set _ZL13mul_mat_vec_fI14__hip_bfloat16fLi1ELi128ELb1ELb0EEvPKT_PKfPKi31ggml_cuda_mm_fusion_args_devicePfi15HIP_vector_typeIjLj3EEiiiSB_iiiSB_iiii.num_agpr, 0
	.set _ZL13mul_mat_vec_fI14__hip_bfloat16fLi1ELi128ELb1ELb0EEvPKT_PKfPKi31ggml_cuda_mm_fusion_args_devicePfi15HIP_vector_typeIjLj3EEiiiSB_iiiSB_iiii.numbered_sgpr, 40
	.set _ZL13mul_mat_vec_fI14__hip_bfloat16fLi1ELi128ELb1ELb0EEvPKT_PKfPKi31ggml_cuda_mm_fusion_args_devicePfi15HIP_vector_typeIjLj3EEiiiSB_iiiSB_iiii.num_named_barrier, 0
	.set _ZL13mul_mat_vec_fI14__hip_bfloat16fLi1ELi128ELb1ELb0EEvPKT_PKfPKi31ggml_cuda_mm_fusion_args_devicePfi15HIP_vector_typeIjLj3EEiiiSB_iiiSB_iiii.private_seg_size, 0
	.set _ZL13mul_mat_vec_fI14__hip_bfloat16fLi1ELi128ELb1ELb0EEvPKT_PKfPKi31ggml_cuda_mm_fusion_args_devicePfi15HIP_vector_typeIjLj3EEiiiSB_iiiSB_iiii.uses_vcc, 1
	.set _ZL13mul_mat_vec_fI14__hip_bfloat16fLi1ELi128ELb1ELb0EEvPKT_PKfPKi31ggml_cuda_mm_fusion_args_devicePfi15HIP_vector_typeIjLj3EEiiiSB_iiiSB_iiii.uses_flat_scratch, 0
	.set _ZL13mul_mat_vec_fI14__hip_bfloat16fLi1ELi128ELb1ELb0EEvPKT_PKfPKi31ggml_cuda_mm_fusion_args_devicePfi15HIP_vector_typeIjLj3EEiiiSB_iiiSB_iiii.has_dyn_sized_stack, 0
	.set _ZL13mul_mat_vec_fI14__hip_bfloat16fLi1ELi128ELb1ELb0EEvPKT_PKfPKi31ggml_cuda_mm_fusion_args_devicePfi15HIP_vector_typeIjLj3EEiiiSB_iiiSB_iiii.has_recursion, 0
	.set _ZL13mul_mat_vec_fI14__hip_bfloat16fLi1ELi128ELb1ELb0EEvPKT_PKfPKi31ggml_cuda_mm_fusion_args_devicePfi15HIP_vector_typeIjLj3EEiiiSB_iiiSB_iiii.has_indirect_call, 0
	.section	.AMDGPU.csdata,"",@progbits
; Kernel info:
; codeLenInByte = 2292
; TotalNumSgprs: 42
; NumVgprs: 17
; ScratchSize: 0
; MemoryBound: 0
; FloatMode: 240
; IeeeMode: 1
; LDSByteSize: 0 bytes/workgroup (compile time only)
; SGPRBlocks: 0
; VGPRBlocks: 2
; NumSGPRsForWavesPerEU: 42
; NumVGPRsForWavesPerEU: 17
; Occupancy: 16
; WaveLimiterHint : 1
; COMPUTE_PGM_RSRC2:SCRATCH_EN: 0
; COMPUTE_PGM_RSRC2:USER_SGPR: 6
; COMPUTE_PGM_RSRC2:TRAP_HANDLER: 0
; COMPUTE_PGM_RSRC2:TGID_X_EN: 1
; COMPUTE_PGM_RSRC2:TGID_Y_EN: 1
; COMPUTE_PGM_RSRC2:TGID_Z_EN: 1
; COMPUTE_PGM_RSRC2:TIDIG_COMP_CNT: 0
	.section	.text._ZL13mul_mat_vec_fI14__hip_bfloat16fLi1ELi128ELb0ELb0EEvPKT_PKfPKi31ggml_cuda_mm_fusion_args_devicePfi15HIP_vector_typeIjLj3EEiiiSB_iiiSB_iiii,"axG",@progbits,_ZL13mul_mat_vec_fI14__hip_bfloat16fLi1ELi128ELb0ELb0EEvPKT_PKfPKi31ggml_cuda_mm_fusion_args_devicePfi15HIP_vector_typeIjLj3EEiiiSB_iiiSB_iiii,comdat
	.globl	_ZL13mul_mat_vec_fI14__hip_bfloat16fLi1ELi128ELb0ELb0EEvPKT_PKfPKi31ggml_cuda_mm_fusion_args_devicePfi15HIP_vector_typeIjLj3EEiiiSB_iiiSB_iiii ; -- Begin function _ZL13mul_mat_vec_fI14__hip_bfloat16fLi1ELi128ELb0ELb0EEvPKT_PKfPKi31ggml_cuda_mm_fusion_args_devicePfi15HIP_vector_typeIjLj3EEiiiSB_iiiSB_iiii
	.p2align	8
	.type	_ZL13mul_mat_vec_fI14__hip_bfloat16fLi1ELi128ELb0ELb0EEvPKT_PKfPKi31ggml_cuda_mm_fusion_args_devicePfi15HIP_vector_typeIjLj3EEiiiSB_iiiSB_iiii,@function
_ZL13mul_mat_vec_fI14__hip_bfloat16fLi1ELi128ELb0ELb0EEvPKT_PKfPKi31ggml_cuda_mm_fusion_args_devicePfi15HIP_vector_typeIjLj3EEiiiSB_iiiSB_iiii: ; @_ZL13mul_mat_vec_fI14__hip_bfloat16fLi1ELi128ELb0ELb0EEvPKT_PKfPKi31ggml_cuda_mm_fusion_args_devicePfi15HIP_vector_typeIjLj3EEiiiSB_iiiSB_iiii
; %bb.0:
	s_clause 0x2
	s_load_dwordx2 s[2:3], s[4:5], 0x10
	s_load_dwordx4 s[20:23], s[4:5], 0x40
	s_load_dwordx4 s[12:15], s[4:5], 0x80
	s_waitcnt lgkmcnt(0)
	s_cmp_eq_u64 s[2:3], 0
	s_cselect_b32 s9, -1, 0
	s_cmp_lg_u64 s[2:3], 0
	s_cselect_b32 s10, -1, 0
	s_and_b32 vcc_lo, exec_lo, s9
	s_cbranch_vccnz .LBB287_2
; %bb.1:
	s_mul_i32 s0, s15, s8
	s_mov_b32 s1, 0
	s_add_i32 s0, s0, s7
	s_lshl_b64 s[16:17], s[0:1], 2
	s_add_u32 s2, s2, s16
	s_addc_u32 s3, s3, s17
	s_load_dword s24, s[2:3], 0x0
	s_load_dword s25, s[4:5], 0x50
	s_cbranch_execz .LBB287_3
	s_branch .LBB287_4
.LBB287_2:
                                        ; implicit-def: $sgpr24
	s_load_dword s25, s[4:5], 0x50
.LBB287_3:
	s_load_dwordx2 s[0:1], s[4:5], 0x5c
	s_waitcnt lgkmcnt(0)
	s_mul_hi_u32 s0, s0, s7
	s_add_i32 s0, s7, s0
	s_lshr_b32 s24, s0, s1
.LBB287_4:
	s_load_dwordx4 s[16:19], s[4:5], 0x68
	s_andn2_b32 vcc_lo, exec_lo, s10
	s_mov_b32 s26, s7
	s_cbranch_vccnz .LBB287_6
; %bb.5:
	s_mul_hi_u32 s0, s21, s7
	s_add_i32 s0, s7, s0
	s_lshr_b32 s0, s0, s22
	s_mul_i32 s0, s0, s23
	s_sub_i32 s26, s7, s0
.LBB287_6:
	s_load_dword s1, s[4:5], 0x78
	v_cmp_gt_u32_e32 vcc_lo, 32, v0
	v_lshl_add_u32 v5, v0, 2, 0
	s_and_saveexec_b32 s0, vcc_lo
; %bb.7:
	v_mov_b32_e32 v1, 0
	ds_write_b32 v5, v1
; %bb.8:
	s_or_b32 exec_lo, exec_lo, s0
	v_mov_b32_e32 v6, 0
	s_and_b32 s0, exec_lo, s9
	s_mov_b32 s3, 0
	s_cselect_b32 s2, s8, 0
	s_mov_b32 s15, exec_lo
	s_waitcnt lgkmcnt(0)
	s_barrier
	buffer_gl0_inv
	v_cmpx_gt_i32_e64 s20, v0
	s_cbranch_execz .LBB287_12
; %bb.9:
	s_load_dwordx4 s[8:11], s[4:5], 0x0
	s_mul_hi_u32 s0, s19, s2
	s_mul_i32 s16, s24, s16
	s_mul_i32 s24, s26, s17
	s_mul_i32 s22, s25, s6
	s_add_i32 s0, s2, s0
	s_ashr_i32 s25, s24, 31
	s_mul_hi_i32 s27, s2, s13
	s_mul_i32 s26, s2, s13
	s_lshr_b32 s19, s0, s1
	s_lshl_b64 s[0:1], s[24:25], 2
	v_lshlrev_b32_e32 v1, 3, v0
	s_ashr_i32 s17, s16, 31
	s_ashr_i32 s23, s22, 31
	s_lshl_b64 s[26:27], s[26:27], 2
	s_mul_hi_i32 s13, s19, s12
	s_mul_i32 s12, s19, s12
	v_lshlrev_b32_e32 v3, 2, v0
	v_mov_b32_e32 v6, 0
	v_mov_b32_e32 v7, v0
	s_waitcnt lgkmcnt(0)
	s_add_u32 s0, s10, s0
	s_addc_u32 s1, s11, s1
	s_add_u32 s0, s0, s26
	s_addc_u32 s1, s1, s27
	v_add_co_u32 v1, s0, s0, v1
	v_add_co_ci_u32_e64 v2, null, s1, 0, s0
	s_lshl_b64 s[10:11], s[12:13], 1
	v_add_co_u32 v1, s0, v1, 4
	v_add_co_ci_u32_e64 v2, null, 0, v2, s0
	s_lshl_b64 s[0:1], s[16:17], 1
	s_lshl_b64 s[12:13], s[22:23], 1
	s_add_u32 s0, s8, s0
	s_addc_u32 s1, s9, s1
	s_add_u32 s0, s0, s12
	s_addc_u32 s1, s1, s13
	;; [unrolled: 2-line block ×3, first 2 shown]
	v_add_co_u32 v3, s0, s0, v3
	v_add_co_ci_u32_e64 v4, null, s1, 0, s0
	.p2align	6
.LBB287_10:                             ; =>This Inner Loop Header: Depth=1
	global_load_dword v10, v[3:4], off
	global_load_dwordx2 v[8:9], v[1:2], off offset:-4
	v_add_nc_u32_e32 v7, 0x80, v7
	v_add_co_u32 v1, s0, 0x400, v1
	v_add_co_ci_u32_e64 v2, null, 0, v2, s0
	v_add_co_u32 v3, s0, 0x200, v3
	v_cmp_le_i32_e64 s1, s20, v7
	v_add_co_ci_u32_e64 v4, null, 0, v4, s0
	s_or_b32 s3, s1, s3
	s_waitcnt vmcnt(1)
	v_lshlrev_b32_e32 v11, 16, v10
	v_and_b32_e32 v10, 0xffff0000, v10
	s_waitcnt vmcnt(0)
	v_fmac_f32_e32 v6, v8, v11
	v_fmac_f32_e32 v6, v9, v10
	s_andn2_b32 exec_lo, exec_lo, s3
	s_cbranch_execnz .LBB287_10
; %bb.11:
	s_or_b32 exec_lo, exec_lo, s3
.LBB287_12:
	s_or_b32 exec_lo, exec_lo, s15
	v_mbcnt_lo_u32_b32 v2, -1, 0
	v_xor_b32_e32 v1, 16, v2
	v_xor_b32_e32 v3, 8, v2
	v_cmp_gt_i32_e64 s0, 32, v1
	v_cndmask_b32_e64 v1, v2, v1, s0
	v_cmp_gt_i32_e64 s0, 32, v3
	v_lshlrev_b32_e32 v1, 2, v1
	v_cndmask_b32_e64 v3, v2, v3, s0
	ds_bpermute_b32 v4, v1, v6
	v_lshlrev_b32_e32 v3, 2, v3
	s_waitcnt lgkmcnt(0)
	v_add_f32_e32 v6, v6, v4
	v_xor_b32_e32 v4, 4, v2
	ds_bpermute_b32 v7, v3, v6
	v_cmp_gt_i32_e64 s0, 32, v4
	v_cndmask_b32_e64 v4, v2, v4, s0
	v_lshlrev_b32_e32 v4, 2, v4
	s_waitcnt lgkmcnt(0)
	v_add_f32_e32 v7, v6, v7
	v_xor_b32_e32 v6, 2, v2
	ds_bpermute_b32 v8, v4, v7
	v_cmp_gt_i32_e64 s0, 32, v6
	v_cndmask_b32_e64 v6, v2, v6, s0
	;; [unrolled: 7-line block ×3, first 2 shown]
	v_lshlrev_b32_e32 v7, 2, v2
	s_waitcnt lgkmcnt(0)
	v_add_f32_e32 v2, v8, v9
	v_lshrrev_b32_e32 v9, 3, v0
	ds_bpermute_b32 v8, v7, v2
	v_and_b32_e32 v9, 0x7c, v9
	v_add_nc_u32_e32 v9, 0, v9
	s_waitcnt lgkmcnt(0)
	v_add_f32_e32 v2, v2, v8
	ds_write_b32 v9, v2
	s_waitcnt lgkmcnt(0)
	s_barrier
	buffer_gl0_inv
	s_and_saveexec_b32 s0, vcc_lo
	s_cbranch_execz .LBB287_14
; %bb.13:
	ds_read_b32 v2, v5
	s_waitcnt lgkmcnt(0)
	ds_bpermute_b32 v1, v1, v2
	s_waitcnt lgkmcnt(0)
	v_add_f32_e32 v1, v2, v1
	ds_bpermute_b32 v2, v3, v1
	s_waitcnt lgkmcnt(0)
	v_add_f32_e32 v1, v1, v2
	;; [unrolled: 3-line block ×5, first 2 shown]
.LBB287_14:
	s_or_b32 exec_lo, exec_lo, s0
	s_barrier
	buffer_gl0_inv
	s_mov_b32 s0, exec_lo
	v_cmpx_eq_u32_e32 0, v0
	s_cbranch_execz .LBB287_16
; %bb.15:
	s_load_dwordx2 s[0:1], s[4:5], 0x38
	s_mul_hi_i32 s3, s14, s2
	s_mul_i32 s2, s14, s2
	s_mul_i32 s4, s18, s7
	s_lshl_b64 s[2:3], s[2:3], 2
	s_ashr_i32 s5, s4, 31
	v_mov_b32_e32 v0, 0
	s_waitcnt lgkmcnt(0)
	s_add_u32 s2, s0, s2
	s_addc_u32 s3, s1, s3
	s_lshl_b64 s[0:1], s[4:5], 2
	s_add_u32 s2, s2, s0
	s_addc_u32 s3, s3, s1
	s_ashr_i32 s7, s6, 31
	s_lshl_b64 s[0:1], s[6:7], 2
	s_add_u32 s0, s2, s0
	s_addc_u32 s1, s3, s1
	global_store_dword v0, v2, s[0:1]
.LBB287_16:
	s_endpgm
	.section	.rodata,"a",@progbits
	.p2align	6, 0x0
	.amdhsa_kernel _ZL13mul_mat_vec_fI14__hip_bfloat16fLi1ELi128ELb0ELb0EEvPKT_PKfPKi31ggml_cuda_mm_fusion_args_devicePfi15HIP_vector_typeIjLj3EEiiiSB_iiiSB_iiii
		.amdhsa_group_segment_fixed_size 0
		.amdhsa_private_segment_fixed_size 0
		.amdhsa_kernarg_size 144
		.amdhsa_user_sgpr_count 6
		.amdhsa_user_sgpr_private_segment_buffer 1
		.amdhsa_user_sgpr_dispatch_ptr 0
		.amdhsa_user_sgpr_queue_ptr 0
		.amdhsa_user_sgpr_kernarg_segment_ptr 1
		.amdhsa_user_sgpr_dispatch_id 0
		.amdhsa_user_sgpr_flat_scratch_init 0
		.amdhsa_user_sgpr_private_segment_size 0
		.amdhsa_wavefront_size32 1
		.amdhsa_uses_dynamic_stack 0
		.amdhsa_system_sgpr_private_segment_wavefront_offset 0
		.amdhsa_system_sgpr_workgroup_id_x 1
		.amdhsa_system_sgpr_workgroup_id_y 1
		.amdhsa_system_sgpr_workgroup_id_z 1
		.amdhsa_system_sgpr_workgroup_info 0
		.amdhsa_system_vgpr_workitem_id 0
		.amdhsa_next_free_vgpr 12
		.amdhsa_next_free_sgpr 28
		.amdhsa_reserve_vcc 1
		.amdhsa_reserve_flat_scratch 0
		.amdhsa_float_round_mode_32 0
		.amdhsa_float_round_mode_16_64 0
		.amdhsa_float_denorm_mode_32 3
		.amdhsa_float_denorm_mode_16_64 3
		.amdhsa_dx10_clamp 1
		.amdhsa_ieee_mode 1
		.amdhsa_fp16_overflow 0
		.amdhsa_workgroup_processor_mode 1
		.amdhsa_memory_ordered 1
		.amdhsa_forward_progress 1
		.amdhsa_shared_vgpr_count 0
		.amdhsa_exception_fp_ieee_invalid_op 0
		.amdhsa_exception_fp_denorm_src 0
		.amdhsa_exception_fp_ieee_div_zero 0
		.amdhsa_exception_fp_ieee_overflow 0
		.amdhsa_exception_fp_ieee_underflow 0
		.amdhsa_exception_fp_ieee_inexact 0
		.amdhsa_exception_int_div_zero 0
	.end_amdhsa_kernel
	.section	.text._ZL13mul_mat_vec_fI14__hip_bfloat16fLi1ELi128ELb0ELb0EEvPKT_PKfPKi31ggml_cuda_mm_fusion_args_devicePfi15HIP_vector_typeIjLj3EEiiiSB_iiiSB_iiii,"axG",@progbits,_ZL13mul_mat_vec_fI14__hip_bfloat16fLi1ELi128ELb0ELb0EEvPKT_PKfPKi31ggml_cuda_mm_fusion_args_devicePfi15HIP_vector_typeIjLj3EEiiiSB_iiiSB_iiii,comdat
.Lfunc_end287:
	.size	_ZL13mul_mat_vec_fI14__hip_bfloat16fLi1ELi128ELb0ELb0EEvPKT_PKfPKi31ggml_cuda_mm_fusion_args_devicePfi15HIP_vector_typeIjLj3EEiiiSB_iiiSB_iiii, .Lfunc_end287-_ZL13mul_mat_vec_fI14__hip_bfloat16fLi1ELi128ELb0ELb0EEvPKT_PKfPKi31ggml_cuda_mm_fusion_args_devicePfi15HIP_vector_typeIjLj3EEiiiSB_iiiSB_iiii
                                        ; -- End function
	.set _ZL13mul_mat_vec_fI14__hip_bfloat16fLi1ELi128ELb0ELb0EEvPKT_PKfPKi31ggml_cuda_mm_fusion_args_devicePfi15HIP_vector_typeIjLj3EEiiiSB_iiiSB_iiii.num_vgpr, 12
	.set _ZL13mul_mat_vec_fI14__hip_bfloat16fLi1ELi128ELb0ELb0EEvPKT_PKfPKi31ggml_cuda_mm_fusion_args_devicePfi15HIP_vector_typeIjLj3EEiiiSB_iiiSB_iiii.num_agpr, 0
	.set _ZL13mul_mat_vec_fI14__hip_bfloat16fLi1ELi128ELb0ELb0EEvPKT_PKfPKi31ggml_cuda_mm_fusion_args_devicePfi15HIP_vector_typeIjLj3EEiiiSB_iiiSB_iiii.numbered_sgpr, 28
	.set _ZL13mul_mat_vec_fI14__hip_bfloat16fLi1ELi128ELb0ELb0EEvPKT_PKfPKi31ggml_cuda_mm_fusion_args_devicePfi15HIP_vector_typeIjLj3EEiiiSB_iiiSB_iiii.num_named_barrier, 0
	.set _ZL13mul_mat_vec_fI14__hip_bfloat16fLi1ELi128ELb0ELb0EEvPKT_PKfPKi31ggml_cuda_mm_fusion_args_devicePfi15HIP_vector_typeIjLj3EEiiiSB_iiiSB_iiii.private_seg_size, 0
	.set _ZL13mul_mat_vec_fI14__hip_bfloat16fLi1ELi128ELb0ELb0EEvPKT_PKfPKi31ggml_cuda_mm_fusion_args_devicePfi15HIP_vector_typeIjLj3EEiiiSB_iiiSB_iiii.uses_vcc, 1
	.set _ZL13mul_mat_vec_fI14__hip_bfloat16fLi1ELi128ELb0ELb0EEvPKT_PKfPKi31ggml_cuda_mm_fusion_args_devicePfi15HIP_vector_typeIjLj3EEiiiSB_iiiSB_iiii.uses_flat_scratch, 0
	.set _ZL13mul_mat_vec_fI14__hip_bfloat16fLi1ELi128ELb0ELb0EEvPKT_PKfPKi31ggml_cuda_mm_fusion_args_devicePfi15HIP_vector_typeIjLj3EEiiiSB_iiiSB_iiii.has_dyn_sized_stack, 0
	.set _ZL13mul_mat_vec_fI14__hip_bfloat16fLi1ELi128ELb0ELb0EEvPKT_PKfPKi31ggml_cuda_mm_fusion_args_devicePfi15HIP_vector_typeIjLj3EEiiiSB_iiiSB_iiii.has_recursion, 0
	.set _ZL13mul_mat_vec_fI14__hip_bfloat16fLi1ELi128ELb0ELb0EEvPKT_PKfPKi31ggml_cuda_mm_fusion_args_devicePfi15HIP_vector_typeIjLj3EEiiiSB_iiiSB_iiii.has_indirect_call, 0
	.section	.AMDGPU.csdata,"",@progbits
; Kernel info:
; codeLenInByte = 1092
; TotalNumSgprs: 30
; NumVgprs: 12
; ScratchSize: 0
; MemoryBound: 0
; FloatMode: 240
; IeeeMode: 1
; LDSByteSize: 0 bytes/workgroup (compile time only)
; SGPRBlocks: 0
; VGPRBlocks: 1
; NumSGPRsForWavesPerEU: 30
; NumVGPRsForWavesPerEU: 12
; Occupancy: 16
; WaveLimiterHint : 0
; COMPUTE_PGM_RSRC2:SCRATCH_EN: 0
; COMPUTE_PGM_RSRC2:USER_SGPR: 6
; COMPUTE_PGM_RSRC2:TRAP_HANDLER: 0
; COMPUTE_PGM_RSRC2:TGID_X_EN: 1
; COMPUTE_PGM_RSRC2:TGID_Y_EN: 1
; COMPUTE_PGM_RSRC2:TGID_Z_EN: 1
; COMPUTE_PGM_RSRC2:TIDIG_COMP_CNT: 0
	.section	.text._ZL13mul_mat_vec_fI14__hip_bfloat16fLi1ELi160ELb1ELb0EEvPKT_PKfPKi31ggml_cuda_mm_fusion_args_devicePfi15HIP_vector_typeIjLj3EEiiiSB_iiiSB_iiii,"axG",@progbits,_ZL13mul_mat_vec_fI14__hip_bfloat16fLi1ELi160ELb1ELb0EEvPKT_PKfPKi31ggml_cuda_mm_fusion_args_devicePfi15HIP_vector_typeIjLj3EEiiiSB_iiiSB_iiii,comdat
	.globl	_ZL13mul_mat_vec_fI14__hip_bfloat16fLi1ELi160ELb1ELb0EEvPKT_PKfPKi31ggml_cuda_mm_fusion_args_devicePfi15HIP_vector_typeIjLj3EEiiiSB_iiiSB_iiii ; -- Begin function _ZL13mul_mat_vec_fI14__hip_bfloat16fLi1ELi160ELb1ELb0EEvPKT_PKfPKi31ggml_cuda_mm_fusion_args_devicePfi15HIP_vector_typeIjLj3EEiiiSB_iiiSB_iiii
	.p2align	8
	.type	_ZL13mul_mat_vec_fI14__hip_bfloat16fLi1ELi160ELb1ELb0EEvPKT_PKfPKi31ggml_cuda_mm_fusion_args_devicePfi15HIP_vector_typeIjLj3EEiiiSB_iiiSB_iiii,@function
_ZL13mul_mat_vec_fI14__hip_bfloat16fLi1ELi160ELb1ELb0EEvPKT_PKfPKi31ggml_cuda_mm_fusion_args_devicePfi15HIP_vector_typeIjLj3EEiiiSB_iiiSB_iiii: ; @_ZL13mul_mat_vec_fI14__hip_bfloat16fLi1ELi160ELb1ELb0EEvPKT_PKfPKi31ggml_cuda_mm_fusion_args_devicePfi15HIP_vector_typeIjLj3EEiiiSB_iiiSB_iiii
; %bb.0:
	s_clause 0x3
	s_load_dwordx8 s[12:19], s[4:5], 0x0
	s_load_dwordx4 s[24:27], s[4:5], 0x20
	s_load_dwordx4 s[36:39], s[4:5], 0x40
	;; [unrolled: 1-line block ×3, first 2 shown]
	s_mov_b32 s0, s7
	s_waitcnt lgkmcnt(0)
	s_cmp_eq_u64 s[16:17], 0
	s_cselect_b32 s11, -1, 0
	s_cmp_lg_u64 s[16:17], 0
	s_cselect_b32 s1, -1, 0
	s_and_b32 vcc_lo, exec_lo, s11
	s_cbranch_vccnz .LBB288_2
; %bb.1:
	s_mul_i32 s2, s31, s8
	s_mov_b32 s3, 0
	s_add_i32 s2, s2, s0
	s_lshl_b64 s[20:21], s[2:3], 2
	s_add_u32 s16, s16, s20
	s_addc_u32 s17, s17, s21
	s_load_dword s7, s[16:17], 0x0
	s_load_dword s16, s[4:5], 0x50
	s_waitcnt lgkmcnt(0)
	s_mov_b32 s3, s7
	s_cbranch_execz .LBB288_3
	s_branch .LBB288_4
.LBB288_2:
                                        ; implicit-def: $sgpr7
	s_load_dword s16, s[4:5], 0x50
	s_mov_b32 s3, s7
.LBB288_3:
	s_load_dwordx2 s[2:3], s[4:5], 0x5c
	s_mov_b32 s7, s0
	s_waitcnt lgkmcnt(0)
	s_mul_hi_u32 s2, s2, s0
	s_add_i32 s2, s0, s2
	s_lshr_b32 s3, s2, s3
.LBB288_4:
	s_load_dwordx4 s[20:23], s[4:5], 0x68
	s_andn2_b32 vcc_lo, exec_lo, s1
	s_mov_b32 s17, s0
	s_cbranch_vccnz .LBB288_6
; %bb.5:
	s_mul_hi_u32 s1, s37, s0
	s_add_i32 s1, s0, s1
	s_lshr_b32 s1, s1, s38
	s_mul_i32 s1, s1, s39
	s_sub_i32 s17, s0, s1
.LBB288_6:
	s_load_dword s31, s[4:5], 0x78
	s_cmp_lg_u64 s[24:25], 0
	v_cmp_gt_u32_e64 s2, 32, v0
	v_lshl_add_u32 v8, v0, 2, 0
	s_cselect_b32 s1, -1, 0
	s_cmp_eq_u64 s[24:25], 0
	s_cselect_b32 s9, -1, 0
	s_and_saveexec_b32 s10, s2
	s_cbranch_execz .LBB288_9
; %bb.7:
	v_mov_b32_e32 v1, 0
	s_andn2_b32 vcc_lo, exec_lo, s1
	ds_write_b32 v8, v1
	s_cbranch_vccnz .LBB288_9
; %bb.8:
	ds_write_b32 v8, v1 offset:128
.LBB288_9:
	s_or_b32 exec_lo, exec_lo, s10
	v_mov_b32_e32 v7, 0
	v_mov_b32_e32 v9, 0
	s_and_b32 s11, exec_lo, s11
	s_mov_b32 s10, 0
	s_cselect_b32 s11, s8, 0
	s_mov_b32 s8, exec_lo
	s_waitcnt lgkmcnt(0)
	s_barrier
	buffer_gl0_inv
	v_cmpx_gt_i32_e64 s36, v0
	s_cbranch_execz .LBB288_15
; %bb.10:
	s_mul_hi_u32 s23, s23, s11
	s_mul_i32 s3, s3, s20
	s_add_i32 s23, s11, s23
	s_mul_i32 s16, s16, s6
	s_lshr_b32 s20, s23, s31
	s_ashr_i32 s31, s16, 31
	s_mul_hi_i32 s23, s20, s28
	s_mul_i32 s20, s20, s28
	s_ashr_i32 s28, s3, 31
	s_add_u32 s16, s20, s16
	s_addc_u32 s23, s23, s31
	s_mul_i32 s20, s17, s21
	s_add_u32 s16, s16, s3
	s_addc_u32 s17, s23, s28
	s_ashr_i32 s21, s20, 31
	s_and_b32 s3, s1, exec_lo
	s_cselect_b32 s3, s25, 0
	s_cselect_b32 s23, s24, 0
	;; [unrolled: 1-line block ×4, first 2 shown]
	v_lshlrev_b32_e32 v5, 2, v0
	s_lshl_b64 s[24:25], s[24:25], 1
	v_lshlrev_b32_e32 v3, 3, v0
	s_add_u32 s23, s23, s24
	s_addc_u32 s3, s3, s25
	s_mul_hi_i32 s25, s11, s29
	s_mul_i32 s24, s11, s29
	v_add_co_u32 v1, s23, s23, v5
	s_lshl_b64 s[20:21], s[20:21], 2
	s_lshl_b64 s[24:25], s[24:25], 2
	v_add_co_ci_u32_e64 v2, null, s3, 0, s23
	s_add_u32 s3, s14, s20
	s_addc_u32 s14, s15, s21
	s_add_u32 s3, s3, s24
	s_addc_u32 s14, s14, s25
	v_add_co_u32 v3, s3, s3, v3
	v_add_co_ci_u32_e64 v4, null, s14, 0, s3
	s_lshl_b64 s[14:15], s[16:17], 1
	v_add_co_u32 v3, vcc_lo, v3, 4
	s_add_u32 s3, s12, s14
	s_addc_u32 s12, s13, s15
	v_add_co_u32 v5, s3, s3, v5
	v_mov_b32_e32 v7, 0
	v_add_co_ci_u32_e64 v4, null, 0, v4, vcc_lo
	v_add_co_ci_u32_e64 v6, null, s12, 0, s3
	v_mov_b32_e32 v10, v0
	v_mov_b32_e32 v9, 0
	s_inst_prefetch 0x1
	s_branch .LBB288_12
	.p2align	6
.LBB288_11:                             ;   in Loop: Header=BB288_12 Depth=1
	global_load_dwordx2 v[14:15], v[3:4], off offset:-4
	s_waitcnt vmcnt(1)
	v_lshlrev_b32_e32 v16, 16, v13
	v_add_nc_u32_e32 v10, 0xa0, v10
	v_add_co_u32 v1, vcc_lo, 0x280, v1
	v_and_b32_e32 v13, 0xffff0000, v13
	v_add_co_ci_u32_e64 v2, null, 0, v2, vcc_lo
	v_add_co_u32 v3, vcc_lo, 0x500, v3
	v_add_co_ci_u32_e64 v4, null, 0, v4, vcc_lo
	v_cmp_le_i32_e32 vcc_lo, s36, v10
	v_add_co_u32 v5, s3, 0x280, v5
	v_add_co_ci_u32_e64 v6, null, 0, v6, s3
	s_or_b32 s10, vcc_lo, s10
	s_waitcnt vmcnt(0)
	v_fma_f32 v12, v12, v14, v7
	v_fmac_f32_e32 v9, v14, v16
	v_fmac_f32_e32 v12, v11, v15
	v_fmac_f32_e32 v9, v15, v13
	v_cndmask_b32_e64 v7, v7, v12, s1
	s_andn2_b32 exec_lo, exec_lo, s10
	s_cbranch_execz .LBB288_14
.LBB288_12:                             ; =>This Inner Loop Header: Depth=1
	global_load_dword v13, v[5:6], off
	v_mov_b32_e32 v11, 0
	v_mov_b32_e32 v12, 0
	s_andn2_b32 vcc_lo, exec_lo, s1
	s_cbranch_vccnz .LBB288_11
; %bb.13:                               ;   in Loop: Header=BB288_12 Depth=1
	global_load_dword v11, v[1:2], off
	s_waitcnt vmcnt(0)
	v_lshlrev_b32_e32 v12, 16, v11
	v_and_b32_e32 v11, 0xffff0000, v11
	s_branch .LBB288_11
.LBB288_14:
	s_inst_prefetch 0x2
	s_or_b32 exec_lo, exec_lo, s10
.LBB288_15:
	s_or_b32 exec_lo, exec_lo, s8
	v_mbcnt_lo_u32_b32 v1, -1, 0
	s_load_dword s10, s[4:5], 0x30
	s_mov_b32 s3, -1
	v_xor_b32_e32 v2, 16, v1
	v_xor_b32_e32 v3, 8, v1
	v_cmp_gt_i32_e32 vcc_lo, 32, v2
	v_cndmask_b32_e32 v2, v1, v2, vcc_lo
	v_cmp_gt_i32_e32 vcc_lo, 32, v3
	v_lshlrev_b32_e32 v2, 2, v2
	v_cndmask_b32_e32 v3, v1, v3, vcc_lo
	ds_bpermute_b32 v4, v2, v9
	v_lshlrev_b32_e32 v3, 2, v3
	s_waitcnt lgkmcnt(0)
	v_add_f32_e32 v5, v9, v4
	v_xor_b32_e32 v4, 4, v1
	ds_bpermute_b32 v6, v3, v5
	v_cmp_gt_i32_e32 vcc_lo, 32, v4
	v_cndmask_b32_e32 v4, v1, v4, vcc_lo
	v_lshlrev_b32_e32 v4, 2, v4
	s_waitcnt lgkmcnt(0)
	v_add_f32_e32 v6, v5, v6
	v_xor_b32_e32 v5, 2, v1
	ds_bpermute_b32 v9, v4, v6
	v_cmp_gt_i32_e32 vcc_lo, 32, v5
	v_cndmask_b32_e32 v5, v1, v5, vcc_lo
	;; [unrolled: 7-line block ×3, first 2 shown]
	s_and_b32 vcc_lo, exec_lo, s9
	v_lshlrev_b32_e32 v6, 2, v1
	s_waitcnt lgkmcnt(0)
	v_add_f32_e32 v1, v9, v10
	v_lshrrev_b32_e32 v10, 5, v0
	ds_bpermute_b32 v9, v6, v1
	s_waitcnt lgkmcnt(0)
	v_add_f32_e32 v1, v1, v9
	v_lshl_add_u32 v9, v10, 2, 0
	s_cbranch_vccz .LBB288_17
; %bb.16:
	s_mov_b32 s3, 0
	ds_write_b32 v9, v1
.LBB288_17:
	s_andn2_b32 vcc_lo, exec_lo, s3
	s_cbranch_vccnz .LBB288_19
; %bb.18:
	ds_bpermute_b32 v10, v2, v7
	s_waitcnt lgkmcnt(0)
	v_add_f32_e32 v7, v7, v10
	ds_bpermute_b32 v10, v3, v7
	s_waitcnt lgkmcnt(0)
	v_add_f32_e32 v7, v7, v10
	;; [unrolled: 3-line block ×5, first 2 shown]
	ds_write2_b32 v9, v1, v7 offset1:32
.LBB288_19:
	s_waitcnt lgkmcnt(0)
	s_barrier
	buffer_gl0_inv
	s_and_saveexec_b32 s3, s2
	s_cbranch_execz .LBB288_23
; %bb.20:
	ds_read_b32 v1, v8
	s_andn2_b32 vcc_lo, exec_lo, s1
	s_waitcnt lgkmcnt(0)
	ds_bpermute_b32 v9, v2, v1
	s_waitcnt lgkmcnt(0)
	v_add_f32_e32 v1, v1, v9
	ds_bpermute_b32 v9, v3, v1
	s_waitcnt lgkmcnt(0)
	v_add_f32_e32 v1, v1, v9
	;; [unrolled: 3-line block ×4, first 2 shown]
	ds_bpermute_b32 v9, v6, v1
	s_cbranch_vccnz .LBB288_22
; %bb.21:
	ds_read_b32 v7, v8 offset:128
	s_waitcnt lgkmcnt(0)
	ds_bpermute_b32 v2, v2, v7
	s_waitcnt lgkmcnt(0)
	v_add_f32_e32 v2, v7, v2
	ds_bpermute_b32 v3, v3, v2
	s_waitcnt lgkmcnt(0)
	v_add_f32_e32 v2, v2, v3
	;; [unrolled: 3-line block ×5, first 2 shown]
.LBB288_22:
	s_waitcnt lgkmcnt(0)
	v_add_f32_e32 v1, v1, v9
.LBB288_23:
	s_or_b32 exec_lo, exec_lo, s3
	s_barrier
	buffer_gl0_inv
	s_mov_b32 s2, exec_lo
	v_cmpx_eq_u32_e32 0, v0
	s_cbranch_execz .LBB288_47
; %bb.24:
	s_cmp_eq_u64 s[18:19], 0
	s_mul_i32 s8, s7, s22
	s_cselect_b32 s2, -1, 0
	s_ashr_i32 s9, s8, 31
	s_mul_hi_i32 s3, s30, s11
	s_and_b32 vcc_lo, exec_lo, s2
	s_mul_i32 s2, s30, s11
	s_cbranch_vccnz .LBB288_26
; %bb.25:
	s_cselect_b32 s7, 0, s19
	s_cselect_b32 s11, 0, s18
	s_lshl_b64 s[12:13], s[2:3], 2
	s_add_u32 s11, s11, s12
	s_addc_u32 s7, s7, s13
	s_lshl_b64 s[12:13], s[8:9], 2
	s_add_u32 s11, s11, s12
	s_addc_u32 s14, s7, s13
	s_ashr_i32 s7, s6, 31
	s_lshl_b64 s[12:13], s[6:7], 2
	s_add_u32 s12, s11, s12
	s_addc_u32 s13, s14, s13
	s_load_dword s7, s[12:13], 0x0
	s_waitcnt lgkmcnt(0)
	v_add_f32_e32 v1, s7, v1
.LBB288_26:
	s_andn2_b32 vcc_lo, exec_lo, s1
	s_cbranch_vccnz .LBB288_46
; %bb.27:
	s_cmp_lg_u64 s[26:27], 0
	s_cselect_b32 s7, -1, 0
	s_and_b32 s1, s7, s1
	s_andn2_b32 vcc_lo, exec_lo, s1
	s_cbranch_vccnz .LBB288_29
; %bb.28:
	s_and_b32 s1, s7, exec_lo
	s_cselect_b32 s1, s27, 0
	s_cselect_b32 s7, s26, 0
	s_lshl_b64 s[12:13], s[2:3], 2
	s_add_u32 s7, s7, s12
	s_addc_u32 s1, s1, s13
	s_lshl_b64 s[8:9], s[8:9], 2
	s_add_u32 s11, s7, s8
	s_addc_u32 s1, s1, s9
	s_ashr_i32 s7, s6, 31
	s_lshl_b64 s[8:9], s[6:7], 2
	s_add_u32 s8, s11, s8
	s_addc_u32 s9, s1, s9
	s_load_dword s1, s[8:9], 0x0
	s_waitcnt lgkmcnt(0)
	v_add_f32_e32 v7, s1, v7
.LBB288_29:
	s_cmp_lt_i32 s10, 2
	s_cbranch_scc1 .LBB288_34
; %bb.30:
	s_cmp_lt_i32 s10, 3
	s_cbranch_scc1 .LBB288_35
; %bb.31:
	v_mov_b32_e32 v0, v1
	s_cmp_eq_u32 s10, 3
	s_cbranch_scc0 .LBB288_33
; %bb.32:
	v_max_f32_e32 v0, v7, v7
	v_min_f32_e32 v0, 0x40e00000, v0
	v_mul_f32_e32 v2, 0xbfd9db23, v0
	v_mul_f32_e32 v3, 0x3fb8aa3b, v2
	v_cmp_ngt_f32_e32 vcc_lo, 0xc2ce8ed0, v2
	v_fma_f32 v4, 0x3fb8aa3b, v2, -v3
	v_rndne_f32_e32 v5, v3
	v_fmamk_f32 v4, v2, 0x32a5705f, v4
	v_sub_f32_e32 v3, v3, v5
	v_add_f32_e32 v3, v3, v4
	v_cvt_i32_f32_e32 v4, v5
	v_exp_f32_e32 v3, v3
	v_ldexp_f32 v3, v3, v4
	v_cndmask_b32_e32 v3, 0, v3, vcc_lo
	v_cmp_nlt_f32_e32 vcc_lo, 0x42b17218, v2
	v_cndmask_b32_e32 v2, 0x7f800000, v3, vcc_lo
	v_add_f32_e32 v2, 1.0, v2
	v_div_scale_f32 v3, null, v2, v2, v0
	v_div_scale_f32 v6, vcc_lo, v0, v2, v0
	v_rcp_f32_e32 v4, v3
	v_fma_f32 v5, -v3, v4, 1.0
	v_fmac_f32_e32 v4, v5, v4
	v_mul_f32_e32 v5, v6, v4
	v_fma_f32 v8, -v3, v5, v6
	v_fmac_f32_e32 v5, v8, v4
	v_max_f32_e32 v8, v1, v1
	v_fma_f32 v3, -v3, v5, v6
	v_min_f32_e32 v6, 0x40e00000, v8
	v_div_fmas_f32 v3, v3, v4, v5
	v_max_f32_e32 v4, 0xc0e00000, v6
	v_div_fixup_f32 v0, v3, v2, v0
	v_add_f32_e32 v2, 1.0, v4
	v_mul_f32_e32 v0, v2, v0
.LBB288_33:
	s_cbranch_execz .LBB288_36
	s_branch .LBB288_37
.LBB288_34:
                                        ; implicit-def: $vgpr0
	s_branch .LBB288_38
.LBB288_35:
                                        ; implicit-def: $vgpr0
.LBB288_36:
	v_mul_f32_e32 v0, 0xbfb8aa3b, v7
	v_cmp_nlt_f32_e32 vcc_lo, 0x42ce8ed0, v7
	v_rndne_f32_e32 v2, v0
	v_fma_f32 v3, 0xbfb8aa3b, v7, -v0
	v_sub_f32_e32 v0, v0, v2
	v_fmamk_f32 v3, v7, 0xb2a5705f, v3
	v_cvt_i32_f32_e32 v2, v2
	v_add_f32_e32 v0, v0, v3
	v_exp_f32_e32 v0, v0
	v_ldexp_f32 v0, v0, v2
	v_cndmask_b32_e32 v0, 0, v0, vcc_lo
	v_cmp_ngt_f32_e32 vcc_lo, 0xc2b17218, v7
	v_cndmask_b32_e32 v0, 0x7f800000, v0, vcc_lo
	v_add_f32_e32 v0, 1.0, v0
	v_div_scale_f32 v2, null, v0, v0, v7
	v_rcp_f32_e32 v3, v2
	v_fma_f32 v4, -v2, v3, 1.0
	v_fmac_f32_e32 v3, v4, v3
	v_div_scale_f32 v4, vcc_lo, v7, v0, v7
	v_mul_f32_e32 v5, v4, v3
	v_fma_f32 v6, -v2, v5, v4
	v_fmac_f32_e32 v5, v6, v3
	v_fma_f32 v2, -v2, v5, v4
	v_div_fmas_f32 v2, v2, v3, v5
	v_div_fixup_f32 v0, v2, v0, v7
	v_mul_f32_e32 v0, v1, v0
.LBB288_37:
	s_cbranch_execnz .LBB288_45
.LBB288_38:
	s_cmp_eq_u32 s10, 1
	s_cbranch_scc0 .LBB288_44
; %bb.39:
	v_mul_f32_e32 v0, 0x3d372713, v7
	v_mul_f32_e32 v2, 0x3f4c422a, v7
	v_fma_f32 v0, v7, v0, 1.0
	v_mul_f32_e32 v0, v2, v0
                                        ; implicit-def: $vgpr2
	v_cmp_ngt_f32_e64 s1, 0x3f200000, |v0|
	s_and_saveexec_b32 s7, s1
	s_xor_b32 s1, exec_lo, s7
	s_cbranch_execz .LBB288_41
; %bb.40:
	v_add_f32_e64 v2, |v0|, |v0|
	v_mul_f32_e32 v3, 0x3fb8aa3b, v2
	v_cmp_ngt_f32_e32 vcc_lo, 0xc2ce8ed0, v2
	v_rndne_f32_e32 v4, v3
	v_fma_f32 v5, 0x3fb8aa3b, v2, -v3
	v_sub_f32_e32 v3, v3, v4
	v_fmamk_f32 v5, v2, 0x32a5705f, v5
	v_cvt_i32_f32_e32 v4, v4
	v_add_f32_e32 v3, v3, v5
	v_exp_f32_e32 v3, v3
	v_ldexp_f32 v3, v3, v4
	v_cndmask_b32_e32 v3, 0, v3, vcc_lo
	v_cmp_nlt_f32_e32 vcc_lo, 0x42b17218, v2
	v_cndmask_b32_e32 v2, 0x7f800000, v3, vcc_lo
	v_add_f32_e32 v2, 1.0, v2
	v_rcp_f32_e32 v2, v2
	v_fma_f32 v2, v2, -2.0, 1.0
.LBB288_41:
	s_andn2_saveexec_b32 s1, s1
	s_cbranch_execz .LBB288_43
; %bb.42:
	v_mul_f32_e32 v2, v0, v0
	s_mov_b32 s7, 0xbbbac73d
	v_fmaak_f32 v3, s7, v2, 0x3ca908c9
	v_fmaak_f32 v3, v2, v3, 0xbd5c1c4e
	;; [unrolled: 1-line block ×4, first 2 shown]
	v_mul_f32_e64 v3, |v0|, v3
	v_fma_f32 v2, v2, v3, |v0|
.LBB288_43:
	s_or_b32 exec_lo, exec_lo, s1
	v_bfi_b32 v0, 0x7fffffff, v2, v0
	v_mul_f32_e32 v2, 0.5, v7
	v_add_f32_e32 v0, 1.0, v0
	v_mul_f32_e32 v0, v2, v0
	v_mul_f32_e32 v1, v1, v0
.LBB288_44:
	v_mov_b32_e32 v0, v1
.LBB288_45:
	v_mov_b32_e32 v1, v0
.LBB288_46:
	s_load_dwordx2 s[4:5], s[4:5], 0x38
	s_mul_i32 s0, s22, s0
	s_lshl_b64 s[2:3], s[2:3], 2
	s_ashr_i32 s1, s0, 31
	v_mov_b32_e32 v0, 0
	s_waitcnt lgkmcnt(0)
	s_add_u32 s2, s4, s2
	s_addc_u32 s3, s5, s3
	s_lshl_b64 s[0:1], s[0:1], 2
	s_add_u32 s2, s2, s0
	s_addc_u32 s3, s3, s1
	s_ashr_i32 s7, s6, 31
	s_lshl_b64 s[0:1], s[6:7], 2
	s_add_u32 s0, s2, s0
	s_addc_u32 s1, s3, s1
	global_store_dword v0, v1, s[0:1]
.LBB288_47:
	s_endpgm
	.section	.rodata,"a",@progbits
	.p2align	6, 0x0
	.amdhsa_kernel _ZL13mul_mat_vec_fI14__hip_bfloat16fLi1ELi160ELb1ELb0EEvPKT_PKfPKi31ggml_cuda_mm_fusion_args_devicePfi15HIP_vector_typeIjLj3EEiiiSB_iiiSB_iiii
		.amdhsa_group_segment_fixed_size 0
		.amdhsa_private_segment_fixed_size 0
		.amdhsa_kernarg_size 144
		.amdhsa_user_sgpr_count 6
		.amdhsa_user_sgpr_private_segment_buffer 1
		.amdhsa_user_sgpr_dispatch_ptr 0
		.amdhsa_user_sgpr_queue_ptr 0
		.amdhsa_user_sgpr_kernarg_segment_ptr 1
		.amdhsa_user_sgpr_dispatch_id 0
		.amdhsa_user_sgpr_flat_scratch_init 0
		.amdhsa_user_sgpr_private_segment_size 0
		.amdhsa_wavefront_size32 1
		.amdhsa_uses_dynamic_stack 0
		.amdhsa_system_sgpr_private_segment_wavefront_offset 0
		.amdhsa_system_sgpr_workgroup_id_x 1
		.amdhsa_system_sgpr_workgroup_id_y 1
		.amdhsa_system_sgpr_workgroup_id_z 1
		.amdhsa_system_sgpr_workgroup_info 0
		.amdhsa_system_vgpr_workitem_id 0
		.amdhsa_next_free_vgpr 17
		.amdhsa_next_free_sgpr 40
		.amdhsa_reserve_vcc 1
		.amdhsa_reserve_flat_scratch 0
		.amdhsa_float_round_mode_32 0
		.amdhsa_float_round_mode_16_64 0
		.amdhsa_float_denorm_mode_32 3
		.amdhsa_float_denorm_mode_16_64 3
		.amdhsa_dx10_clamp 1
		.amdhsa_ieee_mode 1
		.amdhsa_fp16_overflow 0
		.amdhsa_workgroup_processor_mode 1
		.amdhsa_memory_ordered 1
		.amdhsa_forward_progress 1
		.amdhsa_shared_vgpr_count 0
		.amdhsa_exception_fp_ieee_invalid_op 0
		.amdhsa_exception_fp_denorm_src 0
		.amdhsa_exception_fp_ieee_div_zero 0
		.amdhsa_exception_fp_ieee_overflow 0
		.amdhsa_exception_fp_ieee_underflow 0
		.amdhsa_exception_fp_ieee_inexact 0
		.amdhsa_exception_int_div_zero 0
	.end_amdhsa_kernel
	.section	.text._ZL13mul_mat_vec_fI14__hip_bfloat16fLi1ELi160ELb1ELb0EEvPKT_PKfPKi31ggml_cuda_mm_fusion_args_devicePfi15HIP_vector_typeIjLj3EEiiiSB_iiiSB_iiii,"axG",@progbits,_ZL13mul_mat_vec_fI14__hip_bfloat16fLi1ELi160ELb1ELb0EEvPKT_PKfPKi31ggml_cuda_mm_fusion_args_devicePfi15HIP_vector_typeIjLj3EEiiiSB_iiiSB_iiii,comdat
.Lfunc_end288:
	.size	_ZL13mul_mat_vec_fI14__hip_bfloat16fLi1ELi160ELb1ELb0EEvPKT_PKfPKi31ggml_cuda_mm_fusion_args_devicePfi15HIP_vector_typeIjLj3EEiiiSB_iiiSB_iiii, .Lfunc_end288-_ZL13mul_mat_vec_fI14__hip_bfloat16fLi1ELi160ELb1ELb0EEvPKT_PKfPKi31ggml_cuda_mm_fusion_args_devicePfi15HIP_vector_typeIjLj3EEiiiSB_iiiSB_iiii
                                        ; -- End function
	.set _ZL13mul_mat_vec_fI14__hip_bfloat16fLi1ELi160ELb1ELb0EEvPKT_PKfPKi31ggml_cuda_mm_fusion_args_devicePfi15HIP_vector_typeIjLj3EEiiiSB_iiiSB_iiii.num_vgpr, 17
	.set _ZL13mul_mat_vec_fI14__hip_bfloat16fLi1ELi160ELb1ELb0EEvPKT_PKfPKi31ggml_cuda_mm_fusion_args_devicePfi15HIP_vector_typeIjLj3EEiiiSB_iiiSB_iiii.num_agpr, 0
	.set _ZL13mul_mat_vec_fI14__hip_bfloat16fLi1ELi160ELb1ELb0EEvPKT_PKfPKi31ggml_cuda_mm_fusion_args_devicePfi15HIP_vector_typeIjLj3EEiiiSB_iiiSB_iiii.numbered_sgpr, 40
	.set _ZL13mul_mat_vec_fI14__hip_bfloat16fLi1ELi160ELb1ELb0EEvPKT_PKfPKi31ggml_cuda_mm_fusion_args_devicePfi15HIP_vector_typeIjLj3EEiiiSB_iiiSB_iiii.num_named_barrier, 0
	.set _ZL13mul_mat_vec_fI14__hip_bfloat16fLi1ELi160ELb1ELb0EEvPKT_PKfPKi31ggml_cuda_mm_fusion_args_devicePfi15HIP_vector_typeIjLj3EEiiiSB_iiiSB_iiii.private_seg_size, 0
	.set _ZL13mul_mat_vec_fI14__hip_bfloat16fLi1ELi160ELb1ELb0EEvPKT_PKfPKi31ggml_cuda_mm_fusion_args_devicePfi15HIP_vector_typeIjLj3EEiiiSB_iiiSB_iiii.uses_vcc, 1
	.set _ZL13mul_mat_vec_fI14__hip_bfloat16fLi1ELi160ELb1ELb0EEvPKT_PKfPKi31ggml_cuda_mm_fusion_args_devicePfi15HIP_vector_typeIjLj3EEiiiSB_iiiSB_iiii.uses_flat_scratch, 0
	.set _ZL13mul_mat_vec_fI14__hip_bfloat16fLi1ELi160ELb1ELb0EEvPKT_PKfPKi31ggml_cuda_mm_fusion_args_devicePfi15HIP_vector_typeIjLj3EEiiiSB_iiiSB_iiii.has_dyn_sized_stack, 0
	.set _ZL13mul_mat_vec_fI14__hip_bfloat16fLi1ELi160ELb1ELb0EEvPKT_PKfPKi31ggml_cuda_mm_fusion_args_devicePfi15HIP_vector_typeIjLj3EEiiiSB_iiiSB_iiii.has_recursion, 0
	.set _ZL13mul_mat_vec_fI14__hip_bfloat16fLi1ELi160ELb1ELb0EEvPKT_PKfPKi31ggml_cuda_mm_fusion_args_devicePfi15HIP_vector_typeIjLj3EEiiiSB_iiiSB_iiii.has_indirect_call, 0
	.section	.AMDGPU.csdata,"",@progbits
; Kernel info:
; codeLenInByte = 2292
; TotalNumSgprs: 42
; NumVgprs: 17
; ScratchSize: 0
; MemoryBound: 0
; FloatMode: 240
; IeeeMode: 1
; LDSByteSize: 0 bytes/workgroup (compile time only)
; SGPRBlocks: 0
; VGPRBlocks: 2
; NumSGPRsForWavesPerEU: 42
; NumVGPRsForWavesPerEU: 17
; Occupancy: 16
; WaveLimiterHint : 1
; COMPUTE_PGM_RSRC2:SCRATCH_EN: 0
; COMPUTE_PGM_RSRC2:USER_SGPR: 6
; COMPUTE_PGM_RSRC2:TRAP_HANDLER: 0
; COMPUTE_PGM_RSRC2:TGID_X_EN: 1
; COMPUTE_PGM_RSRC2:TGID_Y_EN: 1
; COMPUTE_PGM_RSRC2:TGID_Z_EN: 1
; COMPUTE_PGM_RSRC2:TIDIG_COMP_CNT: 0
	.section	.text._ZL13mul_mat_vec_fI14__hip_bfloat16fLi1ELi160ELb0ELb0EEvPKT_PKfPKi31ggml_cuda_mm_fusion_args_devicePfi15HIP_vector_typeIjLj3EEiiiSB_iiiSB_iiii,"axG",@progbits,_ZL13mul_mat_vec_fI14__hip_bfloat16fLi1ELi160ELb0ELb0EEvPKT_PKfPKi31ggml_cuda_mm_fusion_args_devicePfi15HIP_vector_typeIjLj3EEiiiSB_iiiSB_iiii,comdat
	.globl	_ZL13mul_mat_vec_fI14__hip_bfloat16fLi1ELi160ELb0ELb0EEvPKT_PKfPKi31ggml_cuda_mm_fusion_args_devicePfi15HIP_vector_typeIjLj3EEiiiSB_iiiSB_iiii ; -- Begin function _ZL13mul_mat_vec_fI14__hip_bfloat16fLi1ELi160ELb0ELb0EEvPKT_PKfPKi31ggml_cuda_mm_fusion_args_devicePfi15HIP_vector_typeIjLj3EEiiiSB_iiiSB_iiii
	.p2align	8
	.type	_ZL13mul_mat_vec_fI14__hip_bfloat16fLi1ELi160ELb0ELb0EEvPKT_PKfPKi31ggml_cuda_mm_fusion_args_devicePfi15HIP_vector_typeIjLj3EEiiiSB_iiiSB_iiii,@function
_ZL13mul_mat_vec_fI14__hip_bfloat16fLi1ELi160ELb0ELb0EEvPKT_PKfPKi31ggml_cuda_mm_fusion_args_devicePfi15HIP_vector_typeIjLj3EEiiiSB_iiiSB_iiii: ; @_ZL13mul_mat_vec_fI14__hip_bfloat16fLi1ELi160ELb0ELb0EEvPKT_PKfPKi31ggml_cuda_mm_fusion_args_devicePfi15HIP_vector_typeIjLj3EEiiiSB_iiiSB_iiii
; %bb.0:
	s_clause 0x2
	s_load_dwordx2 s[2:3], s[4:5], 0x10
	s_load_dwordx4 s[20:23], s[4:5], 0x40
	s_load_dwordx4 s[12:15], s[4:5], 0x80
	s_waitcnt lgkmcnt(0)
	s_cmp_eq_u64 s[2:3], 0
	s_cselect_b32 s9, -1, 0
	s_cmp_lg_u64 s[2:3], 0
	s_cselect_b32 s10, -1, 0
	s_and_b32 vcc_lo, exec_lo, s9
	s_cbranch_vccnz .LBB289_2
; %bb.1:
	s_mul_i32 s0, s15, s8
	s_mov_b32 s1, 0
	s_add_i32 s0, s0, s7
	s_lshl_b64 s[16:17], s[0:1], 2
	s_add_u32 s2, s2, s16
	s_addc_u32 s3, s3, s17
	s_load_dword s24, s[2:3], 0x0
	s_load_dword s25, s[4:5], 0x50
	s_cbranch_execz .LBB289_3
	s_branch .LBB289_4
.LBB289_2:
                                        ; implicit-def: $sgpr24
	s_load_dword s25, s[4:5], 0x50
.LBB289_3:
	s_load_dwordx2 s[0:1], s[4:5], 0x5c
	s_waitcnt lgkmcnt(0)
	s_mul_hi_u32 s0, s0, s7
	s_add_i32 s0, s7, s0
	s_lshr_b32 s24, s0, s1
.LBB289_4:
	s_load_dwordx4 s[16:19], s[4:5], 0x68
	s_andn2_b32 vcc_lo, exec_lo, s10
	s_mov_b32 s26, s7
	s_cbranch_vccnz .LBB289_6
; %bb.5:
	s_mul_hi_u32 s0, s21, s7
	s_add_i32 s0, s7, s0
	s_lshr_b32 s0, s0, s22
	s_mul_i32 s0, s0, s23
	s_sub_i32 s26, s7, s0
.LBB289_6:
	s_load_dword s1, s[4:5], 0x78
	v_cmp_gt_u32_e32 vcc_lo, 32, v0
	v_lshl_add_u32 v5, v0, 2, 0
	s_and_saveexec_b32 s0, vcc_lo
; %bb.7:
	v_mov_b32_e32 v1, 0
	ds_write_b32 v5, v1
; %bb.8:
	s_or_b32 exec_lo, exec_lo, s0
	v_mov_b32_e32 v6, 0
	s_and_b32 s0, exec_lo, s9
	s_mov_b32 s3, 0
	s_cselect_b32 s2, s8, 0
	s_mov_b32 s15, exec_lo
	s_waitcnt lgkmcnt(0)
	s_barrier
	buffer_gl0_inv
	v_cmpx_gt_i32_e64 s20, v0
	s_cbranch_execz .LBB289_12
; %bb.9:
	s_load_dwordx4 s[8:11], s[4:5], 0x0
	s_mul_hi_u32 s0, s19, s2
	s_mul_i32 s16, s24, s16
	s_mul_i32 s24, s26, s17
	;; [unrolled: 1-line block ×3, first 2 shown]
	s_add_i32 s0, s2, s0
	s_ashr_i32 s25, s24, 31
	s_mul_hi_i32 s27, s2, s13
	s_mul_i32 s26, s2, s13
	s_lshr_b32 s19, s0, s1
	s_lshl_b64 s[0:1], s[24:25], 2
	v_lshlrev_b32_e32 v1, 3, v0
	s_ashr_i32 s17, s16, 31
	s_ashr_i32 s23, s22, 31
	s_lshl_b64 s[26:27], s[26:27], 2
	s_mul_hi_i32 s13, s19, s12
	s_mul_i32 s12, s19, s12
	v_lshlrev_b32_e32 v3, 2, v0
	v_mov_b32_e32 v6, 0
	v_mov_b32_e32 v7, v0
	s_waitcnt lgkmcnt(0)
	s_add_u32 s0, s10, s0
	s_addc_u32 s1, s11, s1
	s_add_u32 s0, s0, s26
	s_addc_u32 s1, s1, s27
	v_add_co_u32 v1, s0, s0, v1
	v_add_co_ci_u32_e64 v2, null, s1, 0, s0
	s_lshl_b64 s[10:11], s[12:13], 1
	v_add_co_u32 v1, s0, v1, 4
	v_add_co_ci_u32_e64 v2, null, 0, v2, s0
	s_lshl_b64 s[0:1], s[16:17], 1
	s_lshl_b64 s[12:13], s[22:23], 1
	s_add_u32 s0, s8, s0
	s_addc_u32 s1, s9, s1
	s_add_u32 s0, s0, s12
	s_addc_u32 s1, s1, s13
	;; [unrolled: 2-line block ×3, first 2 shown]
	v_add_co_u32 v3, s0, s0, v3
	v_add_co_ci_u32_e64 v4, null, s1, 0, s0
	.p2align	6
.LBB289_10:                             ; =>This Inner Loop Header: Depth=1
	global_load_dword v10, v[3:4], off
	global_load_dwordx2 v[8:9], v[1:2], off offset:-4
	v_add_nc_u32_e32 v7, 0xa0, v7
	v_add_co_u32 v1, s0, 0x500, v1
	v_add_co_ci_u32_e64 v2, null, 0, v2, s0
	v_add_co_u32 v3, s0, 0x280, v3
	v_cmp_le_i32_e64 s1, s20, v7
	v_add_co_ci_u32_e64 v4, null, 0, v4, s0
	s_or_b32 s3, s1, s3
	s_waitcnt vmcnt(1)
	v_lshlrev_b32_e32 v11, 16, v10
	v_and_b32_e32 v10, 0xffff0000, v10
	s_waitcnt vmcnt(0)
	v_fmac_f32_e32 v6, v8, v11
	v_fmac_f32_e32 v6, v9, v10
	s_andn2_b32 exec_lo, exec_lo, s3
	s_cbranch_execnz .LBB289_10
; %bb.11:
	s_or_b32 exec_lo, exec_lo, s3
.LBB289_12:
	s_or_b32 exec_lo, exec_lo, s15
	v_mbcnt_lo_u32_b32 v2, -1, 0
	v_xor_b32_e32 v1, 16, v2
	v_xor_b32_e32 v3, 8, v2
	v_cmp_gt_i32_e64 s0, 32, v1
	v_cndmask_b32_e64 v1, v2, v1, s0
	v_cmp_gt_i32_e64 s0, 32, v3
	v_lshlrev_b32_e32 v1, 2, v1
	v_cndmask_b32_e64 v3, v2, v3, s0
	ds_bpermute_b32 v4, v1, v6
	v_lshlrev_b32_e32 v3, 2, v3
	s_waitcnt lgkmcnt(0)
	v_add_f32_e32 v6, v6, v4
	v_xor_b32_e32 v4, 4, v2
	ds_bpermute_b32 v7, v3, v6
	v_cmp_gt_i32_e64 s0, 32, v4
	v_cndmask_b32_e64 v4, v2, v4, s0
	v_lshlrev_b32_e32 v4, 2, v4
	s_waitcnt lgkmcnt(0)
	v_add_f32_e32 v7, v6, v7
	v_xor_b32_e32 v6, 2, v2
	ds_bpermute_b32 v8, v4, v7
	v_cmp_gt_i32_e64 s0, 32, v6
	v_cndmask_b32_e64 v6, v2, v6, s0
	;; [unrolled: 7-line block ×3, first 2 shown]
	v_lshlrev_b32_e32 v7, 2, v2
	s_waitcnt lgkmcnt(0)
	v_add_f32_e32 v2, v8, v9
	v_lshrrev_b32_e32 v9, 3, v0
	ds_bpermute_b32 v8, v7, v2
	v_and_b32_e32 v9, 0x7c, v9
	v_add_nc_u32_e32 v9, 0, v9
	s_waitcnt lgkmcnt(0)
	v_add_f32_e32 v2, v2, v8
	ds_write_b32 v9, v2
	s_waitcnt lgkmcnt(0)
	s_barrier
	buffer_gl0_inv
	s_and_saveexec_b32 s0, vcc_lo
	s_cbranch_execz .LBB289_14
; %bb.13:
	ds_read_b32 v2, v5
	s_waitcnt lgkmcnt(0)
	ds_bpermute_b32 v1, v1, v2
	s_waitcnt lgkmcnt(0)
	v_add_f32_e32 v1, v2, v1
	ds_bpermute_b32 v2, v3, v1
	s_waitcnt lgkmcnt(0)
	v_add_f32_e32 v1, v1, v2
	;; [unrolled: 3-line block ×5, first 2 shown]
.LBB289_14:
	s_or_b32 exec_lo, exec_lo, s0
	s_barrier
	buffer_gl0_inv
	s_mov_b32 s0, exec_lo
	v_cmpx_eq_u32_e32 0, v0
	s_cbranch_execz .LBB289_16
; %bb.15:
	s_load_dwordx2 s[0:1], s[4:5], 0x38
	s_mul_hi_i32 s3, s14, s2
	s_mul_i32 s2, s14, s2
	s_mul_i32 s4, s18, s7
	s_lshl_b64 s[2:3], s[2:3], 2
	s_ashr_i32 s5, s4, 31
	v_mov_b32_e32 v0, 0
	s_waitcnt lgkmcnt(0)
	s_add_u32 s2, s0, s2
	s_addc_u32 s3, s1, s3
	s_lshl_b64 s[0:1], s[4:5], 2
	s_add_u32 s2, s2, s0
	s_addc_u32 s3, s3, s1
	s_ashr_i32 s7, s6, 31
	s_lshl_b64 s[0:1], s[6:7], 2
	s_add_u32 s0, s2, s0
	s_addc_u32 s1, s3, s1
	global_store_dword v0, v2, s[0:1]
.LBB289_16:
	s_endpgm
	.section	.rodata,"a",@progbits
	.p2align	6, 0x0
	.amdhsa_kernel _ZL13mul_mat_vec_fI14__hip_bfloat16fLi1ELi160ELb0ELb0EEvPKT_PKfPKi31ggml_cuda_mm_fusion_args_devicePfi15HIP_vector_typeIjLj3EEiiiSB_iiiSB_iiii
		.amdhsa_group_segment_fixed_size 0
		.amdhsa_private_segment_fixed_size 0
		.amdhsa_kernarg_size 144
		.amdhsa_user_sgpr_count 6
		.amdhsa_user_sgpr_private_segment_buffer 1
		.amdhsa_user_sgpr_dispatch_ptr 0
		.amdhsa_user_sgpr_queue_ptr 0
		.amdhsa_user_sgpr_kernarg_segment_ptr 1
		.amdhsa_user_sgpr_dispatch_id 0
		.amdhsa_user_sgpr_flat_scratch_init 0
		.amdhsa_user_sgpr_private_segment_size 0
		.amdhsa_wavefront_size32 1
		.amdhsa_uses_dynamic_stack 0
		.amdhsa_system_sgpr_private_segment_wavefront_offset 0
		.amdhsa_system_sgpr_workgroup_id_x 1
		.amdhsa_system_sgpr_workgroup_id_y 1
		.amdhsa_system_sgpr_workgroup_id_z 1
		.amdhsa_system_sgpr_workgroup_info 0
		.amdhsa_system_vgpr_workitem_id 0
		.amdhsa_next_free_vgpr 12
		.amdhsa_next_free_sgpr 28
		.amdhsa_reserve_vcc 1
		.amdhsa_reserve_flat_scratch 0
		.amdhsa_float_round_mode_32 0
		.amdhsa_float_round_mode_16_64 0
		.amdhsa_float_denorm_mode_32 3
		.amdhsa_float_denorm_mode_16_64 3
		.amdhsa_dx10_clamp 1
		.amdhsa_ieee_mode 1
		.amdhsa_fp16_overflow 0
		.amdhsa_workgroup_processor_mode 1
		.amdhsa_memory_ordered 1
		.amdhsa_forward_progress 1
		.amdhsa_shared_vgpr_count 0
		.amdhsa_exception_fp_ieee_invalid_op 0
		.amdhsa_exception_fp_denorm_src 0
		.amdhsa_exception_fp_ieee_div_zero 0
		.amdhsa_exception_fp_ieee_overflow 0
		.amdhsa_exception_fp_ieee_underflow 0
		.amdhsa_exception_fp_ieee_inexact 0
		.amdhsa_exception_int_div_zero 0
	.end_amdhsa_kernel
	.section	.text._ZL13mul_mat_vec_fI14__hip_bfloat16fLi1ELi160ELb0ELb0EEvPKT_PKfPKi31ggml_cuda_mm_fusion_args_devicePfi15HIP_vector_typeIjLj3EEiiiSB_iiiSB_iiii,"axG",@progbits,_ZL13mul_mat_vec_fI14__hip_bfloat16fLi1ELi160ELb0ELb0EEvPKT_PKfPKi31ggml_cuda_mm_fusion_args_devicePfi15HIP_vector_typeIjLj3EEiiiSB_iiiSB_iiii,comdat
.Lfunc_end289:
	.size	_ZL13mul_mat_vec_fI14__hip_bfloat16fLi1ELi160ELb0ELb0EEvPKT_PKfPKi31ggml_cuda_mm_fusion_args_devicePfi15HIP_vector_typeIjLj3EEiiiSB_iiiSB_iiii, .Lfunc_end289-_ZL13mul_mat_vec_fI14__hip_bfloat16fLi1ELi160ELb0ELb0EEvPKT_PKfPKi31ggml_cuda_mm_fusion_args_devicePfi15HIP_vector_typeIjLj3EEiiiSB_iiiSB_iiii
                                        ; -- End function
	.set _ZL13mul_mat_vec_fI14__hip_bfloat16fLi1ELi160ELb0ELb0EEvPKT_PKfPKi31ggml_cuda_mm_fusion_args_devicePfi15HIP_vector_typeIjLj3EEiiiSB_iiiSB_iiii.num_vgpr, 12
	.set _ZL13mul_mat_vec_fI14__hip_bfloat16fLi1ELi160ELb0ELb0EEvPKT_PKfPKi31ggml_cuda_mm_fusion_args_devicePfi15HIP_vector_typeIjLj3EEiiiSB_iiiSB_iiii.num_agpr, 0
	.set _ZL13mul_mat_vec_fI14__hip_bfloat16fLi1ELi160ELb0ELb0EEvPKT_PKfPKi31ggml_cuda_mm_fusion_args_devicePfi15HIP_vector_typeIjLj3EEiiiSB_iiiSB_iiii.numbered_sgpr, 28
	.set _ZL13mul_mat_vec_fI14__hip_bfloat16fLi1ELi160ELb0ELb0EEvPKT_PKfPKi31ggml_cuda_mm_fusion_args_devicePfi15HIP_vector_typeIjLj3EEiiiSB_iiiSB_iiii.num_named_barrier, 0
	.set _ZL13mul_mat_vec_fI14__hip_bfloat16fLi1ELi160ELb0ELb0EEvPKT_PKfPKi31ggml_cuda_mm_fusion_args_devicePfi15HIP_vector_typeIjLj3EEiiiSB_iiiSB_iiii.private_seg_size, 0
	.set _ZL13mul_mat_vec_fI14__hip_bfloat16fLi1ELi160ELb0ELb0EEvPKT_PKfPKi31ggml_cuda_mm_fusion_args_devicePfi15HIP_vector_typeIjLj3EEiiiSB_iiiSB_iiii.uses_vcc, 1
	.set _ZL13mul_mat_vec_fI14__hip_bfloat16fLi1ELi160ELb0ELb0EEvPKT_PKfPKi31ggml_cuda_mm_fusion_args_devicePfi15HIP_vector_typeIjLj3EEiiiSB_iiiSB_iiii.uses_flat_scratch, 0
	.set _ZL13mul_mat_vec_fI14__hip_bfloat16fLi1ELi160ELb0ELb0EEvPKT_PKfPKi31ggml_cuda_mm_fusion_args_devicePfi15HIP_vector_typeIjLj3EEiiiSB_iiiSB_iiii.has_dyn_sized_stack, 0
	.set _ZL13mul_mat_vec_fI14__hip_bfloat16fLi1ELi160ELb0ELb0EEvPKT_PKfPKi31ggml_cuda_mm_fusion_args_devicePfi15HIP_vector_typeIjLj3EEiiiSB_iiiSB_iiii.has_recursion, 0
	.set _ZL13mul_mat_vec_fI14__hip_bfloat16fLi1ELi160ELb0ELb0EEvPKT_PKfPKi31ggml_cuda_mm_fusion_args_devicePfi15HIP_vector_typeIjLj3EEiiiSB_iiiSB_iiii.has_indirect_call, 0
	.section	.AMDGPU.csdata,"",@progbits
; Kernel info:
; codeLenInByte = 1092
; TotalNumSgprs: 30
; NumVgprs: 12
; ScratchSize: 0
; MemoryBound: 0
; FloatMode: 240
; IeeeMode: 1
; LDSByteSize: 0 bytes/workgroup (compile time only)
; SGPRBlocks: 0
; VGPRBlocks: 1
; NumSGPRsForWavesPerEU: 30
; NumVGPRsForWavesPerEU: 12
; Occupancy: 16
; WaveLimiterHint : 0
; COMPUTE_PGM_RSRC2:SCRATCH_EN: 0
; COMPUTE_PGM_RSRC2:USER_SGPR: 6
; COMPUTE_PGM_RSRC2:TRAP_HANDLER: 0
; COMPUTE_PGM_RSRC2:TGID_X_EN: 1
; COMPUTE_PGM_RSRC2:TGID_Y_EN: 1
; COMPUTE_PGM_RSRC2:TGID_Z_EN: 1
; COMPUTE_PGM_RSRC2:TIDIG_COMP_CNT: 0
	.section	.text._ZL13mul_mat_vec_fI14__hip_bfloat16fLi1ELi192ELb1ELb0EEvPKT_PKfPKi31ggml_cuda_mm_fusion_args_devicePfi15HIP_vector_typeIjLj3EEiiiSB_iiiSB_iiii,"axG",@progbits,_ZL13mul_mat_vec_fI14__hip_bfloat16fLi1ELi192ELb1ELb0EEvPKT_PKfPKi31ggml_cuda_mm_fusion_args_devicePfi15HIP_vector_typeIjLj3EEiiiSB_iiiSB_iiii,comdat
	.globl	_ZL13mul_mat_vec_fI14__hip_bfloat16fLi1ELi192ELb1ELb0EEvPKT_PKfPKi31ggml_cuda_mm_fusion_args_devicePfi15HIP_vector_typeIjLj3EEiiiSB_iiiSB_iiii ; -- Begin function _ZL13mul_mat_vec_fI14__hip_bfloat16fLi1ELi192ELb1ELb0EEvPKT_PKfPKi31ggml_cuda_mm_fusion_args_devicePfi15HIP_vector_typeIjLj3EEiiiSB_iiiSB_iiii
	.p2align	8
	.type	_ZL13mul_mat_vec_fI14__hip_bfloat16fLi1ELi192ELb1ELb0EEvPKT_PKfPKi31ggml_cuda_mm_fusion_args_devicePfi15HIP_vector_typeIjLj3EEiiiSB_iiiSB_iiii,@function
_ZL13mul_mat_vec_fI14__hip_bfloat16fLi1ELi192ELb1ELb0EEvPKT_PKfPKi31ggml_cuda_mm_fusion_args_devicePfi15HIP_vector_typeIjLj3EEiiiSB_iiiSB_iiii: ; @_ZL13mul_mat_vec_fI14__hip_bfloat16fLi1ELi192ELb1ELb0EEvPKT_PKfPKi31ggml_cuda_mm_fusion_args_devicePfi15HIP_vector_typeIjLj3EEiiiSB_iiiSB_iiii
; %bb.0:
	s_clause 0x3
	s_load_dwordx8 s[12:19], s[4:5], 0x0
	s_load_dwordx4 s[24:27], s[4:5], 0x20
	s_load_dwordx4 s[36:39], s[4:5], 0x40
	;; [unrolled: 1-line block ×3, first 2 shown]
	s_mov_b32 s0, s7
	s_waitcnt lgkmcnt(0)
	s_cmp_eq_u64 s[16:17], 0
	s_cselect_b32 s11, -1, 0
	s_cmp_lg_u64 s[16:17], 0
	s_cselect_b32 s1, -1, 0
	s_and_b32 vcc_lo, exec_lo, s11
	s_cbranch_vccnz .LBB290_2
; %bb.1:
	s_mul_i32 s2, s31, s8
	s_mov_b32 s3, 0
	s_add_i32 s2, s2, s0
	s_lshl_b64 s[20:21], s[2:3], 2
	s_add_u32 s16, s16, s20
	s_addc_u32 s17, s17, s21
	s_load_dword s7, s[16:17], 0x0
	s_load_dword s16, s[4:5], 0x50
	s_waitcnt lgkmcnt(0)
	s_mov_b32 s3, s7
	s_cbranch_execz .LBB290_3
	s_branch .LBB290_4
.LBB290_2:
                                        ; implicit-def: $sgpr7
	s_load_dword s16, s[4:5], 0x50
	s_mov_b32 s3, s7
.LBB290_3:
	s_load_dwordx2 s[2:3], s[4:5], 0x5c
	s_mov_b32 s7, s0
	s_waitcnt lgkmcnt(0)
	s_mul_hi_u32 s2, s2, s0
	s_add_i32 s2, s0, s2
	s_lshr_b32 s3, s2, s3
.LBB290_4:
	s_load_dwordx4 s[20:23], s[4:5], 0x68
	s_andn2_b32 vcc_lo, exec_lo, s1
	s_mov_b32 s17, s0
	s_cbranch_vccnz .LBB290_6
; %bb.5:
	s_mul_hi_u32 s1, s37, s0
	s_add_i32 s1, s0, s1
	s_lshr_b32 s1, s1, s38
	s_mul_i32 s1, s1, s39
	s_sub_i32 s17, s0, s1
.LBB290_6:
	s_load_dword s31, s[4:5], 0x78
	s_cmp_lg_u64 s[24:25], 0
	v_cmp_gt_u32_e64 s2, 32, v0
	v_lshl_add_u32 v8, v0, 2, 0
	s_cselect_b32 s1, -1, 0
	s_cmp_eq_u64 s[24:25], 0
	s_cselect_b32 s9, -1, 0
	s_and_saveexec_b32 s10, s2
	s_cbranch_execz .LBB290_9
; %bb.7:
	v_mov_b32_e32 v1, 0
	s_andn2_b32 vcc_lo, exec_lo, s1
	ds_write_b32 v8, v1
	s_cbranch_vccnz .LBB290_9
; %bb.8:
	ds_write_b32 v8, v1 offset:128
.LBB290_9:
	s_or_b32 exec_lo, exec_lo, s10
	v_mov_b32_e32 v7, 0
	v_mov_b32_e32 v9, 0
	s_and_b32 s11, exec_lo, s11
	s_mov_b32 s10, 0
	s_cselect_b32 s11, s8, 0
	s_mov_b32 s8, exec_lo
	s_waitcnt lgkmcnt(0)
	s_barrier
	buffer_gl0_inv
	v_cmpx_gt_i32_e64 s36, v0
	s_cbranch_execz .LBB290_15
; %bb.10:
	s_mul_hi_u32 s23, s23, s11
	s_mul_i32 s3, s3, s20
	s_add_i32 s23, s11, s23
	s_mul_i32 s16, s16, s6
	s_lshr_b32 s20, s23, s31
	s_ashr_i32 s31, s16, 31
	s_mul_hi_i32 s23, s20, s28
	s_mul_i32 s20, s20, s28
	s_ashr_i32 s28, s3, 31
	s_add_u32 s16, s20, s16
	s_addc_u32 s23, s23, s31
	s_mul_i32 s20, s17, s21
	s_add_u32 s16, s16, s3
	s_addc_u32 s17, s23, s28
	s_ashr_i32 s21, s20, 31
	s_and_b32 s3, s1, exec_lo
	s_cselect_b32 s3, s25, 0
	s_cselect_b32 s23, s24, 0
	;; [unrolled: 1-line block ×4, first 2 shown]
	v_lshlrev_b32_e32 v5, 2, v0
	s_lshl_b64 s[24:25], s[24:25], 1
	v_lshlrev_b32_e32 v3, 3, v0
	s_add_u32 s23, s23, s24
	s_addc_u32 s3, s3, s25
	s_mul_hi_i32 s25, s11, s29
	s_mul_i32 s24, s11, s29
	v_add_co_u32 v1, s23, s23, v5
	s_lshl_b64 s[20:21], s[20:21], 2
	s_lshl_b64 s[24:25], s[24:25], 2
	v_add_co_ci_u32_e64 v2, null, s3, 0, s23
	s_add_u32 s3, s14, s20
	s_addc_u32 s14, s15, s21
	s_add_u32 s3, s3, s24
	s_addc_u32 s14, s14, s25
	v_add_co_u32 v3, s3, s3, v3
	v_add_co_ci_u32_e64 v4, null, s14, 0, s3
	s_lshl_b64 s[14:15], s[16:17], 1
	v_add_co_u32 v3, vcc_lo, v3, 4
	s_add_u32 s3, s12, s14
	s_addc_u32 s12, s13, s15
	v_add_co_u32 v5, s3, s3, v5
	v_mov_b32_e32 v7, 0
	v_add_co_ci_u32_e64 v4, null, 0, v4, vcc_lo
	v_add_co_ci_u32_e64 v6, null, s12, 0, s3
	v_mov_b32_e32 v10, v0
	v_mov_b32_e32 v9, 0
	s_inst_prefetch 0x1
	s_branch .LBB290_12
	.p2align	6
.LBB290_11:                             ;   in Loop: Header=BB290_12 Depth=1
	global_load_dwordx2 v[14:15], v[3:4], off offset:-4
	s_waitcnt vmcnt(1)
	v_lshlrev_b32_e32 v16, 16, v13
	v_add_nc_u32_e32 v10, 0xc0, v10
	v_add_co_u32 v1, vcc_lo, 0x300, v1
	v_and_b32_e32 v13, 0xffff0000, v13
	v_add_co_ci_u32_e64 v2, null, 0, v2, vcc_lo
	v_add_co_u32 v3, vcc_lo, 0x600, v3
	v_add_co_ci_u32_e64 v4, null, 0, v4, vcc_lo
	v_cmp_le_i32_e32 vcc_lo, s36, v10
	v_add_co_u32 v5, s3, 0x300, v5
	v_add_co_ci_u32_e64 v6, null, 0, v6, s3
	s_or_b32 s10, vcc_lo, s10
	s_waitcnt vmcnt(0)
	v_fma_f32 v12, v12, v14, v7
	v_fmac_f32_e32 v9, v14, v16
	v_fmac_f32_e32 v12, v11, v15
	;; [unrolled: 1-line block ×3, first 2 shown]
	v_cndmask_b32_e64 v7, v7, v12, s1
	s_andn2_b32 exec_lo, exec_lo, s10
	s_cbranch_execz .LBB290_14
.LBB290_12:                             ; =>This Inner Loop Header: Depth=1
	global_load_dword v13, v[5:6], off
	v_mov_b32_e32 v11, 0
	v_mov_b32_e32 v12, 0
	s_andn2_b32 vcc_lo, exec_lo, s1
	s_cbranch_vccnz .LBB290_11
; %bb.13:                               ;   in Loop: Header=BB290_12 Depth=1
	global_load_dword v11, v[1:2], off
	s_waitcnt vmcnt(0)
	v_lshlrev_b32_e32 v12, 16, v11
	v_and_b32_e32 v11, 0xffff0000, v11
	s_branch .LBB290_11
.LBB290_14:
	s_inst_prefetch 0x2
	s_or_b32 exec_lo, exec_lo, s10
.LBB290_15:
	s_or_b32 exec_lo, exec_lo, s8
	v_mbcnt_lo_u32_b32 v1, -1, 0
	s_load_dword s10, s[4:5], 0x30
	s_mov_b32 s3, -1
	v_xor_b32_e32 v2, 16, v1
	v_xor_b32_e32 v3, 8, v1
	v_cmp_gt_i32_e32 vcc_lo, 32, v2
	v_cndmask_b32_e32 v2, v1, v2, vcc_lo
	v_cmp_gt_i32_e32 vcc_lo, 32, v3
	v_lshlrev_b32_e32 v2, 2, v2
	v_cndmask_b32_e32 v3, v1, v3, vcc_lo
	ds_bpermute_b32 v4, v2, v9
	v_lshlrev_b32_e32 v3, 2, v3
	s_waitcnt lgkmcnt(0)
	v_add_f32_e32 v5, v9, v4
	v_xor_b32_e32 v4, 4, v1
	ds_bpermute_b32 v6, v3, v5
	v_cmp_gt_i32_e32 vcc_lo, 32, v4
	v_cndmask_b32_e32 v4, v1, v4, vcc_lo
	v_lshlrev_b32_e32 v4, 2, v4
	s_waitcnt lgkmcnt(0)
	v_add_f32_e32 v6, v5, v6
	v_xor_b32_e32 v5, 2, v1
	ds_bpermute_b32 v9, v4, v6
	v_cmp_gt_i32_e32 vcc_lo, 32, v5
	v_cndmask_b32_e32 v5, v1, v5, vcc_lo
	;; [unrolled: 7-line block ×3, first 2 shown]
	s_and_b32 vcc_lo, exec_lo, s9
	v_lshlrev_b32_e32 v6, 2, v1
	s_waitcnt lgkmcnt(0)
	v_add_f32_e32 v1, v9, v10
	v_lshrrev_b32_e32 v10, 5, v0
	ds_bpermute_b32 v9, v6, v1
	s_waitcnt lgkmcnt(0)
	v_add_f32_e32 v1, v1, v9
	v_lshl_add_u32 v9, v10, 2, 0
	s_cbranch_vccz .LBB290_17
; %bb.16:
	s_mov_b32 s3, 0
	ds_write_b32 v9, v1
.LBB290_17:
	s_andn2_b32 vcc_lo, exec_lo, s3
	s_cbranch_vccnz .LBB290_19
; %bb.18:
	ds_bpermute_b32 v10, v2, v7
	s_waitcnt lgkmcnt(0)
	v_add_f32_e32 v7, v7, v10
	ds_bpermute_b32 v10, v3, v7
	s_waitcnt lgkmcnt(0)
	v_add_f32_e32 v7, v7, v10
	;; [unrolled: 3-line block ×5, first 2 shown]
	ds_write2_b32 v9, v1, v7 offset1:32
.LBB290_19:
	s_waitcnt lgkmcnt(0)
	s_barrier
	buffer_gl0_inv
	s_and_saveexec_b32 s3, s2
	s_cbranch_execz .LBB290_23
; %bb.20:
	ds_read_b32 v1, v8
	s_andn2_b32 vcc_lo, exec_lo, s1
	s_waitcnt lgkmcnt(0)
	ds_bpermute_b32 v9, v2, v1
	s_waitcnt lgkmcnt(0)
	v_add_f32_e32 v1, v1, v9
	ds_bpermute_b32 v9, v3, v1
	s_waitcnt lgkmcnt(0)
	v_add_f32_e32 v1, v1, v9
	;; [unrolled: 3-line block ×4, first 2 shown]
	ds_bpermute_b32 v9, v6, v1
	s_cbranch_vccnz .LBB290_22
; %bb.21:
	ds_read_b32 v7, v8 offset:128
	s_waitcnt lgkmcnt(0)
	ds_bpermute_b32 v2, v2, v7
	s_waitcnt lgkmcnt(0)
	v_add_f32_e32 v2, v7, v2
	ds_bpermute_b32 v3, v3, v2
	s_waitcnt lgkmcnt(0)
	v_add_f32_e32 v2, v2, v3
	;; [unrolled: 3-line block ×5, first 2 shown]
.LBB290_22:
	s_waitcnt lgkmcnt(0)
	v_add_f32_e32 v1, v1, v9
.LBB290_23:
	s_or_b32 exec_lo, exec_lo, s3
	s_barrier
	buffer_gl0_inv
	s_mov_b32 s2, exec_lo
	v_cmpx_eq_u32_e32 0, v0
	s_cbranch_execz .LBB290_47
; %bb.24:
	s_cmp_eq_u64 s[18:19], 0
	s_mul_i32 s8, s7, s22
	s_cselect_b32 s2, -1, 0
	s_ashr_i32 s9, s8, 31
	s_mul_hi_i32 s3, s30, s11
	s_and_b32 vcc_lo, exec_lo, s2
	s_mul_i32 s2, s30, s11
	s_cbranch_vccnz .LBB290_26
; %bb.25:
	s_cselect_b32 s7, 0, s19
	s_cselect_b32 s11, 0, s18
	s_lshl_b64 s[12:13], s[2:3], 2
	s_add_u32 s11, s11, s12
	s_addc_u32 s7, s7, s13
	s_lshl_b64 s[12:13], s[8:9], 2
	s_add_u32 s11, s11, s12
	s_addc_u32 s14, s7, s13
	s_ashr_i32 s7, s6, 31
	s_lshl_b64 s[12:13], s[6:7], 2
	s_add_u32 s12, s11, s12
	s_addc_u32 s13, s14, s13
	s_load_dword s7, s[12:13], 0x0
	s_waitcnt lgkmcnt(0)
	v_add_f32_e32 v1, s7, v1
.LBB290_26:
	s_andn2_b32 vcc_lo, exec_lo, s1
	s_cbranch_vccnz .LBB290_46
; %bb.27:
	s_cmp_lg_u64 s[26:27], 0
	s_cselect_b32 s7, -1, 0
	s_and_b32 s1, s7, s1
	s_andn2_b32 vcc_lo, exec_lo, s1
	s_cbranch_vccnz .LBB290_29
; %bb.28:
	s_and_b32 s1, s7, exec_lo
	s_cselect_b32 s1, s27, 0
	s_cselect_b32 s7, s26, 0
	s_lshl_b64 s[12:13], s[2:3], 2
	s_add_u32 s7, s7, s12
	s_addc_u32 s1, s1, s13
	s_lshl_b64 s[8:9], s[8:9], 2
	s_add_u32 s11, s7, s8
	s_addc_u32 s1, s1, s9
	s_ashr_i32 s7, s6, 31
	s_lshl_b64 s[8:9], s[6:7], 2
	s_add_u32 s8, s11, s8
	s_addc_u32 s9, s1, s9
	s_load_dword s1, s[8:9], 0x0
	s_waitcnt lgkmcnt(0)
	v_add_f32_e32 v7, s1, v7
.LBB290_29:
	s_cmp_lt_i32 s10, 2
	s_cbranch_scc1 .LBB290_34
; %bb.30:
	s_cmp_lt_i32 s10, 3
	s_cbranch_scc1 .LBB290_35
; %bb.31:
	v_mov_b32_e32 v0, v1
	s_cmp_eq_u32 s10, 3
	s_cbranch_scc0 .LBB290_33
; %bb.32:
	v_max_f32_e32 v0, v7, v7
	v_min_f32_e32 v0, 0x40e00000, v0
	v_mul_f32_e32 v2, 0xbfd9db23, v0
	v_mul_f32_e32 v3, 0x3fb8aa3b, v2
	v_cmp_ngt_f32_e32 vcc_lo, 0xc2ce8ed0, v2
	v_fma_f32 v4, 0x3fb8aa3b, v2, -v3
	v_rndne_f32_e32 v5, v3
	v_fmamk_f32 v4, v2, 0x32a5705f, v4
	v_sub_f32_e32 v3, v3, v5
	v_add_f32_e32 v3, v3, v4
	v_cvt_i32_f32_e32 v4, v5
	v_exp_f32_e32 v3, v3
	v_ldexp_f32 v3, v3, v4
	v_cndmask_b32_e32 v3, 0, v3, vcc_lo
	v_cmp_nlt_f32_e32 vcc_lo, 0x42b17218, v2
	v_cndmask_b32_e32 v2, 0x7f800000, v3, vcc_lo
	v_add_f32_e32 v2, 1.0, v2
	v_div_scale_f32 v3, null, v2, v2, v0
	v_div_scale_f32 v6, vcc_lo, v0, v2, v0
	v_rcp_f32_e32 v4, v3
	v_fma_f32 v5, -v3, v4, 1.0
	v_fmac_f32_e32 v4, v5, v4
	v_mul_f32_e32 v5, v6, v4
	v_fma_f32 v8, -v3, v5, v6
	v_fmac_f32_e32 v5, v8, v4
	v_max_f32_e32 v8, v1, v1
	v_fma_f32 v3, -v3, v5, v6
	v_min_f32_e32 v6, 0x40e00000, v8
	v_div_fmas_f32 v3, v3, v4, v5
	v_max_f32_e32 v4, 0xc0e00000, v6
	v_div_fixup_f32 v0, v3, v2, v0
	v_add_f32_e32 v2, 1.0, v4
	v_mul_f32_e32 v0, v2, v0
.LBB290_33:
	s_cbranch_execz .LBB290_36
	s_branch .LBB290_37
.LBB290_34:
                                        ; implicit-def: $vgpr0
	s_branch .LBB290_38
.LBB290_35:
                                        ; implicit-def: $vgpr0
.LBB290_36:
	v_mul_f32_e32 v0, 0xbfb8aa3b, v7
	v_cmp_nlt_f32_e32 vcc_lo, 0x42ce8ed0, v7
	v_rndne_f32_e32 v2, v0
	v_fma_f32 v3, 0xbfb8aa3b, v7, -v0
	v_sub_f32_e32 v0, v0, v2
	v_fmamk_f32 v3, v7, 0xb2a5705f, v3
	v_cvt_i32_f32_e32 v2, v2
	v_add_f32_e32 v0, v0, v3
	v_exp_f32_e32 v0, v0
	v_ldexp_f32 v0, v0, v2
	v_cndmask_b32_e32 v0, 0, v0, vcc_lo
	v_cmp_ngt_f32_e32 vcc_lo, 0xc2b17218, v7
	v_cndmask_b32_e32 v0, 0x7f800000, v0, vcc_lo
	v_add_f32_e32 v0, 1.0, v0
	v_div_scale_f32 v2, null, v0, v0, v7
	v_rcp_f32_e32 v3, v2
	v_fma_f32 v4, -v2, v3, 1.0
	v_fmac_f32_e32 v3, v4, v3
	v_div_scale_f32 v4, vcc_lo, v7, v0, v7
	v_mul_f32_e32 v5, v4, v3
	v_fma_f32 v6, -v2, v5, v4
	v_fmac_f32_e32 v5, v6, v3
	v_fma_f32 v2, -v2, v5, v4
	v_div_fmas_f32 v2, v2, v3, v5
	v_div_fixup_f32 v0, v2, v0, v7
	v_mul_f32_e32 v0, v1, v0
.LBB290_37:
	s_cbranch_execnz .LBB290_45
.LBB290_38:
	s_cmp_eq_u32 s10, 1
	s_cbranch_scc0 .LBB290_44
; %bb.39:
	v_mul_f32_e32 v0, 0x3d372713, v7
	v_mul_f32_e32 v2, 0x3f4c422a, v7
	v_fma_f32 v0, v7, v0, 1.0
	v_mul_f32_e32 v0, v2, v0
                                        ; implicit-def: $vgpr2
	v_cmp_ngt_f32_e64 s1, 0x3f200000, |v0|
	s_and_saveexec_b32 s7, s1
	s_xor_b32 s1, exec_lo, s7
	s_cbranch_execz .LBB290_41
; %bb.40:
	v_add_f32_e64 v2, |v0|, |v0|
	v_mul_f32_e32 v3, 0x3fb8aa3b, v2
	v_cmp_ngt_f32_e32 vcc_lo, 0xc2ce8ed0, v2
	v_rndne_f32_e32 v4, v3
	v_fma_f32 v5, 0x3fb8aa3b, v2, -v3
	v_sub_f32_e32 v3, v3, v4
	v_fmamk_f32 v5, v2, 0x32a5705f, v5
	v_cvt_i32_f32_e32 v4, v4
	v_add_f32_e32 v3, v3, v5
	v_exp_f32_e32 v3, v3
	v_ldexp_f32 v3, v3, v4
	v_cndmask_b32_e32 v3, 0, v3, vcc_lo
	v_cmp_nlt_f32_e32 vcc_lo, 0x42b17218, v2
	v_cndmask_b32_e32 v2, 0x7f800000, v3, vcc_lo
	v_add_f32_e32 v2, 1.0, v2
	v_rcp_f32_e32 v2, v2
	v_fma_f32 v2, v2, -2.0, 1.0
.LBB290_41:
	s_andn2_saveexec_b32 s1, s1
	s_cbranch_execz .LBB290_43
; %bb.42:
	v_mul_f32_e32 v2, v0, v0
	s_mov_b32 s7, 0xbbbac73d
	v_fmaak_f32 v3, s7, v2, 0x3ca908c9
	v_fmaak_f32 v3, v2, v3, 0xbd5c1c4e
	;; [unrolled: 1-line block ×4, first 2 shown]
	v_mul_f32_e64 v3, |v0|, v3
	v_fma_f32 v2, v2, v3, |v0|
.LBB290_43:
	s_or_b32 exec_lo, exec_lo, s1
	v_bfi_b32 v0, 0x7fffffff, v2, v0
	v_mul_f32_e32 v2, 0.5, v7
	v_add_f32_e32 v0, 1.0, v0
	v_mul_f32_e32 v0, v2, v0
	v_mul_f32_e32 v1, v1, v0
.LBB290_44:
	v_mov_b32_e32 v0, v1
.LBB290_45:
	v_mov_b32_e32 v1, v0
.LBB290_46:
	s_load_dwordx2 s[4:5], s[4:5], 0x38
	s_mul_i32 s0, s22, s0
	s_lshl_b64 s[2:3], s[2:3], 2
	s_ashr_i32 s1, s0, 31
	v_mov_b32_e32 v0, 0
	s_waitcnt lgkmcnt(0)
	s_add_u32 s2, s4, s2
	s_addc_u32 s3, s5, s3
	s_lshl_b64 s[0:1], s[0:1], 2
	s_add_u32 s2, s2, s0
	s_addc_u32 s3, s3, s1
	s_ashr_i32 s7, s6, 31
	s_lshl_b64 s[0:1], s[6:7], 2
	s_add_u32 s0, s2, s0
	s_addc_u32 s1, s3, s1
	global_store_dword v0, v1, s[0:1]
.LBB290_47:
	s_endpgm
	.section	.rodata,"a",@progbits
	.p2align	6, 0x0
	.amdhsa_kernel _ZL13mul_mat_vec_fI14__hip_bfloat16fLi1ELi192ELb1ELb0EEvPKT_PKfPKi31ggml_cuda_mm_fusion_args_devicePfi15HIP_vector_typeIjLj3EEiiiSB_iiiSB_iiii
		.amdhsa_group_segment_fixed_size 0
		.amdhsa_private_segment_fixed_size 0
		.amdhsa_kernarg_size 144
		.amdhsa_user_sgpr_count 6
		.amdhsa_user_sgpr_private_segment_buffer 1
		.amdhsa_user_sgpr_dispatch_ptr 0
		.amdhsa_user_sgpr_queue_ptr 0
		.amdhsa_user_sgpr_kernarg_segment_ptr 1
		.amdhsa_user_sgpr_dispatch_id 0
		.amdhsa_user_sgpr_flat_scratch_init 0
		.amdhsa_user_sgpr_private_segment_size 0
		.amdhsa_wavefront_size32 1
		.amdhsa_uses_dynamic_stack 0
		.amdhsa_system_sgpr_private_segment_wavefront_offset 0
		.amdhsa_system_sgpr_workgroup_id_x 1
		.amdhsa_system_sgpr_workgroup_id_y 1
		.amdhsa_system_sgpr_workgroup_id_z 1
		.amdhsa_system_sgpr_workgroup_info 0
		.amdhsa_system_vgpr_workitem_id 0
		.amdhsa_next_free_vgpr 17
		.amdhsa_next_free_sgpr 40
		.amdhsa_reserve_vcc 1
		.amdhsa_reserve_flat_scratch 0
		.amdhsa_float_round_mode_32 0
		.amdhsa_float_round_mode_16_64 0
		.amdhsa_float_denorm_mode_32 3
		.amdhsa_float_denorm_mode_16_64 3
		.amdhsa_dx10_clamp 1
		.amdhsa_ieee_mode 1
		.amdhsa_fp16_overflow 0
		.amdhsa_workgroup_processor_mode 1
		.amdhsa_memory_ordered 1
		.amdhsa_forward_progress 1
		.amdhsa_shared_vgpr_count 0
		.amdhsa_exception_fp_ieee_invalid_op 0
		.amdhsa_exception_fp_denorm_src 0
		.amdhsa_exception_fp_ieee_div_zero 0
		.amdhsa_exception_fp_ieee_overflow 0
		.amdhsa_exception_fp_ieee_underflow 0
		.amdhsa_exception_fp_ieee_inexact 0
		.amdhsa_exception_int_div_zero 0
	.end_amdhsa_kernel
	.section	.text._ZL13mul_mat_vec_fI14__hip_bfloat16fLi1ELi192ELb1ELb0EEvPKT_PKfPKi31ggml_cuda_mm_fusion_args_devicePfi15HIP_vector_typeIjLj3EEiiiSB_iiiSB_iiii,"axG",@progbits,_ZL13mul_mat_vec_fI14__hip_bfloat16fLi1ELi192ELb1ELb0EEvPKT_PKfPKi31ggml_cuda_mm_fusion_args_devicePfi15HIP_vector_typeIjLj3EEiiiSB_iiiSB_iiii,comdat
.Lfunc_end290:
	.size	_ZL13mul_mat_vec_fI14__hip_bfloat16fLi1ELi192ELb1ELb0EEvPKT_PKfPKi31ggml_cuda_mm_fusion_args_devicePfi15HIP_vector_typeIjLj3EEiiiSB_iiiSB_iiii, .Lfunc_end290-_ZL13mul_mat_vec_fI14__hip_bfloat16fLi1ELi192ELb1ELb0EEvPKT_PKfPKi31ggml_cuda_mm_fusion_args_devicePfi15HIP_vector_typeIjLj3EEiiiSB_iiiSB_iiii
                                        ; -- End function
	.set _ZL13mul_mat_vec_fI14__hip_bfloat16fLi1ELi192ELb1ELb0EEvPKT_PKfPKi31ggml_cuda_mm_fusion_args_devicePfi15HIP_vector_typeIjLj3EEiiiSB_iiiSB_iiii.num_vgpr, 17
	.set _ZL13mul_mat_vec_fI14__hip_bfloat16fLi1ELi192ELb1ELb0EEvPKT_PKfPKi31ggml_cuda_mm_fusion_args_devicePfi15HIP_vector_typeIjLj3EEiiiSB_iiiSB_iiii.num_agpr, 0
	.set _ZL13mul_mat_vec_fI14__hip_bfloat16fLi1ELi192ELb1ELb0EEvPKT_PKfPKi31ggml_cuda_mm_fusion_args_devicePfi15HIP_vector_typeIjLj3EEiiiSB_iiiSB_iiii.numbered_sgpr, 40
	.set _ZL13mul_mat_vec_fI14__hip_bfloat16fLi1ELi192ELb1ELb0EEvPKT_PKfPKi31ggml_cuda_mm_fusion_args_devicePfi15HIP_vector_typeIjLj3EEiiiSB_iiiSB_iiii.num_named_barrier, 0
	.set _ZL13mul_mat_vec_fI14__hip_bfloat16fLi1ELi192ELb1ELb0EEvPKT_PKfPKi31ggml_cuda_mm_fusion_args_devicePfi15HIP_vector_typeIjLj3EEiiiSB_iiiSB_iiii.private_seg_size, 0
	.set _ZL13mul_mat_vec_fI14__hip_bfloat16fLi1ELi192ELb1ELb0EEvPKT_PKfPKi31ggml_cuda_mm_fusion_args_devicePfi15HIP_vector_typeIjLj3EEiiiSB_iiiSB_iiii.uses_vcc, 1
	.set _ZL13mul_mat_vec_fI14__hip_bfloat16fLi1ELi192ELb1ELb0EEvPKT_PKfPKi31ggml_cuda_mm_fusion_args_devicePfi15HIP_vector_typeIjLj3EEiiiSB_iiiSB_iiii.uses_flat_scratch, 0
	.set _ZL13mul_mat_vec_fI14__hip_bfloat16fLi1ELi192ELb1ELb0EEvPKT_PKfPKi31ggml_cuda_mm_fusion_args_devicePfi15HIP_vector_typeIjLj3EEiiiSB_iiiSB_iiii.has_dyn_sized_stack, 0
	.set _ZL13mul_mat_vec_fI14__hip_bfloat16fLi1ELi192ELb1ELb0EEvPKT_PKfPKi31ggml_cuda_mm_fusion_args_devicePfi15HIP_vector_typeIjLj3EEiiiSB_iiiSB_iiii.has_recursion, 0
	.set _ZL13mul_mat_vec_fI14__hip_bfloat16fLi1ELi192ELb1ELb0EEvPKT_PKfPKi31ggml_cuda_mm_fusion_args_devicePfi15HIP_vector_typeIjLj3EEiiiSB_iiiSB_iiii.has_indirect_call, 0
	.section	.AMDGPU.csdata,"",@progbits
; Kernel info:
; codeLenInByte = 2292
; TotalNumSgprs: 42
; NumVgprs: 17
; ScratchSize: 0
; MemoryBound: 0
; FloatMode: 240
; IeeeMode: 1
; LDSByteSize: 0 bytes/workgroup (compile time only)
; SGPRBlocks: 0
; VGPRBlocks: 2
; NumSGPRsForWavesPerEU: 42
; NumVGPRsForWavesPerEU: 17
; Occupancy: 16
; WaveLimiterHint : 1
; COMPUTE_PGM_RSRC2:SCRATCH_EN: 0
; COMPUTE_PGM_RSRC2:USER_SGPR: 6
; COMPUTE_PGM_RSRC2:TRAP_HANDLER: 0
; COMPUTE_PGM_RSRC2:TGID_X_EN: 1
; COMPUTE_PGM_RSRC2:TGID_Y_EN: 1
; COMPUTE_PGM_RSRC2:TGID_Z_EN: 1
; COMPUTE_PGM_RSRC2:TIDIG_COMP_CNT: 0
	.section	.text._ZL13mul_mat_vec_fI14__hip_bfloat16fLi1ELi192ELb0ELb0EEvPKT_PKfPKi31ggml_cuda_mm_fusion_args_devicePfi15HIP_vector_typeIjLj3EEiiiSB_iiiSB_iiii,"axG",@progbits,_ZL13mul_mat_vec_fI14__hip_bfloat16fLi1ELi192ELb0ELb0EEvPKT_PKfPKi31ggml_cuda_mm_fusion_args_devicePfi15HIP_vector_typeIjLj3EEiiiSB_iiiSB_iiii,comdat
	.globl	_ZL13mul_mat_vec_fI14__hip_bfloat16fLi1ELi192ELb0ELb0EEvPKT_PKfPKi31ggml_cuda_mm_fusion_args_devicePfi15HIP_vector_typeIjLj3EEiiiSB_iiiSB_iiii ; -- Begin function _ZL13mul_mat_vec_fI14__hip_bfloat16fLi1ELi192ELb0ELb0EEvPKT_PKfPKi31ggml_cuda_mm_fusion_args_devicePfi15HIP_vector_typeIjLj3EEiiiSB_iiiSB_iiii
	.p2align	8
	.type	_ZL13mul_mat_vec_fI14__hip_bfloat16fLi1ELi192ELb0ELb0EEvPKT_PKfPKi31ggml_cuda_mm_fusion_args_devicePfi15HIP_vector_typeIjLj3EEiiiSB_iiiSB_iiii,@function
_ZL13mul_mat_vec_fI14__hip_bfloat16fLi1ELi192ELb0ELb0EEvPKT_PKfPKi31ggml_cuda_mm_fusion_args_devicePfi15HIP_vector_typeIjLj3EEiiiSB_iiiSB_iiii: ; @_ZL13mul_mat_vec_fI14__hip_bfloat16fLi1ELi192ELb0ELb0EEvPKT_PKfPKi31ggml_cuda_mm_fusion_args_devicePfi15HIP_vector_typeIjLj3EEiiiSB_iiiSB_iiii
; %bb.0:
	s_clause 0x2
	s_load_dwordx2 s[2:3], s[4:5], 0x10
	s_load_dwordx4 s[20:23], s[4:5], 0x40
	s_load_dwordx4 s[12:15], s[4:5], 0x80
	s_waitcnt lgkmcnt(0)
	s_cmp_eq_u64 s[2:3], 0
	s_cselect_b32 s9, -1, 0
	s_cmp_lg_u64 s[2:3], 0
	s_cselect_b32 s10, -1, 0
	s_and_b32 vcc_lo, exec_lo, s9
	s_cbranch_vccnz .LBB291_2
; %bb.1:
	s_mul_i32 s0, s15, s8
	s_mov_b32 s1, 0
	s_add_i32 s0, s0, s7
	s_lshl_b64 s[16:17], s[0:1], 2
	s_add_u32 s2, s2, s16
	s_addc_u32 s3, s3, s17
	s_load_dword s24, s[2:3], 0x0
	s_load_dword s25, s[4:5], 0x50
	s_cbranch_execz .LBB291_3
	s_branch .LBB291_4
.LBB291_2:
                                        ; implicit-def: $sgpr24
	s_load_dword s25, s[4:5], 0x50
.LBB291_3:
	s_load_dwordx2 s[0:1], s[4:5], 0x5c
	s_waitcnt lgkmcnt(0)
	s_mul_hi_u32 s0, s0, s7
	s_add_i32 s0, s7, s0
	s_lshr_b32 s24, s0, s1
.LBB291_4:
	s_load_dwordx4 s[16:19], s[4:5], 0x68
	s_andn2_b32 vcc_lo, exec_lo, s10
	s_mov_b32 s26, s7
	s_cbranch_vccnz .LBB291_6
; %bb.5:
	s_mul_hi_u32 s0, s21, s7
	s_add_i32 s0, s7, s0
	s_lshr_b32 s0, s0, s22
	s_mul_i32 s0, s0, s23
	s_sub_i32 s26, s7, s0
.LBB291_6:
	s_load_dword s1, s[4:5], 0x78
	v_cmp_gt_u32_e32 vcc_lo, 32, v0
	v_lshl_add_u32 v5, v0, 2, 0
	s_and_saveexec_b32 s0, vcc_lo
; %bb.7:
	v_mov_b32_e32 v1, 0
	ds_write_b32 v5, v1
; %bb.8:
	s_or_b32 exec_lo, exec_lo, s0
	v_mov_b32_e32 v6, 0
	s_and_b32 s0, exec_lo, s9
	s_mov_b32 s3, 0
	s_cselect_b32 s2, s8, 0
	s_mov_b32 s15, exec_lo
	s_waitcnt lgkmcnt(0)
	s_barrier
	buffer_gl0_inv
	v_cmpx_gt_i32_e64 s20, v0
	s_cbranch_execz .LBB291_12
; %bb.9:
	s_load_dwordx4 s[8:11], s[4:5], 0x0
	s_mul_hi_u32 s0, s19, s2
	s_mul_i32 s16, s24, s16
	s_mul_i32 s24, s26, s17
	;; [unrolled: 1-line block ×3, first 2 shown]
	s_add_i32 s0, s2, s0
	s_ashr_i32 s25, s24, 31
	s_mul_hi_i32 s27, s2, s13
	s_mul_i32 s26, s2, s13
	s_lshr_b32 s19, s0, s1
	s_lshl_b64 s[0:1], s[24:25], 2
	v_lshlrev_b32_e32 v1, 3, v0
	s_ashr_i32 s17, s16, 31
	s_ashr_i32 s23, s22, 31
	s_lshl_b64 s[26:27], s[26:27], 2
	s_mul_hi_i32 s13, s19, s12
	s_mul_i32 s12, s19, s12
	v_lshlrev_b32_e32 v3, 2, v0
	v_mov_b32_e32 v6, 0
	v_mov_b32_e32 v7, v0
	s_waitcnt lgkmcnt(0)
	s_add_u32 s0, s10, s0
	s_addc_u32 s1, s11, s1
	s_add_u32 s0, s0, s26
	s_addc_u32 s1, s1, s27
	v_add_co_u32 v1, s0, s0, v1
	v_add_co_ci_u32_e64 v2, null, s1, 0, s0
	s_lshl_b64 s[10:11], s[12:13], 1
	v_add_co_u32 v1, s0, v1, 4
	v_add_co_ci_u32_e64 v2, null, 0, v2, s0
	s_lshl_b64 s[0:1], s[16:17], 1
	s_lshl_b64 s[12:13], s[22:23], 1
	s_add_u32 s0, s8, s0
	s_addc_u32 s1, s9, s1
	s_add_u32 s0, s0, s12
	s_addc_u32 s1, s1, s13
	;; [unrolled: 2-line block ×3, first 2 shown]
	v_add_co_u32 v3, s0, s0, v3
	v_add_co_ci_u32_e64 v4, null, s1, 0, s0
	.p2align	6
.LBB291_10:                             ; =>This Inner Loop Header: Depth=1
	global_load_dword v10, v[3:4], off
	global_load_dwordx2 v[8:9], v[1:2], off offset:-4
	v_add_nc_u32_e32 v7, 0xc0, v7
	v_add_co_u32 v1, s0, 0x600, v1
	v_add_co_ci_u32_e64 v2, null, 0, v2, s0
	v_add_co_u32 v3, s0, 0x300, v3
	v_cmp_le_i32_e64 s1, s20, v7
	v_add_co_ci_u32_e64 v4, null, 0, v4, s0
	s_or_b32 s3, s1, s3
	s_waitcnt vmcnt(1)
	v_lshlrev_b32_e32 v11, 16, v10
	v_and_b32_e32 v10, 0xffff0000, v10
	s_waitcnt vmcnt(0)
	v_fmac_f32_e32 v6, v8, v11
	v_fmac_f32_e32 v6, v9, v10
	s_andn2_b32 exec_lo, exec_lo, s3
	s_cbranch_execnz .LBB291_10
; %bb.11:
	s_or_b32 exec_lo, exec_lo, s3
.LBB291_12:
	s_or_b32 exec_lo, exec_lo, s15
	v_mbcnt_lo_u32_b32 v2, -1, 0
	v_xor_b32_e32 v1, 16, v2
	v_xor_b32_e32 v3, 8, v2
	v_cmp_gt_i32_e64 s0, 32, v1
	v_cndmask_b32_e64 v1, v2, v1, s0
	v_cmp_gt_i32_e64 s0, 32, v3
	v_lshlrev_b32_e32 v1, 2, v1
	v_cndmask_b32_e64 v3, v2, v3, s0
	ds_bpermute_b32 v4, v1, v6
	v_lshlrev_b32_e32 v3, 2, v3
	s_waitcnt lgkmcnt(0)
	v_add_f32_e32 v6, v6, v4
	v_xor_b32_e32 v4, 4, v2
	ds_bpermute_b32 v7, v3, v6
	v_cmp_gt_i32_e64 s0, 32, v4
	v_cndmask_b32_e64 v4, v2, v4, s0
	v_lshlrev_b32_e32 v4, 2, v4
	s_waitcnt lgkmcnt(0)
	v_add_f32_e32 v7, v6, v7
	v_xor_b32_e32 v6, 2, v2
	ds_bpermute_b32 v8, v4, v7
	v_cmp_gt_i32_e64 s0, 32, v6
	v_cndmask_b32_e64 v6, v2, v6, s0
	;; [unrolled: 7-line block ×3, first 2 shown]
	v_lshlrev_b32_e32 v7, 2, v2
	s_waitcnt lgkmcnt(0)
	v_add_f32_e32 v2, v8, v9
	v_lshrrev_b32_e32 v9, 3, v0
	ds_bpermute_b32 v8, v7, v2
	v_and_b32_e32 v9, 0x7c, v9
	v_add_nc_u32_e32 v9, 0, v9
	s_waitcnt lgkmcnt(0)
	v_add_f32_e32 v2, v2, v8
	ds_write_b32 v9, v2
	s_waitcnt lgkmcnt(0)
	s_barrier
	buffer_gl0_inv
	s_and_saveexec_b32 s0, vcc_lo
	s_cbranch_execz .LBB291_14
; %bb.13:
	ds_read_b32 v2, v5
	s_waitcnt lgkmcnt(0)
	ds_bpermute_b32 v1, v1, v2
	s_waitcnt lgkmcnt(0)
	v_add_f32_e32 v1, v2, v1
	ds_bpermute_b32 v2, v3, v1
	s_waitcnt lgkmcnt(0)
	v_add_f32_e32 v1, v1, v2
	ds_bpermute_b32 v2, v4, v1
	s_waitcnt lgkmcnt(0)
	v_add_f32_e32 v1, v1, v2
	ds_bpermute_b32 v2, v6, v1
	s_waitcnt lgkmcnt(0)
	v_add_f32_e32 v1, v1, v2
	ds_bpermute_b32 v2, v7, v1
	s_waitcnt lgkmcnt(0)
	v_add_f32_e32 v2, v1, v2
.LBB291_14:
	s_or_b32 exec_lo, exec_lo, s0
	s_barrier
	buffer_gl0_inv
	s_mov_b32 s0, exec_lo
	v_cmpx_eq_u32_e32 0, v0
	s_cbranch_execz .LBB291_16
; %bb.15:
	s_load_dwordx2 s[0:1], s[4:5], 0x38
	s_mul_hi_i32 s3, s14, s2
	s_mul_i32 s2, s14, s2
	s_mul_i32 s4, s18, s7
	s_lshl_b64 s[2:3], s[2:3], 2
	s_ashr_i32 s5, s4, 31
	v_mov_b32_e32 v0, 0
	s_waitcnt lgkmcnt(0)
	s_add_u32 s2, s0, s2
	s_addc_u32 s3, s1, s3
	s_lshl_b64 s[0:1], s[4:5], 2
	s_add_u32 s2, s2, s0
	s_addc_u32 s3, s3, s1
	s_ashr_i32 s7, s6, 31
	s_lshl_b64 s[0:1], s[6:7], 2
	s_add_u32 s0, s2, s0
	s_addc_u32 s1, s3, s1
	global_store_dword v0, v2, s[0:1]
.LBB291_16:
	s_endpgm
	.section	.rodata,"a",@progbits
	.p2align	6, 0x0
	.amdhsa_kernel _ZL13mul_mat_vec_fI14__hip_bfloat16fLi1ELi192ELb0ELb0EEvPKT_PKfPKi31ggml_cuda_mm_fusion_args_devicePfi15HIP_vector_typeIjLj3EEiiiSB_iiiSB_iiii
		.amdhsa_group_segment_fixed_size 0
		.amdhsa_private_segment_fixed_size 0
		.amdhsa_kernarg_size 144
		.amdhsa_user_sgpr_count 6
		.amdhsa_user_sgpr_private_segment_buffer 1
		.amdhsa_user_sgpr_dispatch_ptr 0
		.amdhsa_user_sgpr_queue_ptr 0
		.amdhsa_user_sgpr_kernarg_segment_ptr 1
		.amdhsa_user_sgpr_dispatch_id 0
		.amdhsa_user_sgpr_flat_scratch_init 0
		.amdhsa_user_sgpr_private_segment_size 0
		.amdhsa_wavefront_size32 1
		.amdhsa_uses_dynamic_stack 0
		.amdhsa_system_sgpr_private_segment_wavefront_offset 0
		.amdhsa_system_sgpr_workgroup_id_x 1
		.amdhsa_system_sgpr_workgroup_id_y 1
		.amdhsa_system_sgpr_workgroup_id_z 1
		.amdhsa_system_sgpr_workgroup_info 0
		.amdhsa_system_vgpr_workitem_id 0
		.amdhsa_next_free_vgpr 12
		.amdhsa_next_free_sgpr 28
		.amdhsa_reserve_vcc 1
		.amdhsa_reserve_flat_scratch 0
		.amdhsa_float_round_mode_32 0
		.amdhsa_float_round_mode_16_64 0
		.amdhsa_float_denorm_mode_32 3
		.amdhsa_float_denorm_mode_16_64 3
		.amdhsa_dx10_clamp 1
		.amdhsa_ieee_mode 1
		.amdhsa_fp16_overflow 0
		.amdhsa_workgroup_processor_mode 1
		.amdhsa_memory_ordered 1
		.amdhsa_forward_progress 1
		.amdhsa_shared_vgpr_count 0
		.amdhsa_exception_fp_ieee_invalid_op 0
		.amdhsa_exception_fp_denorm_src 0
		.amdhsa_exception_fp_ieee_div_zero 0
		.amdhsa_exception_fp_ieee_overflow 0
		.amdhsa_exception_fp_ieee_underflow 0
		.amdhsa_exception_fp_ieee_inexact 0
		.amdhsa_exception_int_div_zero 0
	.end_amdhsa_kernel
	.section	.text._ZL13mul_mat_vec_fI14__hip_bfloat16fLi1ELi192ELb0ELb0EEvPKT_PKfPKi31ggml_cuda_mm_fusion_args_devicePfi15HIP_vector_typeIjLj3EEiiiSB_iiiSB_iiii,"axG",@progbits,_ZL13mul_mat_vec_fI14__hip_bfloat16fLi1ELi192ELb0ELb0EEvPKT_PKfPKi31ggml_cuda_mm_fusion_args_devicePfi15HIP_vector_typeIjLj3EEiiiSB_iiiSB_iiii,comdat
.Lfunc_end291:
	.size	_ZL13mul_mat_vec_fI14__hip_bfloat16fLi1ELi192ELb0ELb0EEvPKT_PKfPKi31ggml_cuda_mm_fusion_args_devicePfi15HIP_vector_typeIjLj3EEiiiSB_iiiSB_iiii, .Lfunc_end291-_ZL13mul_mat_vec_fI14__hip_bfloat16fLi1ELi192ELb0ELb0EEvPKT_PKfPKi31ggml_cuda_mm_fusion_args_devicePfi15HIP_vector_typeIjLj3EEiiiSB_iiiSB_iiii
                                        ; -- End function
	.set _ZL13mul_mat_vec_fI14__hip_bfloat16fLi1ELi192ELb0ELb0EEvPKT_PKfPKi31ggml_cuda_mm_fusion_args_devicePfi15HIP_vector_typeIjLj3EEiiiSB_iiiSB_iiii.num_vgpr, 12
	.set _ZL13mul_mat_vec_fI14__hip_bfloat16fLi1ELi192ELb0ELb0EEvPKT_PKfPKi31ggml_cuda_mm_fusion_args_devicePfi15HIP_vector_typeIjLj3EEiiiSB_iiiSB_iiii.num_agpr, 0
	.set _ZL13mul_mat_vec_fI14__hip_bfloat16fLi1ELi192ELb0ELb0EEvPKT_PKfPKi31ggml_cuda_mm_fusion_args_devicePfi15HIP_vector_typeIjLj3EEiiiSB_iiiSB_iiii.numbered_sgpr, 28
	.set _ZL13mul_mat_vec_fI14__hip_bfloat16fLi1ELi192ELb0ELb0EEvPKT_PKfPKi31ggml_cuda_mm_fusion_args_devicePfi15HIP_vector_typeIjLj3EEiiiSB_iiiSB_iiii.num_named_barrier, 0
	.set _ZL13mul_mat_vec_fI14__hip_bfloat16fLi1ELi192ELb0ELb0EEvPKT_PKfPKi31ggml_cuda_mm_fusion_args_devicePfi15HIP_vector_typeIjLj3EEiiiSB_iiiSB_iiii.private_seg_size, 0
	.set _ZL13mul_mat_vec_fI14__hip_bfloat16fLi1ELi192ELb0ELb0EEvPKT_PKfPKi31ggml_cuda_mm_fusion_args_devicePfi15HIP_vector_typeIjLj3EEiiiSB_iiiSB_iiii.uses_vcc, 1
	.set _ZL13mul_mat_vec_fI14__hip_bfloat16fLi1ELi192ELb0ELb0EEvPKT_PKfPKi31ggml_cuda_mm_fusion_args_devicePfi15HIP_vector_typeIjLj3EEiiiSB_iiiSB_iiii.uses_flat_scratch, 0
	.set _ZL13mul_mat_vec_fI14__hip_bfloat16fLi1ELi192ELb0ELb0EEvPKT_PKfPKi31ggml_cuda_mm_fusion_args_devicePfi15HIP_vector_typeIjLj3EEiiiSB_iiiSB_iiii.has_dyn_sized_stack, 0
	.set _ZL13mul_mat_vec_fI14__hip_bfloat16fLi1ELi192ELb0ELb0EEvPKT_PKfPKi31ggml_cuda_mm_fusion_args_devicePfi15HIP_vector_typeIjLj3EEiiiSB_iiiSB_iiii.has_recursion, 0
	.set _ZL13mul_mat_vec_fI14__hip_bfloat16fLi1ELi192ELb0ELb0EEvPKT_PKfPKi31ggml_cuda_mm_fusion_args_devicePfi15HIP_vector_typeIjLj3EEiiiSB_iiiSB_iiii.has_indirect_call, 0
	.section	.AMDGPU.csdata,"",@progbits
; Kernel info:
; codeLenInByte = 1092
; TotalNumSgprs: 30
; NumVgprs: 12
; ScratchSize: 0
; MemoryBound: 0
; FloatMode: 240
; IeeeMode: 1
; LDSByteSize: 0 bytes/workgroup (compile time only)
; SGPRBlocks: 0
; VGPRBlocks: 1
; NumSGPRsForWavesPerEU: 30
; NumVGPRsForWavesPerEU: 12
; Occupancy: 16
; WaveLimiterHint : 0
; COMPUTE_PGM_RSRC2:SCRATCH_EN: 0
; COMPUTE_PGM_RSRC2:USER_SGPR: 6
; COMPUTE_PGM_RSRC2:TRAP_HANDLER: 0
; COMPUTE_PGM_RSRC2:TGID_X_EN: 1
; COMPUTE_PGM_RSRC2:TGID_Y_EN: 1
; COMPUTE_PGM_RSRC2:TGID_Z_EN: 1
; COMPUTE_PGM_RSRC2:TIDIG_COMP_CNT: 0
	.section	.text._ZL13mul_mat_vec_fI14__hip_bfloat16fLi1ELi224ELb1ELb0EEvPKT_PKfPKi31ggml_cuda_mm_fusion_args_devicePfi15HIP_vector_typeIjLj3EEiiiSB_iiiSB_iiii,"axG",@progbits,_ZL13mul_mat_vec_fI14__hip_bfloat16fLi1ELi224ELb1ELb0EEvPKT_PKfPKi31ggml_cuda_mm_fusion_args_devicePfi15HIP_vector_typeIjLj3EEiiiSB_iiiSB_iiii,comdat
	.globl	_ZL13mul_mat_vec_fI14__hip_bfloat16fLi1ELi224ELb1ELb0EEvPKT_PKfPKi31ggml_cuda_mm_fusion_args_devicePfi15HIP_vector_typeIjLj3EEiiiSB_iiiSB_iiii ; -- Begin function _ZL13mul_mat_vec_fI14__hip_bfloat16fLi1ELi224ELb1ELb0EEvPKT_PKfPKi31ggml_cuda_mm_fusion_args_devicePfi15HIP_vector_typeIjLj3EEiiiSB_iiiSB_iiii
	.p2align	8
	.type	_ZL13mul_mat_vec_fI14__hip_bfloat16fLi1ELi224ELb1ELb0EEvPKT_PKfPKi31ggml_cuda_mm_fusion_args_devicePfi15HIP_vector_typeIjLj3EEiiiSB_iiiSB_iiii,@function
_ZL13mul_mat_vec_fI14__hip_bfloat16fLi1ELi224ELb1ELb0EEvPKT_PKfPKi31ggml_cuda_mm_fusion_args_devicePfi15HIP_vector_typeIjLj3EEiiiSB_iiiSB_iiii: ; @_ZL13mul_mat_vec_fI14__hip_bfloat16fLi1ELi224ELb1ELb0EEvPKT_PKfPKi31ggml_cuda_mm_fusion_args_devicePfi15HIP_vector_typeIjLj3EEiiiSB_iiiSB_iiii
; %bb.0:
	s_clause 0x3
	s_load_dwordx8 s[12:19], s[4:5], 0x0
	s_load_dwordx4 s[24:27], s[4:5], 0x20
	s_load_dwordx4 s[36:39], s[4:5], 0x40
	;; [unrolled: 1-line block ×3, first 2 shown]
	s_mov_b32 s0, s7
	s_waitcnt lgkmcnt(0)
	s_cmp_eq_u64 s[16:17], 0
	s_cselect_b32 s11, -1, 0
	s_cmp_lg_u64 s[16:17], 0
	s_cselect_b32 s1, -1, 0
	s_and_b32 vcc_lo, exec_lo, s11
	s_cbranch_vccnz .LBB292_2
; %bb.1:
	s_mul_i32 s2, s31, s8
	s_mov_b32 s3, 0
	s_add_i32 s2, s2, s0
	s_lshl_b64 s[20:21], s[2:3], 2
	s_add_u32 s16, s16, s20
	s_addc_u32 s17, s17, s21
	s_load_dword s7, s[16:17], 0x0
	s_load_dword s16, s[4:5], 0x50
	s_waitcnt lgkmcnt(0)
	s_mov_b32 s3, s7
	s_cbranch_execz .LBB292_3
	s_branch .LBB292_4
.LBB292_2:
                                        ; implicit-def: $sgpr7
	s_load_dword s16, s[4:5], 0x50
	s_mov_b32 s3, s7
.LBB292_3:
	s_load_dwordx2 s[2:3], s[4:5], 0x5c
	s_mov_b32 s7, s0
	s_waitcnt lgkmcnt(0)
	s_mul_hi_u32 s2, s2, s0
	s_add_i32 s2, s0, s2
	s_lshr_b32 s3, s2, s3
.LBB292_4:
	s_load_dwordx4 s[20:23], s[4:5], 0x68
	s_andn2_b32 vcc_lo, exec_lo, s1
	s_mov_b32 s17, s0
	s_cbranch_vccnz .LBB292_6
; %bb.5:
	s_mul_hi_u32 s1, s37, s0
	s_add_i32 s1, s0, s1
	s_lshr_b32 s1, s1, s38
	s_mul_i32 s1, s1, s39
	s_sub_i32 s17, s0, s1
.LBB292_6:
	s_load_dword s31, s[4:5], 0x78
	s_cmp_lg_u64 s[24:25], 0
	v_cmp_gt_u32_e64 s2, 32, v0
	v_lshl_add_u32 v8, v0, 2, 0
	s_cselect_b32 s1, -1, 0
	s_cmp_eq_u64 s[24:25], 0
	s_cselect_b32 s9, -1, 0
	s_and_saveexec_b32 s10, s2
	s_cbranch_execz .LBB292_9
; %bb.7:
	v_mov_b32_e32 v1, 0
	s_andn2_b32 vcc_lo, exec_lo, s1
	ds_write_b32 v8, v1
	s_cbranch_vccnz .LBB292_9
; %bb.8:
	ds_write_b32 v8, v1 offset:128
.LBB292_9:
	s_or_b32 exec_lo, exec_lo, s10
	v_mov_b32_e32 v7, 0
	v_mov_b32_e32 v9, 0
	s_and_b32 s11, exec_lo, s11
	s_mov_b32 s10, 0
	s_cselect_b32 s11, s8, 0
	s_mov_b32 s8, exec_lo
	s_waitcnt lgkmcnt(0)
	s_barrier
	buffer_gl0_inv
	v_cmpx_gt_i32_e64 s36, v0
	s_cbranch_execz .LBB292_15
; %bb.10:
	s_mul_hi_u32 s23, s23, s11
	s_mul_i32 s3, s3, s20
	s_add_i32 s23, s11, s23
	s_mul_i32 s16, s16, s6
	s_lshr_b32 s20, s23, s31
	s_ashr_i32 s31, s16, 31
	s_mul_hi_i32 s23, s20, s28
	s_mul_i32 s20, s20, s28
	s_ashr_i32 s28, s3, 31
	s_add_u32 s16, s20, s16
	s_addc_u32 s23, s23, s31
	s_mul_i32 s20, s17, s21
	s_add_u32 s16, s16, s3
	s_addc_u32 s17, s23, s28
	s_ashr_i32 s21, s20, 31
	s_and_b32 s3, s1, exec_lo
	s_cselect_b32 s3, s25, 0
	s_cselect_b32 s23, s24, 0
	;; [unrolled: 1-line block ×4, first 2 shown]
	v_lshlrev_b32_e32 v5, 2, v0
	s_lshl_b64 s[24:25], s[24:25], 1
	v_lshlrev_b32_e32 v3, 3, v0
	s_add_u32 s23, s23, s24
	s_addc_u32 s3, s3, s25
	s_mul_hi_i32 s25, s11, s29
	s_mul_i32 s24, s11, s29
	v_add_co_u32 v1, s23, s23, v5
	s_lshl_b64 s[20:21], s[20:21], 2
	s_lshl_b64 s[24:25], s[24:25], 2
	v_add_co_ci_u32_e64 v2, null, s3, 0, s23
	s_add_u32 s3, s14, s20
	s_addc_u32 s14, s15, s21
	s_add_u32 s3, s3, s24
	s_addc_u32 s14, s14, s25
	v_add_co_u32 v3, s3, s3, v3
	v_add_co_ci_u32_e64 v4, null, s14, 0, s3
	s_lshl_b64 s[14:15], s[16:17], 1
	v_add_co_u32 v3, vcc_lo, v3, 4
	s_add_u32 s3, s12, s14
	s_addc_u32 s12, s13, s15
	v_add_co_u32 v5, s3, s3, v5
	v_mov_b32_e32 v7, 0
	v_add_co_ci_u32_e64 v4, null, 0, v4, vcc_lo
	v_add_co_ci_u32_e64 v6, null, s12, 0, s3
	v_mov_b32_e32 v10, v0
	v_mov_b32_e32 v9, 0
	s_inst_prefetch 0x1
	s_branch .LBB292_12
	.p2align	6
.LBB292_11:                             ;   in Loop: Header=BB292_12 Depth=1
	global_load_dwordx2 v[14:15], v[3:4], off offset:-4
	s_waitcnt vmcnt(1)
	v_lshlrev_b32_e32 v16, 16, v13
	v_add_nc_u32_e32 v10, 0xe0, v10
	v_add_co_u32 v1, vcc_lo, 0x380, v1
	v_and_b32_e32 v13, 0xffff0000, v13
	v_add_co_ci_u32_e64 v2, null, 0, v2, vcc_lo
	v_add_co_u32 v3, vcc_lo, 0x700, v3
	v_add_co_ci_u32_e64 v4, null, 0, v4, vcc_lo
	v_cmp_le_i32_e32 vcc_lo, s36, v10
	v_add_co_u32 v5, s3, 0x380, v5
	v_add_co_ci_u32_e64 v6, null, 0, v6, s3
	s_or_b32 s10, vcc_lo, s10
	s_waitcnt vmcnt(0)
	v_fma_f32 v12, v12, v14, v7
	v_fmac_f32_e32 v9, v14, v16
	v_fmac_f32_e32 v12, v11, v15
	;; [unrolled: 1-line block ×3, first 2 shown]
	v_cndmask_b32_e64 v7, v7, v12, s1
	s_andn2_b32 exec_lo, exec_lo, s10
	s_cbranch_execz .LBB292_14
.LBB292_12:                             ; =>This Inner Loop Header: Depth=1
	global_load_dword v13, v[5:6], off
	v_mov_b32_e32 v11, 0
	v_mov_b32_e32 v12, 0
	s_andn2_b32 vcc_lo, exec_lo, s1
	s_cbranch_vccnz .LBB292_11
; %bb.13:                               ;   in Loop: Header=BB292_12 Depth=1
	global_load_dword v11, v[1:2], off
	s_waitcnt vmcnt(0)
	v_lshlrev_b32_e32 v12, 16, v11
	v_and_b32_e32 v11, 0xffff0000, v11
	s_branch .LBB292_11
.LBB292_14:
	s_inst_prefetch 0x2
	s_or_b32 exec_lo, exec_lo, s10
.LBB292_15:
	s_or_b32 exec_lo, exec_lo, s8
	v_mbcnt_lo_u32_b32 v1, -1, 0
	s_load_dword s10, s[4:5], 0x30
	s_mov_b32 s3, -1
	v_xor_b32_e32 v2, 16, v1
	v_xor_b32_e32 v3, 8, v1
	v_cmp_gt_i32_e32 vcc_lo, 32, v2
	v_cndmask_b32_e32 v2, v1, v2, vcc_lo
	v_cmp_gt_i32_e32 vcc_lo, 32, v3
	v_lshlrev_b32_e32 v2, 2, v2
	v_cndmask_b32_e32 v3, v1, v3, vcc_lo
	ds_bpermute_b32 v4, v2, v9
	v_lshlrev_b32_e32 v3, 2, v3
	s_waitcnt lgkmcnt(0)
	v_add_f32_e32 v5, v9, v4
	v_xor_b32_e32 v4, 4, v1
	ds_bpermute_b32 v6, v3, v5
	v_cmp_gt_i32_e32 vcc_lo, 32, v4
	v_cndmask_b32_e32 v4, v1, v4, vcc_lo
	v_lshlrev_b32_e32 v4, 2, v4
	s_waitcnt lgkmcnt(0)
	v_add_f32_e32 v6, v5, v6
	v_xor_b32_e32 v5, 2, v1
	ds_bpermute_b32 v9, v4, v6
	v_cmp_gt_i32_e32 vcc_lo, 32, v5
	v_cndmask_b32_e32 v5, v1, v5, vcc_lo
	;; [unrolled: 7-line block ×3, first 2 shown]
	s_and_b32 vcc_lo, exec_lo, s9
	v_lshlrev_b32_e32 v6, 2, v1
	s_waitcnt lgkmcnt(0)
	v_add_f32_e32 v1, v9, v10
	v_lshrrev_b32_e32 v10, 5, v0
	ds_bpermute_b32 v9, v6, v1
	s_waitcnt lgkmcnt(0)
	v_add_f32_e32 v1, v1, v9
	v_lshl_add_u32 v9, v10, 2, 0
	s_cbranch_vccz .LBB292_17
; %bb.16:
	s_mov_b32 s3, 0
	ds_write_b32 v9, v1
.LBB292_17:
	s_andn2_b32 vcc_lo, exec_lo, s3
	s_cbranch_vccnz .LBB292_19
; %bb.18:
	ds_bpermute_b32 v10, v2, v7
	s_waitcnt lgkmcnt(0)
	v_add_f32_e32 v7, v7, v10
	ds_bpermute_b32 v10, v3, v7
	s_waitcnt lgkmcnt(0)
	v_add_f32_e32 v7, v7, v10
	;; [unrolled: 3-line block ×5, first 2 shown]
	ds_write2_b32 v9, v1, v7 offset1:32
.LBB292_19:
	s_waitcnt lgkmcnt(0)
	s_barrier
	buffer_gl0_inv
	s_and_saveexec_b32 s3, s2
	s_cbranch_execz .LBB292_23
; %bb.20:
	ds_read_b32 v1, v8
	s_andn2_b32 vcc_lo, exec_lo, s1
	s_waitcnt lgkmcnt(0)
	ds_bpermute_b32 v9, v2, v1
	s_waitcnt lgkmcnt(0)
	v_add_f32_e32 v1, v1, v9
	ds_bpermute_b32 v9, v3, v1
	s_waitcnt lgkmcnt(0)
	v_add_f32_e32 v1, v1, v9
	;; [unrolled: 3-line block ×4, first 2 shown]
	ds_bpermute_b32 v9, v6, v1
	s_cbranch_vccnz .LBB292_22
; %bb.21:
	ds_read_b32 v7, v8 offset:128
	s_waitcnt lgkmcnt(0)
	ds_bpermute_b32 v2, v2, v7
	s_waitcnt lgkmcnt(0)
	v_add_f32_e32 v2, v7, v2
	ds_bpermute_b32 v3, v3, v2
	s_waitcnt lgkmcnt(0)
	v_add_f32_e32 v2, v2, v3
	;; [unrolled: 3-line block ×5, first 2 shown]
.LBB292_22:
	s_waitcnt lgkmcnt(0)
	v_add_f32_e32 v1, v1, v9
.LBB292_23:
	s_or_b32 exec_lo, exec_lo, s3
	s_barrier
	buffer_gl0_inv
	s_mov_b32 s2, exec_lo
	v_cmpx_eq_u32_e32 0, v0
	s_cbranch_execz .LBB292_47
; %bb.24:
	s_cmp_eq_u64 s[18:19], 0
	s_mul_i32 s8, s7, s22
	s_cselect_b32 s2, -1, 0
	s_ashr_i32 s9, s8, 31
	s_mul_hi_i32 s3, s30, s11
	s_and_b32 vcc_lo, exec_lo, s2
	s_mul_i32 s2, s30, s11
	s_cbranch_vccnz .LBB292_26
; %bb.25:
	s_cselect_b32 s7, 0, s19
	s_cselect_b32 s11, 0, s18
	s_lshl_b64 s[12:13], s[2:3], 2
	s_add_u32 s11, s11, s12
	s_addc_u32 s7, s7, s13
	s_lshl_b64 s[12:13], s[8:9], 2
	s_add_u32 s11, s11, s12
	s_addc_u32 s14, s7, s13
	s_ashr_i32 s7, s6, 31
	s_lshl_b64 s[12:13], s[6:7], 2
	s_add_u32 s12, s11, s12
	s_addc_u32 s13, s14, s13
	s_load_dword s7, s[12:13], 0x0
	s_waitcnt lgkmcnt(0)
	v_add_f32_e32 v1, s7, v1
.LBB292_26:
	s_andn2_b32 vcc_lo, exec_lo, s1
	s_cbranch_vccnz .LBB292_46
; %bb.27:
	s_cmp_lg_u64 s[26:27], 0
	s_cselect_b32 s7, -1, 0
	s_and_b32 s1, s7, s1
	s_andn2_b32 vcc_lo, exec_lo, s1
	s_cbranch_vccnz .LBB292_29
; %bb.28:
	s_and_b32 s1, s7, exec_lo
	s_cselect_b32 s1, s27, 0
	s_cselect_b32 s7, s26, 0
	s_lshl_b64 s[12:13], s[2:3], 2
	s_add_u32 s7, s7, s12
	s_addc_u32 s1, s1, s13
	s_lshl_b64 s[8:9], s[8:9], 2
	s_add_u32 s11, s7, s8
	s_addc_u32 s1, s1, s9
	s_ashr_i32 s7, s6, 31
	s_lshl_b64 s[8:9], s[6:7], 2
	s_add_u32 s8, s11, s8
	s_addc_u32 s9, s1, s9
	s_load_dword s1, s[8:9], 0x0
	s_waitcnt lgkmcnt(0)
	v_add_f32_e32 v7, s1, v7
.LBB292_29:
	s_cmp_lt_i32 s10, 2
	s_cbranch_scc1 .LBB292_34
; %bb.30:
	s_cmp_lt_i32 s10, 3
	s_cbranch_scc1 .LBB292_35
; %bb.31:
	v_mov_b32_e32 v0, v1
	s_cmp_eq_u32 s10, 3
	s_cbranch_scc0 .LBB292_33
; %bb.32:
	v_max_f32_e32 v0, v7, v7
	v_min_f32_e32 v0, 0x40e00000, v0
	v_mul_f32_e32 v2, 0xbfd9db23, v0
	v_mul_f32_e32 v3, 0x3fb8aa3b, v2
	v_cmp_ngt_f32_e32 vcc_lo, 0xc2ce8ed0, v2
	v_fma_f32 v4, 0x3fb8aa3b, v2, -v3
	v_rndne_f32_e32 v5, v3
	v_fmamk_f32 v4, v2, 0x32a5705f, v4
	v_sub_f32_e32 v3, v3, v5
	v_add_f32_e32 v3, v3, v4
	v_cvt_i32_f32_e32 v4, v5
	v_exp_f32_e32 v3, v3
	v_ldexp_f32 v3, v3, v4
	v_cndmask_b32_e32 v3, 0, v3, vcc_lo
	v_cmp_nlt_f32_e32 vcc_lo, 0x42b17218, v2
	v_cndmask_b32_e32 v2, 0x7f800000, v3, vcc_lo
	v_add_f32_e32 v2, 1.0, v2
	v_div_scale_f32 v3, null, v2, v2, v0
	v_div_scale_f32 v6, vcc_lo, v0, v2, v0
	v_rcp_f32_e32 v4, v3
	v_fma_f32 v5, -v3, v4, 1.0
	v_fmac_f32_e32 v4, v5, v4
	v_mul_f32_e32 v5, v6, v4
	v_fma_f32 v8, -v3, v5, v6
	v_fmac_f32_e32 v5, v8, v4
	v_max_f32_e32 v8, v1, v1
	v_fma_f32 v3, -v3, v5, v6
	v_min_f32_e32 v6, 0x40e00000, v8
	v_div_fmas_f32 v3, v3, v4, v5
	v_max_f32_e32 v4, 0xc0e00000, v6
	v_div_fixup_f32 v0, v3, v2, v0
	v_add_f32_e32 v2, 1.0, v4
	v_mul_f32_e32 v0, v2, v0
.LBB292_33:
	s_cbranch_execz .LBB292_36
	s_branch .LBB292_37
.LBB292_34:
                                        ; implicit-def: $vgpr0
	s_branch .LBB292_38
.LBB292_35:
                                        ; implicit-def: $vgpr0
.LBB292_36:
	v_mul_f32_e32 v0, 0xbfb8aa3b, v7
	v_cmp_nlt_f32_e32 vcc_lo, 0x42ce8ed0, v7
	v_rndne_f32_e32 v2, v0
	v_fma_f32 v3, 0xbfb8aa3b, v7, -v0
	v_sub_f32_e32 v0, v0, v2
	v_fmamk_f32 v3, v7, 0xb2a5705f, v3
	v_cvt_i32_f32_e32 v2, v2
	v_add_f32_e32 v0, v0, v3
	v_exp_f32_e32 v0, v0
	v_ldexp_f32 v0, v0, v2
	v_cndmask_b32_e32 v0, 0, v0, vcc_lo
	v_cmp_ngt_f32_e32 vcc_lo, 0xc2b17218, v7
	v_cndmask_b32_e32 v0, 0x7f800000, v0, vcc_lo
	v_add_f32_e32 v0, 1.0, v0
	v_div_scale_f32 v2, null, v0, v0, v7
	v_rcp_f32_e32 v3, v2
	v_fma_f32 v4, -v2, v3, 1.0
	v_fmac_f32_e32 v3, v4, v3
	v_div_scale_f32 v4, vcc_lo, v7, v0, v7
	v_mul_f32_e32 v5, v4, v3
	v_fma_f32 v6, -v2, v5, v4
	v_fmac_f32_e32 v5, v6, v3
	v_fma_f32 v2, -v2, v5, v4
	v_div_fmas_f32 v2, v2, v3, v5
	v_div_fixup_f32 v0, v2, v0, v7
	v_mul_f32_e32 v0, v1, v0
.LBB292_37:
	s_cbranch_execnz .LBB292_45
.LBB292_38:
	s_cmp_eq_u32 s10, 1
	s_cbranch_scc0 .LBB292_44
; %bb.39:
	v_mul_f32_e32 v0, 0x3d372713, v7
	v_mul_f32_e32 v2, 0x3f4c422a, v7
	v_fma_f32 v0, v7, v0, 1.0
	v_mul_f32_e32 v0, v2, v0
                                        ; implicit-def: $vgpr2
	v_cmp_ngt_f32_e64 s1, 0x3f200000, |v0|
	s_and_saveexec_b32 s7, s1
	s_xor_b32 s1, exec_lo, s7
	s_cbranch_execz .LBB292_41
; %bb.40:
	v_add_f32_e64 v2, |v0|, |v0|
	v_mul_f32_e32 v3, 0x3fb8aa3b, v2
	v_cmp_ngt_f32_e32 vcc_lo, 0xc2ce8ed0, v2
	v_rndne_f32_e32 v4, v3
	v_fma_f32 v5, 0x3fb8aa3b, v2, -v3
	v_sub_f32_e32 v3, v3, v4
	v_fmamk_f32 v5, v2, 0x32a5705f, v5
	v_cvt_i32_f32_e32 v4, v4
	v_add_f32_e32 v3, v3, v5
	v_exp_f32_e32 v3, v3
	v_ldexp_f32 v3, v3, v4
	v_cndmask_b32_e32 v3, 0, v3, vcc_lo
	v_cmp_nlt_f32_e32 vcc_lo, 0x42b17218, v2
	v_cndmask_b32_e32 v2, 0x7f800000, v3, vcc_lo
	v_add_f32_e32 v2, 1.0, v2
	v_rcp_f32_e32 v2, v2
	v_fma_f32 v2, v2, -2.0, 1.0
.LBB292_41:
	s_andn2_saveexec_b32 s1, s1
	s_cbranch_execz .LBB292_43
; %bb.42:
	v_mul_f32_e32 v2, v0, v0
	s_mov_b32 s7, 0xbbbac73d
	v_fmaak_f32 v3, s7, v2, 0x3ca908c9
	v_fmaak_f32 v3, v2, v3, 0xbd5c1c4e
	v_fmaak_f32 v3, v2, v3, 0x3e088382
	v_fmaak_f32 v3, v2, v3, 0xbeaaaa99
	v_mul_f32_e64 v3, |v0|, v3
	v_fma_f32 v2, v2, v3, |v0|
.LBB292_43:
	s_or_b32 exec_lo, exec_lo, s1
	v_bfi_b32 v0, 0x7fffffff, v2, v0
	v_mul_f32_e32 v2, 0.5, v7
	v_add_f32_e32 v0, 1.0, v0
	v_mul_f32_e32 v0, v2, v0
	v_mul_f32_e32 v1, v1, v0
.LBB292_44:
	v_mov_b32_e32 v0, v1
.LBB292_45:
	v_mov_b32_e32 v1, v0
.LBB292_46:
	s_load_dwordx2 s[4:5], s[4:5], 0x38
	s_mul_i32 s0, s22, s0
	s_lshl_b64 s[2:3], s[2:3], 2
	s_ashr_i32 s1, s0, 31
	v_mov_b32_e32 v0, 0
	s_waitcnt lgkmcnt(0)
	s_add_u32 s2, s4, s2
	s_addc_u32 s3, s5, s3
	s_lshl_b64 s[0:1], s[0:1], 2
	s_add_u32 s2, s2, s0
	s_addc_u32 s3, s3, s1
	s_ashr_i32 s7, s6, 31
	s_lshl_b64 s[0:1], s[6:7], 2
	s_add_u32 s0, s2, s0
	s_addc_u32 s1, s3, s1
	global_store_dword v0, v1, s[0:1]
.LBB292_47:
	s_endpgm
	.section	.rodata,"a",@progbits
	.p2align	6, 0x0
	.amdhsa_kernel _ZL13mul_mat_vec_fI14__hip_bfloat16fLi1ELi224ELb1ELb0EEvPKT_PKfPKi31ggml_cuda_mm_fusion_args_devicePfi15HIP_vector_typeIjLj3EEiiiSB_iiiSB_iiii
		.amdhsa_group_segment_fixed_size 0
		.amdhsa_private_segment_fixed_size 0
		.amdhsa_kernarg_size 144
		.amdhsa_user_sgpr_count 6
		.amdhsa_user_sgpr_private_segment_buffer 1
		.amdhsa_user_sgpr_dispatch_ptr 0
		.amdhsa_user_sgpr_queue_ptr 0
		.amdhsa_user_sgpr_kernarg_segment_ptr 1
		.amdhsa_user_sgpr_dispatch_id 0
		.amdhsa_user_sgpr_flat_scratch_init 0
		.amdhsa_user_sgpr_private_segment_size 0
		.amdhsa_wavefront_size32 1
		.amdhsa_uses_dynamic_stack 0
		.amdhsa_system_sgpr_private_segment_wavefront_offset 0
		.amdhsa_system_sgpr_workgroup_id_x 1
		.amdhsa_system_sgpr_workgroup_id_y 1
		.amdhsa_system_sgpr_workgroup_id_z 1
		.amdhsa_system_sgpr_workgroup_info 0
		.amdhsa_system_vgpr_workitem_id 0
		.amdhsa_next_free_vgpr 17
		.amdhsa_next_free_sgpr 40
		.amdhsa_reserve_vcc 1
		.amdhsa_reserve_flat_scratch 0
		.amdhsa_float_round_mode_32 0
		.amdhsa_float_round_mode_16_64 0
		.amdhsa_float_denorm_mode_32 3
		.amdhsa_float_denorm_mode_16_64 3
		.amdhsa_dx10_clamp 1
		.amdhsa_ieee_mode 1
		.amdhsa_fp16_overflow 0
		.amdhsa_workgroup_processor_mode 1
		.amdhsa_memory_ordered 1
		.amdhsa_forward_progress 1
		.amdhsa_shared_vgpr_count 0
		.amdhsa_exception_fp_ieee_invalid_op 0
		.amdhsa_exception_fp_denorm_src 0
		.amdhsa_exception_fp_ieee_div_zero 0
		.amdhsa_exception_fp_ieee_overflow 0
		.amdhsa_exception_fp_ieee_underflow 0
		.amdhsa_exception_fp_ieee_inexact 0
		.amdhsa_exception_int_div_zero 0
	.end_amdhsa_kernel
	.section	.text._ZL13mul_mat_vec_fI14__hip_bfloat16fLi1ELi224ELb1ELb0EEvPKT_PKfPKi31ggml_cuda_mm_fusion_args_devicePfi15HIP_vector_typeIjLj3EEiiiSB_iiiSB_iiii,"axG",@progbits,_ZL13mul_mat_vec_fI14__hip_bfloat16fLi1ELi224ELb1ELb0EEvPKT_PKfPKi31ggml_cuda_mm_fusion_args_devicePfi15HIP_vector_typeIjLj3EEiiiSB_iiiSB_iiii,comdat
.Lfunc_end292:
	.size	_ZL13mul_mat_vec_fI14__hip_bfloat16fLi1ELi224ELb1ELb0EEvPKT_PKfPKi31ggml_cuda_mm_fusion_args_devicePfi15HIP_vector_typeIjLj3EEiiiSB_iiiSB_iiii, .Lfunc_end292-_ZL13mul_mat_vec_fI14__hip_bfloat16fLi1ELi224ELb1ELb0EEvPKT_PKfPKi31ggml_cuda_mm_fusion_args_devicePfi15HIP_vector_typeIjLj3EEiiiSB_iiiSB_iiii
                                        ; -- End function
	.set _ZL13mul_mat_vec_fI14__hip_bfloat16fLi1ELi224ELb1ELb0EEvPKT_PKfPKi31ggml_cuda_mm_fusion_args_devicePfi15HIP_vector_typeIjLj3EEiiiSB_iiiSB_iiii.num_vgpr, 17
	.set _ZL13mul_mat_vec_fI14__hip_bfloat16fLi1ELi224ELb1ELb0EEvPKT_PKfPKi31ggml_cuda_mm_fusion_args_devicePfi15HIP_vector_typeIjLj3EEiiiSB_iiiSB_iiii.num_agpr, 0
	.set _ZL13mul_mat_vec_fI14__hip_bfloat16fLi1ELi224ELb1ELb0EEvPKT_PKfPKi31ggml_cuda_mm_fusion_args_devicePfi15HIP_vector_typeIjLj3EEiiiSB_iiiSB_iiii.numbered_sgpr, 40
	.set _ZL13mul_mat_vec_fI14__hip_bfloat16fLi1ELi224ELb1ELb0EEvPKT_PKfPKi31ggml_cuda_mm_fusion_args_devicePfi15HIP_vector_typeIjLj3EEiiiSB_iiiSB_iiii.num_named_barrier, 0
	.set _ZL13mul_mat_vec_fI14__hip_bfloat16fLi1ELi224ELb1ELb0EEvPKT_PKfPKi31ggml_cuda_mm_fusion_args_devicePfi15HIP_vector_typeIjLj3EEiiiSB_iiiSB_iiii.private_seg_size, 0
	.set _ZL13mul_mat_vec_fI14__hip_bfloat16fLi1ELi224ELb1ELb0EEvPKT_PKfPKi31ggml_cuda_mm_fusion_args_devicePfi15HIP_vector_typeIjLj3EEiiiSB_iiiSB_iiii.uses_vcc, 1
	.set _ZL13mul_mat_vec_fI14__hip_bfloat16fLi1ELi224ELb1ELb0EEvPKT_PKfPKi31ggml_cuda_mm_fusion_args_devicePfi15HIP_vector_typeIjLj3EEiiiSB_iiiSB_iiii.uses_flat_scratch, 0
	.set _ZL13mul_mat_vec_fI14__hip_bfloat16fLi1ELi224ELb1ELb0EEvPKT_PKfPKi31ggml_cuda_mm_fusion_args_devicePfi15HIP_vector_typeIjLj3EEiiiSB_iiiSB_iiii.has_dyn_sized_stack, 0
	.set _ZL13mul_mat_vec_fI14__hip_bfloat16fLi1ELi224ELb1ELb0EEvPKT_PKfPKi31ggml_cuda_mm_fusion_args_devicePfi15HIP_vector_typeIjLj3EEiiiSB_iiiSB_iiii.has_recursion, 0
	.set _ZL13mul_mat_vec_fI14__hip_bfloat16fLi1ELi224ELb1ELb0EEvPKT_PKfPKi31ggml_cuda_mm_fusion_args_devicePfi15HIP_vector_typeIjLj3EEiiiSB_iiiSB_iiii.has_indirect_call, 0
	.section	.AMDGPU.csdata,"",@progbits
; Kernel info:
; codeLenInByte = 2292
; TotalNumSgprs: 42
; NumVgprs: 17
; ScratchSize: 0
; MemoryBound: 0
; FloatMode: 240
; IeeeMode: 1
; LDSByteSize: 0 bytes/workgroup (compile time only)
; SGPRBlocks: 0
; VGPRBlocks: 2
; NumSGPRsForWavesPerEU: 42
; NumVGPRsForWavesPerEU: 17
; Occupancy: 16
; WaveLimiterHint : 1
; COMPUTE_PGM_RSRC2:SCRATCH_EN: 0
; COMPUTE_PGM_RSRC2:USER_SGPR: 6
; COMPUTE_PGM_RSRC2:TRAP_HANDLER: 0
; COMPUTE_PGM_RSRC2:TGID_X_EN: 1
; COMPUTE_PGM_RSRC2:TGID_Y_EN: 1
; COMPUTE_PGM_RSRC2:TGID_Z_EN: 1
; COMPUTE_PGM_RSRC2:TIDIG_COMP_CNT: 0
	.section	.text._ZL13mul_mat_vec_fI14__hip_bfloat16fLi1ELi224ELb0ELb0EEvPKT_PKfPKi31ggml_cuda_mm_fusion_args_devicePfi15HIP_vector_typeIjLj3EEiiiSB_iiiSB_iiii,"axG",@progbits,_ZL13mul_mat_vec_fI14__hip_bfloat16fLi1ELi224ELb0ELb0EEvPKT_PKfPKi31ggml_cuda_mm_fusion_args_devicePfi15HIP_vector_typeIjLj3EEiiiSB_iiiSB_iiii,comdat
	.globl	_ZL13mul_mat_vec_fI14__hip_bfloat16fLi1ELi224ELb0ELb0EEvPKT_PKfPKi31ggml_cuda_mm_fusion_args_devicePfi15HIP_vector_typeIjLj3EEiiiSB_iiiSB_iiii ; -- Begin function _ZL13mul_mat_vec_fI14__hip_bfloat16fLi1ELi224ELb0ELb0EEvPKT_PKfPKi31ggml_cuda_mm_fusion_args_devicePfi15HIP_vector_typeIjLj3EEiiiSB_iiiSB_iiii
	.p2align	8
	.type	_ZL13mul_mat_vec_fI14__hip_bfloat16fLi1ELi224ELb0ELb0EEvPKT_PKfPKi31ggml_cuda_mm_fusion_args_devicePfi15HIP_vector_typeIjLj3EEiiiSB_iiiSB_iiii,@function
_ZL13mul_mat_vec_fI14__hip_bfloat16fLi1ELi224ELb0ELb0EEvPKT_PKfPKi31ggml_cuda_mm_fusion_args_devicePfi15HIP_vector_typeIjLj3EEiiiSB_iiiSB_iiii: ; @_ZL13mul_mat_vec_fI14__hip_bfloat16fLi1ELi224ELb0ELb0EEvPKT_PKfPKi31ggml_cuda_mm_fusion_args_devicePfi15HIP_vector_typeIjLj3EEiiiSB_iiiSB_iiii
; %bb.0:
	s_clause 0x2
	s_load_dwordx2 s[2:3], s[4:5], 0x10
	s_load_dwordx4 s[20:23], s[4:5], 0x40
	s_load_dwordx4 s[12:15], s[4:5], 0x80
	s_waitcnt lgkmcnt(0)
	s_cmp_eq_u64 s[2:3], 0
	s_cselect_b32 s9, -1, 0
	s_cmp_lg_u64 s[2:3], 0
	s_cselect_b32 s10, -1, 0
	s_and_b32 vcc_lo, exec_lo, s9
	s_cbranch_vccnz .LBB293_2
; %bb.1:
	s_mul_i32 s0, s15, s8
	s_mov_b32 s1, 0
	s_add_i32 s0, s0, s7
	s_lshl_b64 s[16:17], s[0:1], 2
	s_add_u32 s2, s2, s16
	s_addc_u32 s3, s3, s17
	s_load_dword s24, s[2:3], 0x0
	s_load_dword s25, s[4:5], 0x50
	s_cbranch_execz .LBB293_3
	s_branch .LBB293_4
.LBB293_2:
                                        ; implicit-def: $sgpr24
	s_load_dword s25, s[4:5], 0x50
.LBB293_3:
	s_load_dwordx2 s[0:1], s[4:5], 0x5c
	s_waitcnt lgkmcnt(0)
	s_mul_hi_u32 s0, s0, s7
	s_add_i32 s0, s7, s0
	s_lshr_b32 s24, s0, s1
.LBB293_4:
	s_load_dwordx4 s[16:19], s[4:5], 0x68
	s_andn2_b32 vcc_lo, exec_lo, s10
	s_mov_b32 s26, s7
	s_cbranch_vccnz .LBB293_6
; %bb.5:
	s_mul_hi_u32 s0, s21, s7
	s_add_i32 s0, s7, s0
	s_lshr_b32 s0, s0, s22
	s_mul_i32 s0, s0, s23
	s_sub_i32 s26, s7, s0
.LBB293_6:
	s_load_dword s1, s[4:5], 0x78
	v_cmp_gt_u32_e32 vcc_lo, 32, v0
	v_lshl_add_u32 v5, v0, 2, 0
	s_and_saveexec_b32 s0, vcc_lo
; %bb.7:
	v_mov_b32_e32 v1, 0
	ds_write_b32 v5, v1
; %bb.8:
	s_or_b32 exec_lo, exec_lo, s0
	v_mov_b32_e32 v6, 0
	s_and_b32 s0, exec_lo, s9
	s_mov_b32 s3, 0
	s_cselect_b32 s2, s8, 0
	s_mov_b32 s15, exec_lo
	s_waitcnt lgkmcnt(0)
	s_barrier
	buffer_gl0_inv
	v_cmpx_gt_i32_e64 s20, v0
	s_cbranch_execz .LBB293_12
; %bb.9:
	s_load_dwordx4 s[8:11], s[4:5], 0x0
	s_mul_hi_u32 s0, s19, s2
	s_mul_i32 s16, s24, s16
	s_mul_i32 s24, s26, s17
	;; [unrolled: 1-line block ×3, first 2 shown]
	s_add_i32 s0, s2, s0
	s_ashr_i32 s25, s24, 31
	s_mul_hi_i32 s27, s2, s13
	s_mul_i32 s26, s2, s13
	s_lshr_b32 s19, s0, s1
	s_lshl_b64 s[0:1], s[24:25], 2
	v_lshlrev_b32_e32 v1, 3, v0
	s_ashr_i32 s17, s16, 31
	s_ashr_i32 s23, s22, 31
	s_lshl_b64 s[26:27], s[26:27], 2
	s_mul_hi_i32 s13, s19, s12
	s_mul_i32 s12, s19, s12
	v_lshlrev_b32_e32 v3, 2, v0
	v_mov_b32_e32 v6, 0
	v_mov_b32_e32 v7, v0
	s_waitcnt lgkmcnt(0)
	s_add_u32 s0, s10, s0
	s_addc_u32 s1, s11, s1
	s_add_u32 s0, s0, s26
	s_addc_u32 s1, s1, s27
	v_add_co_u32 v1, s0, s0, v1
	v_add_co_ci_u32_e64 v2, null, s1, 0, s0
	s_lshl_b64 s[10:11], s[12:13], 1
	v_add_co_u32 v1, s0, v1, 4
	v_add_co_ci_u32_e64 v2, null, 0, v2, s0
	s_lshl_b64 s[0:1], s[16:17], 1
	s_lshl_b64 s[12:13], s[22:23], 1
	s_add_u32 s0, s8, s0
	s_addc_u32 s1, s9, s1
	s_add_u32 s0, s0, s12
	s_addc_u32 s1, s1, s13
	;; [unrolled: 2-line block ×3, first 2 shown]
	v_add_co_u32 v3, s0, s0, v3
	v_add_co_ci_u32_e64 v4, null, s1, 0, s0
	.p2align	6
.LBB293_10:                             ; =>This Inner Loop Header: Depth=1
	global_load_dword v10, v[3:4], off
	global_load_dwordx2 v[8:9], v[1:2], off offset:-4
	v_add_nc_u32_e32 v7, 0xe0, v7
	v_add_co_u32 v1, s0, 0x700, v1
	v_add_co_ci_u32_e64 v2, null, 0, v2, s0
	v_add_co_u32 v3, s0, 0x380, v3
	v_cmp_le_i32_e64 s1, s20, v7
	v_add_co_ci_u32_e64 v4, null, 0, v4, s0
	s_or_b32 s3, s1, s3
	s_waitcnt vmcnt(1)
	v_lshlrev_b32_e32 v11, 16, v10
	v_and_b32_e32 v10, 0xffff0000, v10
	s_waitcnt vmcnt(0)
	v_fmac_f32_e32 v6, v8, v11
	v_fmac_f32_e32 v6, v9, v10
	s_andn2_b32 exec_lo, exec_lo, s3
	s_cbranch_execnz .LBB293_10
; %bb.11:
	s_or_b32 exec_lo, exec_lo, s3
.LBB293_12:
	s_or_b32 exec_lo, exec_lo, s15
	v_mbcnt_lo_u32_b32 v2, -1, 0
	v_xor_b32_e32 v1, 16, v2
	v_xor_b32_e32 v3, 8, v2
	v_cmp_gt_i32_e64 s0, 32, v1
	v_cndmask_b32_e64 v1, v2, v1, s0
	v_cmp_gt_i32_e64 s0, 32, v3
	v_lshlrev_b32_e32 v1, 2, v1
	v_cndmask_b32_e64 v3, v2, v3, s0
	ds_bpermute_b32 v4, v1, v6
	v_lshlrev_b32_e32 v3, 2, v3
	s_waitcnt lgkmcnt(0)
	v_add_f32_e32 v6, v6, v4
	v_xor_b32_e32 v4, 4, v2
	ds_bpermute_b32 v7, v3, v6
	v_cmp_gt_i32_e64 s0, 32, v4
	v_cndmask_b32_e64 v4, v2, v4, s0
	v_lshlrev_b32_e32 v4, 2, v4
	s_waitcnt lgkmcnt(0)
	v_add_f32_e32 v7, v6, v7
	v_xor_b32_e32 v6, 2, v2
	ds_bpermute_b32 v8, v4, v7
	v_cmp_gt_i32_e64 s0, 32, v6
	v_cndmask_b32_e64 v6, v2, v6, s0
	v_lshlrev_b32_e32 v6, 2, v6
	s_waitcnt lgkmcnt(0)
	v_add_f32_e32 v8, v7, v8
	v_xor_b32_e32 v7, 1, v2
	ds_bpermute_b32 v9, v6, v8
	v_cmp_gt_i32_e64 s0, 32, v7
	v_cndmask_b32_e64 v2, v2, v7, s0
	v_lshlrev_b32_e32 v7, 2, v2
	s_waitcnt lgkmcnt(0)
	v_add_f32_e32 v2, v8, v9
	v_lshrrev_b32_e32 v9, 3, v0
	ds_bpermute_b32 v8, v7, v2
	v_and_b32_e32 v9, 0x7c, v9
	v_add_nc_u32_e32 v9, 0, v9
	s_waitcnt lgkmcnt(0)
	v_add_f32_e32 v2, v2, v8
	ds_write_b32 v9, v2
	s_waitcnt lgkmcnt(0)
	s_barrier
	buffer_gl0_inv
	s_and_saveexec_b32 s0, vcc_lo
	s_cbranch_execz .LBB293_14
; %bb.13:
	ds_read_b32 v2, v5
	s_waitcnt lgkmcnt(0)
	ds_bpermute_b32 v1, v1, v2
	s_waitcnt lgkmcnt(0)
	v_add_f32_e32 v1, v2, v1
	ds_bpermute_b32 v2, v3, v1
	s_waitcnt lgkmcnt(0)
	v_add_f32_e32 v1, v1, v2
	;; [unrolled: 3-line block ×5, first 2 shown]
.LBB293_14:
	s_or_b32 exec_lo, exec_lo, s0
	s_barrier
	buffer_gl0_inv
	s_mov_b32 s0, exec_lo
	v_cmpx_eq_u32_e32 0, v0
	s_cbranch_execz .LBB293_16
; %bb.15:
	s_load_dwordx2 s[0:1], s[4:5], 0x38
	s_mul_hi_i32 s3, s14, s2
	s_mul_i32 s2, s14, s2
	s_mul_i32 s4, s18, s7
	s_lshl_b64 s[2:3], s[2:3], 2
	s_ashr_i32 s5, s4, 31
	v_mov_b32_e32 v0, 0
	s_waitcnt lgkmcnt(0)
	s_add_u32 s2, s0, s2
	s_addc_u32 s3, s1, s3
	s_lshl_b64 s[0:1], s[4:5], 2
	s_add_u32 s2, s2, s0
	s_addc_u32 s3, s3, s1
	s_ashr_i32 s7, s6, 31
	s_lshl_b64 s[0:1], s[6:7], 2
	s_add_u32 s0, s2, s0
	s_addc_u32 s1, s3, s1
	global_store_dword v0, v2, s[0:1]
.LBB293_16:
	s_endpgm
	.section	.rodata,"a",@progbits
	.p2align	6, 0x0
	.amdhsa_kernel _ZL13mul_mat_vec_fI14__hip_bfloat16fLi1ELi224ELb0ELb0EEvPKT_PKfPKi31ggml_cuda_mm_fusion_args_devicePfi15HIP_vector_typeIjLj3EEiiiSB_iiiSB_iiii
		.amdhsa_group_segment_fixed_size 0
		.amdhsa_private_segment_fixed_size 0
		.amdhsa_kernarg_size 144
		.amdhsa_user_sgpr_count 6
		.amdhsa_user_sgpr_private_segment_buffer 1
		.amdhsa_user_sgpr_dispatch_ptr 0
		.amdhsa_user_sgpr_queue_ptr 0
		.amdhsa_user_sgpr_kernarg_segment_ptr 1
		.amdhsa_user_sgpr_dispatch_id 0
		.amdhsa_user_sgpr_flat_scratch_init 0
		.amdhsa_user_sgpr_private_segment_size 0
		.amdhsa_wavefront_size32 1
		.amdhsa_uses_dynamic_stack 0
		.amdhsa_system_sgpr_private_segment_wavefront_offset 0
		.amdhsa_system_sgpr_workgroup_id_x 1
		.amdhsa_system_sgpr_workgroup_id_y 1
		.amdhsa_system_sgpr_workgroup_id_z 1
		.amdhsa_system_sgpr_workgroup_info 0
		.amdhsa_system_vgpr_workitem_id 0
		.amdhsa_next_free_vgpr 12
		.amdhsa_next_free_sgpr 28
		.amdhsa_reserve_vcc 1
		.amdhsa_reserve_flat_scratch 0
		.amdhsa_float_round_mode_32 0
		.amdhsa_float_round_mode_16_64 0
		.amdhsa_float_denorm_mode_32 3
		.amdhsa_float_denorm_mode_16_64 3
		.amdhsa_dx10_clamp 1
		.amdhsa_ieee_mode 1
		.amdhsa_fp16_overflow 0
		.amdhsa_workgroup_processor_mode 1
		.amdhsa_memory_ordered 1
		.amdhsa_forward_progress 1
		.amdhsa_shared_vgpr_count 0
		.amdhsa_exception_fp_ieee_invalid_op 0
		.amdhsa_exception_fp_denorm_src 0
		.amdhsa_exception_fp_ieee_div_zero 0
		.amdhsa_exception_fp_ieee_overflow 0
		.amdhsa_exception_fp_ieee_underflow 0
		.amdhsa_exception_fp_ieee_inexact 0
		.amdhsa_exception_int_div_zero 0
	.end_amdhsa_kernel
	.section	.text._ZL13mul_mat_vec_fI14__hip_bfloat16fLi1ELi224ELb0ELb0EEvPKT_PKfPKi31ggml_cuda_mm_fusion_args_devicePfi15HIP_vector_typeIjLj3EEiiiSB_iiiSB_iiii,"axG",@progbits,_ZL13mul_mat_vec_fI14__hip_bfloat16fLi1ELi224ELb0ELb0EEvPKT_PKfPKi31ggml_cuda_mm_fusion_args_devicePfi15HIP_vector_typeIjLj3EEiiiSB_iiiSB_iiii,comdat
.Lfunc_end293:
	.size	_ZL13mul_mat_vec_fI14__hip_bfloat16fLi1ELi224ELb0ELb0EEvPKT_PKfPKi31ggml_cuda_mm_fusion_args_devicePfi15HIP_vector_typeIjLj3EEiiiSB_iiiSB_iiii, .Lfunc_end293-_ZL13mul_mat_vec_fI14__hip_bfloat16fLi1ELi224ELb0ELb0EEvPKT_PKfPKi31ggml_cuda_mm_fusion_args_devicePfi15HIP_vector_typeIjLj3EEiiiSB_iiiSB_iiii
                                        ; -- End function
	.set _ZL13mul_mat_vec_fI14__hip_bfloat16fLi1ELi224ELb0ELb0EEvPKT_PKfPKi31ggml_cuda_mm_fusion_args_devicePfi15HIP_vector_typeIjLj3EEiiiSB_iiiSB_iiii.num_vgpr, 12
	.set _ZL13mul_mat_vec_fI14__hip_bfloat16fLi1ELi224ELb0ELb0EEvPKT_PKfPKi31ggml_cuda_mm_fusion_args_devicePfi15HIP_vector_typeIjLj3EEiiiSB_iiiSB_iiii.num_agpr, 0
	.set _ZL13mul_mat_vec_fI14__hip_bfloat16fLi1ELi224ELb0ELb0EEvPKT_PKfPKi31ggml_cuda_mm_fusion_args_devicePfi15HIP_vector_typeIjLj3EEiiiSB_iiiSB_iiii.numbered_sgpr, 28
	.set _ZL13mul_mat_vec_fI14__hip_bfloat16fLi1ELi224ELb0ELb0EEvPKT_PKfPKi31ggml_cuda_mm_fusion_args_devicePfi15HIP_vector_typeIjLj3EEiiiSB_iiiSB_iiii.num_named_barrier, 0
	.set _ZL13mul_mat_vec_fI14__hip_bfloat16fLi1ELi224ELb0ELb0EEvPKT_PKfPKi31ggml_cuda_mm_fusion_args_devicePfi15HIP_vector_typeIjLj3EEiiiSB_iiiSB_iiii.private_seg_size, 0
	.set _ZL13mul_mat_vec_fI14__hip_bfloat16fLi1ELi224ELb0ELb0EEvPKT_PKfPKi31ggml_cuda_mm_fusion_args_devicePfi15HIP_vector_typeIjLj3EEiiiSB_iiiSB_iiii.uses_vcc, 1
	.set _ZL13mul_mat_vec_fI14__hip_bfloat16fLi1ELi224ELb0ELb0EEvPKT_PKfPKi31ggml_cuda_mm_fusion_args_devicePfi15HIP_vector_typeIjLj3EEiiiSB_iiiSB_iiii.uses_flat_scratch, 0
	.set _ZL13mul_mat_vec_fI14__hip_bfloat16fLi1ELi224ELb0ELb0EEvPKT_PKfPKi31ggml_cuda_mm_fusion_args_devicePfi15HIP_vector_typeIjLj3EEiiiSB_iiiSB_iiii.has_dyn_sized_stack, 0
	.set _ZL13mul_mat_vec_fI14__hip_bfloat16fLi1ELi224ELb0ELb0EEvPKT_PKfPKi31ggml_cuda_mm_fusion_args_devicePfi15HIP_vector_typeIjLj3EEiiiSB_iiiSB_iiii.has_recursion, 0
	.set _ZL13mul_mat_vec_fI14__hip_bfloat16fLi1ELi224ELb0ELb0EEvPKT_PKfPKi31ggml_cuda_mm_fusion_args_devicePfi15HIP_vector_typeIjLj3EEiiiSB_iiiSB_iiii.has_indirect_call, 0
	.section	.AMDGPU.csdata,"",@progbits
; Kernel info:
; codeLenInByte = 1092
; TotalNumSgprs: 30
; NumVgprs: 12
; ScratchSize: 0
; MemoryBound: 0
; FloatMode: 240
; IeeeMode: 1
; LDSByteSize: 0 bytes/workgroup (compile time only)
; SGPRBlocks: 0
; VGPRBlocks: 1
; NumSGPRsForWavesPerEU: 30
; NumVGPRsForWavesPerEU: 12
; Occupancy: 16
; WaveLimiterHint : 0
; COMPUTE_PGM_RSRC2:SCRATCH_EN: 0
; COMPUTE_PGM_RSRC2:USER_SGPR: 6
; COMPUTE_PGM_RSRC2:TRAP_HANDLER: 0
; COMPUTE_PGM_RSRC2:TGID_X_EN: 1
; COMPUTE_PGM_RSRC2:TGID_Y_EN: 1
; COMPUTE_PGM_RSRC2:TGID_Z_EN: 1
; COMPUTE_PGM_RSRC2:TIDIG_COMP_CNT: 0
	.section	.text._ZL13mul_mat_vec_fI14__hip_bfloat16fLi1ELi256ELb1ELb0EEvPKT_PKfPKi31ggml_cuda_mm_fusion_args_devicePfi15HIP_vector_typeIjLj3EEiiiSB_iiiSB_iiii,"axG",@progbits,_ZL13mul_mat_vec_fI14__hip_bfloat16fLi1ELi256ELb1ELb0EEvPKT_PKfPKi31ggml_cuda_mm_fusion_args_devicePfi15HIP_vector_typeIjLj3EEiiiSB_iiiSB_iiii,comdat
	.globl	_ZL13mul_mat_vec_fI14__hip_bfloat16fLi1ELi256ELb1ELb0EEvPKT_PKfPKi31ggml_cuda_mm_fusion_args_devicePfi15HIP_vector_typeIjLj3EEiiiSB_iiiSB_iiii ; -- Begin function _ZL13mul_mat_vec_fI14__hip_bfloat16fLi1ELi256ELb1ELb0EEvPKT_PKfPKi31ggml_cuda_mm_fusion_args_devicePfi15HIP_vector_typeIjLj3EEiiiSB_iiiSB_iiii
	.p2align	8
	.type	_ZL13mul_mat_vec_fI14__hip_bfloat16fLi1ELi256ELb1ELb0EEvPKT_PKfPKi31ggml_cuda_mm_fusion_args_devicePfi15HIP_vector_typeIjLj3EEiiiSB_iiiSB_iiii,@function
_ZL13mul_mat_vec_fI14__hip_bfloat16fLi1ELi256ELb1ELb0EEvPKT_PKfPKi31ggml_cuda_mm_fusion_args_devicePfi15HIP_vector_typeIjLj3EEiiiSB_iiiSB_iiii: ; @_ZL13mul_mat_vec_fI14__hip_bfloat16fLi1ELi256ELb1ELb0EEvPKT_PKfPKi31ggml_cuda_mm_fusion_args_devicePfi15HIP_vector_typeIjLj3EEiiiSB_iiiSB_iiii
; %bb.0:
	s_clause 0x3
	s_load_dwordx8 s[12:19], s[4:5], 0x0
	s_load_dwordx4 s[24:27], s[4:5], 0x20
	s_load_dwordx4 s[36:39], s[4:5], 0x40
	;; [unrolled: 1-line block ×3, first 2 shown]
	s_mov_b32 s0, s7
	s_waitcnt lgkmcnt(0)
	s_cmp_eq_u64 s[16:17], 0
	s_cselect_b32 s11, -1, 0
	s_cmp_lg_u64 s[16:17], 0
	s_cselect_b32 s1, -1, 0
	s_and_b32 vcc_lo, exec_lo, s11
	s_cbranch_vccnz .LBB294_2
; %bb.1:
	s_mul_i32 s2, s31, s8
	s_mov_b32 s3, 0
	s_add_i32 s2, s2, s0
	s_lshl_b64 s[20:21], s[2:3], 2
	s_add_u32 s16, s16, s20
	s_addc_u32 s17, s17, s21
	s_load_dword s7, s[16:17], 0x0
	s_load_dword s16, s[4:5], 0x50
	s_waitcnt lgkmcnt(0)
	s_mov_b32 s3, s7
	s_cbranch_execz .LBB294_3
	s_branch .LBB294_4
.LBB294_2:
                                        ; implicit-def: $sgpr7
	s_load_dword s16, s[4:5], 0x50
	s_mov_b32 s3, s7
.LBB294_3:
	s_load_dwordx2 s[2:3], s[4:5], 0x5c
	s_mov_b32 s7, s0
	s_waitcnt lgkmcnt(0)
	s_mul_hi_u32 s2, s2, s0
	s_add_i32 s2, s0, s2
	s_lshr_b32 s3, s2, s3
.LBB294_4:
	s_load_dwordx4 s[20:23], s[4:5], 0x68
	s_andn2_b32 vcc_lo, exec_lo, s1
	s_mov_b32 s17, s0
	s_cbranch_vccnz .LBB294_6
; %bb.5:
	s_mul_hi_u32 s1, s37, s0
	s_add_i32 s1, s0, s1
	s_lshr_b32 s1, s1, s38
	s_mul_i32 s1, s1, s39
	s_sub_i32 s17, s0, s1
.LBB294_6:
	s_load_dword s31, s[4:5], 0x78
	s_cmp_lg_u64 s[24:25], 0
	v_cmp_gt_u32_e64 s2, 32, v0
	v_lshl_add_u32 v8, v0, 2, 0
	s_cselect_b32 s1, -1, 0
	s_cmp_eq_u64 s[24:25], 0
	s_cselect_b32 s9, -1, 0
	s_and_saveexec_b32 s10, s2
	s_cbranch_execz .LBB294_9
; %bb.7:
	v_mov_b32_e32 v1, 0
	s_andn2_b32 vcc_lo, exec_lo, s1
	ds_write_b32 v8, v1
	s_cbranch_vccnz .LBB294_9
; %bb.8:
	ds_write_b32 v8, v1 offset:128
.LBB294_9:
	s_or_b32 exec_lo, exec_lo, s10
	v_mov_b32_e32 v7, 0
	v_mov_b32_e32 v9, 0
	s_and_b32 s11, exec_lo, s11
	s_mov_b32 s10, 0
	s_cselect_b32 s11, s8, 0
	s_mov_b32 s8, exec_lo
	s_waitcnt lgkmcnt(0)
	s_barrier
	buffer_gl0_inv
	v_cmpx_gt_i32_e64 s36, v0
	s_cbranch_execz .LBB294_15
; %bb.10:
	s_mul_hi_u32 s23, s23, s11
	s_mul_i32 s3, s3, s20
	s_add_i32 s23, s11, s23
	s_mul_i32 s16, s16, s6
	s_lshr_b32 s20, s23, s31
	s_ashr_i32 s31, s16, 31
	s_mul_hi_i32 s23, s20, s28
	s_mul_i32 s20, s20, s28
	s_ashr_i32 s28, s3, 31
	s_add_u32 s16, s20, s16
	s_addc_u32 s23, s23, s31
	s_mul_i32 s20, s17, s21
	s_add_u32 s16, s16, s3
	s_addc_u32 s17, s23, s28
	s_ashr_i32 s21, s20, 31
	s_and_b32 s3, s1, exec_lo
	s_cselect_b32 s3, s25, 0
	s_cselect_b32 s23, s24, 0
	;; [unrolled: 1-line block ×4, first 2 shown]
	v_lshlrev_b32_e32 v5, 2, v0
	s_lshl_b64 s[24:25], s[24:25], 1
	v_lshlrev_b32_e32 v3, 3, v0
	s_add_u32 s23, s23, s24
	s_addc_u32 s3, s3, s25
	s_mul_hi_i32 s25, s11, s29
	s_mul_i32 s24, s11, s29
	v_add_co_u32 v1, s23, s23, v5
	s_lshl_b64 s[20:21], s[20:21], 2
	s_lshl_b64 s[24:25], s[24:25], 2
	v_add_co_ci_u32_e64 v2, null, s3, 0, s23
	s_add_u32 s3, s14, s20
	s_addc_u32 s14, s15, s21
	s_add_u32 s3, s3, s24
	s_addc_u32 s14, s14, s25
	v_add_co_u32 v3, s3, s3, v3
	v_add_co_ci_u32_e64 v4, null, s14, 0, s3
	s_lshl_b64 s[14:15], s[16:17], 1
	v_add_co_u32 v3, vcc_lo, v3, 4
	s_add_u32 s3, s12, s14
	s_addc_u32 s12, s13, s15
	v_add_co_u32 v5, s3, s3, v5
	v_mov_b32_e32 v7, 0
	v_add_co_ci_u32_e64 v4, null, 0, v4, vcc_lo
	v_add_co_ci_u32_e64 v6, null, s12, 0, s3
	v_mov_b32_e32 v10, v0
	v_mov_b32_e32 v9, 0
	s_inst_prefetch 0x1
	s_branch .LBB294_12
	.p2align	6
.LBB294_11:                             ;   in Loop: Header=BB294_12 Depth=1
	global_load_dwordx2 v[14:15], v[3:4], off offset:-4
	s_waitcnt vmcnt(1)
	v_lshlrev_b32_e32 v16, 16, v13
	v_add_nc_u32_e32 v10, 0x100, v10
	v_add_co_u32 v1, vcc_lo, 0x400, v1
	v_and_b32_e32 v13, 0xffff0000, v13
	v_add_co_ci_u32_e64 v2, null, 0, v2, vcc_lo
	v_add_co_u32 v3, vcc_lo, 0x800, v3
	v_add_co_ci_u32_e64 v4, null, 0, v4, vcc_lo
	v_cmp_le_i32_e32 vcc_lo, s36, v10
	v_add_co_u32 v5, s3, 0x400, v5
	v_add_co_ci_u32_e64 v6, null, 0, v6, s3
	s_or_b32 s10, vcc_lo, s10
	s_waitcnt vmcnt(0)
	v_fma_f32 v12, v12, v14, v7
	v_fmac_f32_e32 v9, v14, v16
	v_fmac_f32_e32 v12, v11, v15
	;; [unrolled: 1-line block ×3, first 2 shown]
	v_cndmask_b32_e64 v7, v7, v12, s1
	s_andn2_b32 exec_lo, exec_lo, s10
	s_cbranch_execz .LBB294_14
.LBB294_12:                             ; =>This Inner Loop Header: Depth=1
	global_load_dword v13, v[5:6], off
	v_mov_b32_e32 v11, 0
	v_mov_b32_e32 v12, 0
	s_andn2_b32 vcc_lo, exec_lo, s1
	s_cbranch_vccnz .LBB294_11
; %bb.13:                               ;   in Loop: Header=BB294_12 Depth=1
	global_load_dword v11, v[1:2], off
	s_waitcnt vmcnt(0)
	v_lshlrev_b32_e32 v12, 16, v11
	v_and_b32_e32 v11, 0xffff0000, v11
	s_branch .LBB294_11
.LBB294_14:
	s_inst_prefetch 0x2
	s_or_b32 exec_lo, exec_lo, s10
.LBB294_15:
	s_or_b32 exec_lo, exec_lo, s8
	v_mbcnt_lo_u32_b32 v1, -1, 0
	s_load_dword s10, s[4:5], 0x30
	s_mov_b32 s3, -1
	v_xor_b32_e32 v2, 16, v1
	v_xor_b32_e32 v3, 8, v1
	v_cmp_gt_i32_e32 vcc_lo, 32, v2
	v_cndmask_b32_e32 v2, v1, v2, vcc_lo
	v_cmp_gt_i32_e32 vcc_lo, 32, v3
	v_lshlrev_b32_e32 v2, 2, v2
	v_cndmask_b32_e32 v3, v1, v3, vcc_lo
	ds_bpermute_b32 v4, v2, v9
	v_lshlrev_b32_e32 v3, 2, v3
	s_waitcnt lgkmcnt(0)
	v_add_f32_e32 v5, v9, v4
	v_xor_b32_e32 v4, 4, v1
	ds_bpermute_b32 v6, v3, v5
	v_cmp_gt_i32_e32 vcc_lo, 32, v4
	v_cndmask_b32_e32 v4, v1, v4, vcc_lo
	v_lshlrev_b32_e32 v4, 2, v4
	s_waitcnt lgkmcnt(0)
	v_add_f32_e32 v6, v5, v6
	v_xor_b32_e32 v5, 2, v1
	ds_bpermute_b32 v9, v4, v6
	v_cmp_gt_i32_e32 vcc_lo, 32, v5
	v_cndmask_b32_e32 v5, v1, v5, vcc_lo
	;; [unrolled: 7-line block ×3, first 2 shown]
	s_and_b32 vcc_lo, exec_lo, s9
	v_lshlrev_b32_e32 v6, 2, v1
	s_waitcnt lgkmcnt(0)
	v_add_f32_e32 v1, v9, v10
	v_lshrrev_b32_e32 v10, 5, v0
	ds_bpermute_b32 v9, v6, v1
	s_waitcnt lgkmcnt(0)
	v_add_f32_e32 v1, v1, v9
	v_lshl_add_u32 v9, v10, 2, 0
	s_cbranch_vccz .LBB294_17
; %bb.16:
	s_mov_b32 s3, 0
	ds_write_b32 v9, v1
.LBB294_17:
	s_andn2_b32 vcc_lo, exec_lo, s3
	s_cbranch_vccnz .LBB294_19
; %bb.18:
	ds_bpermute_b32 v10, v2, v7
	s_waitcnt lgkmcnt(0)
	v_add_f32_e32 v7, v7, v10
	ds_bpermute_b32 v10, v3, v7
	s_waitcnt lgkmcnt(0)
	v_add_f32_e32 v7, v7, v10
	;; [unrolled: 3-line block ×5, first 2 shown]
	ds_write2_b32 v9, v1, v7 offset1:32
.LBB294_19:
	s_waitcnt lgkmcnt(0)
	s_barrier
	buffer_gl0_inv
	s_and_saveexec_b32 s3, s2
	s_cbranch_execz .LBB294_23
; %bb.20:
	ds_read_b32 v1, v8
	s_andn2_b32 vcc_lo, exec_lo, s1
	s_waitcnt lgkmcnt(0)
	ds_bpermute_b32 v9, v2, v1
	s_waitcnt lgkmcnt(0)
	v_add_f32_e32 v1, v1, v9
	ds_bpermute_b32 v9, v3, v1
	s_waitcnt lgkmcnt(0)
	v_add_f32_e32 v1, v1, v9
	;; [unrolled: 3-line block ×4, first 2 shown]
	ds_bpermute_b32 v9, v6, v1
	s_cbranch_vccnz .LBB294_22
; %bb.21:
	ds_read_b32 v7, v8 offset:128
	s_waitcnt lgkmcnt(0)
	ds_bpermute_b32 v2, v2, v7
	s_waitcnt lgkmcnt(0)
	v_add_f32_e32 v2, v7, v2
	ds_bpermute_b32 v3, v3, v2
	s_waitcnt lgkmcnt(0)
	v_add_f32_e32 v2, v2, v3
	;; [unrolled: 3-line block ×5, first 2 shown]
.LBB294_22:
	s_waitcnt lgkmcnt(0)
	v_add_f32_e32 v1, v1, v9
.LBB294_23:
	s_or_b32 exec_lo, exec_lo, s3
	s_barrier
	buffer_gl0_inv
	s_mov_b32 s2, exec_lo
	v_cmpx_eq_u32_e32 0, v0
	s_cbranch_execz .LBB294_47
; %bb.24:
	s_cmp_eq_u64 s[18:19], 0
	s_mul_i32 s8, s7, s22
	s_cselect_b32 s2, -1, 0
	s_ashr_i32 s9, s8, 31
	s_mul_hi_i32 s3, s30, s11
	s_and_b32 vcc_lo, exec_lo, s2
	s_mul_i32 s2, s30, s11
	s_cbranch_vccnz .LBB294_26
; %bb.25:
	s_cselect_b32 s7, 0, s19
	s_cselect_b32 s11, 0, s18
	s_lshl_b64 s[12:13], s[2:3], 2
	s_add_u32 s11, s11, s12
	s_addc_u32 s7, s7, s13
	s_lshl_b64 s[12:13], s[8:9], 2
	s_add_u32 s11, s11, s12
	s_addc_u32 s14, s7, s13
	s_ashr_i32 s7, s6, 31
	s_lshl_b64 s[12:13], s[6:7], 2
	s_add_u32 s12, s11, s12
	s_addc_u32 s13, s14, s13
	s_load_dword s7, s[12:13], 0x0
	s_waitcnt lgkmcnt(0)
	v_add_f32_e32 v1, s7, v1
.LBB294_26:
	s_andn2_b32 vcc_lo, exec_lo, s1
	s_cbranch_vccnz .LBB294_46
; %bb.27:
	s_cmp_lg_u64 s[26:27], 0
	s_cselect_b32 s7, -1, 0
	s_and_b32 s1, s7, s1
	s_andn2_b32 vcc_lo, exec_lo, s1
	s_cbranch_vccnz .LBB294_29
; %bb.28:
	s_and_b32 s1, s7, exec_lo
	s_cselect_b32 s1, s27, 0
	s_cselect_b32 s7, s26, 0
	s_lshl_b64 s[12:13], s[2:3], 2
	s_add_u32 s7, s7, s12
	s_addc_u32 s1, s1, s13
	s_lshl_b64 s[8:9], s[8:9], 2
	s_add_u32 s11, s7, s8
	s_addc_u32 s1, s1, s9
	s_ashr_i32 s7, s6, 31
	s_lshl_b64 s[8:9], s[6:7], 2
	s_add_u32 s8, s11, s8
	s_addc_u32 s9, s1, s9
	s_load_dword s1, s[8:9], 0x0
	s_waitcnt lgkmcnt(0)
	v_add_f32_e32 v7, s1, v7
.LBB294_29:
	s_cmp_lt_i32 s10, 2
	s_cbranch_scc1 .LBB294_34
; %bb.30:
	s_cmp_lt_i32 s10, 3
	s_cbranch_scc1 .LBB294_35
; %bb.31:
	v_mov_b32_e32 v0, v1
	s_cmp_eq_u32 s10, 3
	s_cbranch_scc0 .LBB294_33
; %bb.32:
	v_max_f32_e32 v0, v7, v7
	v_min_f32_e32 v0, 0x40e00000, v0
	v_mul_f32_e32 v2, 0xbfd9db23, v0
	v_mul_f32_e32 v3, 0x3fb8aa3b, v2
	v_cmp_ngt_f32_e32 vcc_lo, 0xc2ce8ed0, v2
	v_fma_f32 v4, 0x3fb8aa3b, v2, -v3
	v_rndne_f32_e32 v5, v3
	v_fmamk_f32 v4, v2, 0x32a5705f, v4
	v_sub_f32_e32 v3, v3, v5
	v_add_f32_e32 v3, v3, v4
	v_cvt_i32_f32_e32 v4, v5
	v_exp_f32_e32 v3, v3
	v_ldexp_f32 v3, v3, v4
	v_cndmask_b32_e32 v3, 0, v3, vcc_lo
	v_cmp_nlt_f32_e32 vcc_lo, 0x42b17218, v2
	v_cndmask_b32_e32 v2, 0x7f800000, v3, vcc_lo
	v_add_f32_e32 v2, 1.0, v2
	v_div_scale_f32 v3, null, v2, v2, v0
	v_div_scale_f32 v6, vcc_lo, v0, v2, v0
	v_rcp_f32_e32 v4, v3
	v_fma_f32 v5, -v3, v4, 1.0
	v_fmac_f32_e32 v4, v5, v4
	v_mul_f32_e32 v5, v6, v4
	v_fma_f32 v8, -v3, v5, v6
	v_fmac_f32_e32 v5, v8, v4
	v_max_f32_e32 v8, v1, v1
	v_fma_f32 v3, -v3, v5, v6
	v_min_f32_e32 v6, 0x40e00000, v8
	v_div_fmas_f32 v3, v3, v4, v5
	v_max_f32_e32 v4, 0xc0e00000, v6
	v_div_fixup_f32 v0, v3, v2, v0
	v_add_f32_e32 v2, 1.0, v4
	v_mul_f32_e32 v0, v2, v0
.LBB294_33:
	s_cbranch_execz .LBB294_36
	s_branch .LBB294_37
.LBB294_34:
                                        ; implicit-def: $vgpr0
	s_branch .LBB294_38
.LBB294_35:
                                        ; implicit-def: $vgpr0
.LBB294_36:
	v_mul_f32_e32 v0, 0xbfb8aa3b, v7
	v_cmp_nlt_f32_e32 vcc_lo, 0x42ce8ed0, v7
	v_rndne_f32_e32 v2, v0
	v_fma_f32 v3, 0xbfb8aa3b, v7, -v0
	v_sub_f32_e32 v0, v0, v2
	v_fmamk_f32 v3, v7, 0xb2a5705f, v3
	v_cvt_i32_f32_e32 v2, v2
	v_add_f32_e32 v0, v0, v3
	v_exp_f32_e32 v0, v0
	v_ldexp_f32 v0, v0, v2
	v_cndmask_b32_e32 v0, 0, v0, vcc_lo
	v_cmp_ngt_f32_e32 vcc_lo, 0xc2b17218, v7
	v_cndmask_b32_e32 v0, 0x7f800000, v0, vcc_lo
	v_add_f32_e32 v0, 1.0, v0
	v_div_scale_f32 v2, null, v0, v0, v7
	v_rcp_f32_e32 v3, v2
	v_fma_f32 v4, -v2, v3, 1.0
	v_fmac_f32_e32 v3, v4, v3
	v_div_scale_f32 v4, vcc_lo, v7, v0, v7
	v_mul_f32_e32 v5, v4, v3
	v_fma_f32 v6, -v2, v5, v4
	v_fmac_f32_e32 v5, v6, v3
	v_fma_f32 v2, -v2, v5, v4
	v_div_fmas_f32 v2, v2, v3, v5
	v_div_fixup_f32 v0, v2, v0, v7
	v_mul_f32_e32 v0, v1, v0
.LBB294_37:
	s_cbranch_execnz .LBB294_45
.LBB294_38:
	s_cmp_eq_u32 s10, 1
	s_cbranch_scc0 .LBB294_44
; %bb.39:
	v_mul_f32_e32 v0, 0x3d372713, v7
	v_mul_f32_e32 v2, 0x3f4c422a, v7
	v_fma_f32 v0, v7, v0, 1.0
	v_mul_f32_e32 v0, v2, v0
                                        ; implicit-def: $vgpr2
	v_cmp_ngt_f32_e64 s1, 0x3f200000, |v0|
	s_and_saveexec_b32 s7, s1
	s_xor_b32 s1, exec_lo, s7
	s_cbranch_execz .LBB294_41
; %bb.40:
	v_add_f32_e64 v2, |v0|, |v0|
	v_mul_f32_e32 v3, 0x3fb8aa3b, v2
	v_cmp_ngt_f32_e32 vcc_lo, 0xc2ce8ed0, v2
	v_rndne_f32_e32 v4, v3
	v_fma_f32 v5, 0x3fb8aa3b, v2, -v3
	v_sub_f32_e32 v3, v3, v4
	v_fmamk_f32 v5, v2, 0x32a5705f, v5
	v_cvt_i32_f32_e32 v4, v4
	v_add_f32_e32 v3, v3, v5
	v_exp_f32_e32 v3, v3
	v_ldexp_f32 v3, v3, v4
	v_cndmask_b32_e32 v3, 0, v3, vcc_lo
	v_cmp_nlt_f32_e32 vcc_lo, 0x42b17218, v2
	v_cndmask_b32_e32 v2, 0x7f800000, v3, vcc_lo
	v_add_f32_e32 v2, 1.0, v2
	v_rcp_f32_e32 v2, v2
	v_fma_f32 v2, v2, -2.0, 1.0
.LBB294_41:
	s_andn2_saveexec_b32 s1, s1
	s_cbranch_execz .LBB294_43
; %bb.42:
	v_mul_f32_e32 v2, v0, v0
	s_mov_b32 s7, 0xbbbac73d
	v_fmaak_f32 v3, s7, v2, 0x3ca908c9
	v_fmaak_f32 v3, v2, v3, 0xbd5c1c4e
	;; [unrolled: 1-line block ×4, first 2 shown]
	v_mul_f32_e64 v3, |v0|, v3
	v_fma_f32 v2, v2, v3, |v0|
.LBB294_43:
	s_or_b32 exec_lo, exec_lo, s1
	v_bfi_b32 v0, 0x7fffffff, v2, v0
	v_mul_f32_e32 v2, 0.5, v7
	v_add_f32_e32 v0, 1.0, v0
	v_mul_f32_e32 v0, v2, v0
	v_mul_f32_e32 v1, v1, v0
.LBB294_44:
	v_mov_b32_e32 v0, v1
.LBB294_45:
	v_mov_b32_e32 v1, v0
.LBB294_46:
	s_load_dwordx2 s[4:5], s[4:5], 0x38
	s_mul_i32 s0, s22, s0
	s_lshl_b64 s[2:3], s[2:3], 2
	s_ashr_i32 s1, s0, 31
	v_mov_b32_e32 v0, 0
	s_waitcnt lgkmcnt(0)
	s_add_u32 s2, s4, s2
	s_addc_u32 s3, s5, s3
	s_lshl_b64 s[0:1], s[0:1], 2
	s_add_u32 s2, s2, s0
	s_addc_u32 s3, s3, s1
	s_ashr_i32 s7, s6, 31
	s_lshl_b64 s[0:1], s[6:7], 2
	s_add_u32 s0, s2, s0
	s_addc_u32 s1, s3, s1
	global_store_dword v0, v1, s[0:1]
.LBB294_47:
	s_endpgm
	.section	.rodata,"a",@progbits
	.p2align	6, 0x0
	.amdhsa_kernel _ZL13mul_mat_vec_fI14__hip_bfloat16fLi1ELi256ELb1ELb0EEvPKT_PKfPKi31ggml_cuda_mm_fusion_args_devicePfi15HIP_vector_typeIjLj3EEiiiSB_iiiSB_iiii
		.amdhsa_group_segment_fixed_size 0
		.amdhsa_private_segment_fixed_size 0
		.amdhsa_kernarg_size 144
		.amdhsa_user_sgpr_count 6
		.amdhsa_user_sgpr_private_segment_buffer 1
		.amdhsa_user_sgpr_dispatch_ptr 0
		.amdhsa_user_sgpr_queue_ptr 0
		.amdhsa_user_sgpr_kernarg_segment_ptr 1
		.amdhsa_user_sgpr_dispatch_id 0
		.amdhsa_user_sgpr_flat_scratch_init 0
		.amdhsa_user_sgpr_private_segment_size 0
		.amdhsa_wavefront_size32 1
		.amdhsa_uses_dynamic_stack 0
		.amdhsa_system_sgpr_private_segment_wavefront_offset 0
		.amdhsa_system_sgpr_workgroup_id_x 1
		.amdhsa_system_sgpr_workgroup_id_y 1
		.amdhsa_system_sgpr_workgroup_id_z 1
		.amdhsa_system_sgpr_workgroup_info 0
		.amdhsa_system_vgpr_workitem_id 0
		.amdhsa_next_free_vgpr 17
		.amdhsa_next_free_sgpr 40
		.amdhsa_reserve_vcc 1
		.amdhsa_reserve_flat_scratch 0
		.amdhsa_float_round_mode_32 0
		.amdhsa_float_round_mode_16_64 0
		.amdhsa_float_denorm_mode_32 3
		.amdhsa_float_denorm_mode_16_64 3
		.amdhsa_dx10_clamp 1
		.amdhsa_ieee_mode 1
		.amdhsa_fp16_overflow 0
		.amdhsa_workgroup_processor_mode 1
		.amdhsa_memory_ordered 1
		.amdhsa_forward_progress 1
		.amdhsa_shared_vgpr_count 0
		.amdhsa_exception_fp_ieee_invalid_op 0
		.amdhsa_exception_fp_denorm_src 0
		.amdhsa_exception_fp_ieee_div_zero 0
		.amdhsa_exception_fp_ieee_overflow 0
		.amdhsa_exception_fp_ieee_underflow 0
		.amdhsa_exception_fp_ieee_inexact 0
		.amdhsa_exception_int_div_zero 0
	.end_amdhsa_kernel
	.section	.text._ZL13mul_mat_vec_fI14__hip_bfloat16fLi1ELi256ELb1ELb0EEvPKT_PKfPKi31ggml_cuda_mm_fusion_args_devicePfi15HIP_vector_typeIjLj3EEiiiSB_iiiSB_iiii,"axG",@progbits,_ZL13mul_mat_vec_fI14__hip_bfloat16fLi1ELi256ELb1ELb0EEvPKT_PKfPKi31ggml_cuda_mm_fusion_args_devicePfi15HIP_vector_typeIjLj3EEiiiSB_iiiSB_iiii,comdat
.Lfunc_end294:
	.size	_ZL13mul_mat_vec_fI14__hip_bfloat16fLi1ELi256ELb1ELb0EEvPKT_PKfPKi31ggml_cuda_mm_fusion_args_devicePfi15HIP_vector_typeIjLj3EEiiiSB_iiiSB_iiii, .Lfunc_end294-_ZL13mul_mat_vec_fI14__hip_bfloat16fLi1ELi256ELb1ELb0EEvPKT_PKfPKi31ggml_cuda_mm_fusion_args_devicePfi15HIP_vector_typeIjLj3EEiiiSB_iiiSB_iiii
                                        ; -- End function
	.set _ZL13mul_mat_vec_fI14__hip_bfloat16fLi1ELi256ELb1ELb0EEvPKT_PKfPKi31ggml_cuda_mm_fusion_args_devicePfi15HIP_vector_typeIjLj3EEiiiSB_iiiSB_iiii.num_vgpr, 17
	.set _ZL13mul_mat_vec_fI14__hip_bfloat16fLi1ELi256ELb1ELb0EEvPKT_PKfPKi31ggml_cuda_mm_fusion_args_devicePfi15HIP_vector_typeIjLj3EEiiiSB_iiiSB_iiii.num_agpr, 0
	.set _ZL13mul_mat_vec_fI14__hip_bfloat16fLi1ELi256ELb1ELb0EEvPKT_PKfPKi31ggml_cuda_mm_fusion_args_devicePfi15HIP_vector_typeIjLj3EEiiiSB_iiiSB_iiii.numbered_sgpr, 40
	.set _ZL13mul_mat_vec_fI14__hip_bfloat16fLi1ELi256ELb1ELb0EEvPKT_PKfPKi31ggml_cuda_mm_fusion_args_devicePfi15HIP_vector_typeIjLj3EEiiiSB_iiiSB_iiii.num_named_barrier, 0
	.set _ZL13mul_mat_vec_fI14__hip_bfloat16fLi1ELi256ELb1ELb0EEvPKT_PKfPKi31ggml_cuda_mm_fusion_args_devicePfi15HIP_vector_typeIjLj3EEiiiSB_iiiSB_iiii.private_seg_size, 0
	.set _ZL13mul_mat_vec_fI14__hip_bfloat16fLi1ELi256ELb1ELb0EEvPKT_PKfPKi31ggml_cuda_mm_fusion_args_devicePfi15HIP_vector_typeIjLj3EEiiiSB_iiiSB_iiii.uses_vcc, 1
	.set _ZL13mul_mat_vec_fI14__hip_bfloat16fLi1ELi256ELb1ELb0EEvPKT_PKfPKi31ggml_cuda_mm_fusion_args_devicePfi15HIP_vector_typeIjLj3EEiiiSB_iiiSB_iiii.uses_flat_scratch, 0
	.set _ZL13mul_mat_vec_fI14__hip_bfloat16fLi1ELi256ELb1ELb0EEvPKT_PKfPKi31ggml_cuda_mm_fusion_args_devicePfi15HIP_vector_typeIjLj3EEiiiSB_iiiSB_iiii.has_dyn_sized_stack, 0
	.set _ZL13mul_mat_vec_fI14__hip_bfloat16fLi1ELi256ELb1ELb0EEvPKT_PKfPKi31ggml_cuda_mm_fusion_args_devicePfi15HIP_vector_typeIjLj3EEiiiSB_iiiSB_iiii.has_recursion, 0
	.set _ZL13mul_mat_vec_fI14__hip_bfloat16fLi1ELi256ELb1ELb0EEvPKT_PKfPKi31ggml_cuda_mm_fusion_args_devicePfi15HIP_vector_typeIjLj3EEiiiSB_iiiSB_iiii.has_indirect_call, 0
	.section	.AMDGPU.csdata,"",@progbits
; Kernel info:
; codeLenInByte = 2292
; TotalNumSgprs: 42
; NumVgprs: 17
; ScratchSize: 0
; MemoryBound: 0
; FloatMode: 240
; IeeeMode: 1
; LDSByteSize: 0 bytes/workgroup (compile time only)
; SGPRBlocks: 0
; VGPRBlocks: 2
; NumSGPRsForWavesPerEU: 42
; NumVGPRsForWavesPerEU: 17
; Occupancy: 16
; WaveLimiterHint : 1
; COMPUTE_PGM_RSRC2:SCRATCH_EN: 0
; COMPUTE_PGM_RSRC2:USER_SGPR: 6
; COMPUTE_PGM_RSRC2:TRAP_HANDLER: 0
; COMPUTE_PGM_RSRC2:TGID_X_EN: 1
; COMPUTE_PGM_RSRC2:TGID_Y_EN: 1
; COMPUTE_PGM_RSRC2:TGID_Z_EN: 1
; COMPUTE_PGM_RSRC2:TIDIG_COMP_CNT: 0
	.section	.text._ZL13mul_mat_vec_fI14__hip_bfloat16fLi1ELi256ELb0ELb0EEvPKT_PKfPKi31ggml_cuda_mm_fusion_args_devicePfi15HIP_vector_typeIjLj3EEiiiSB_iiiSB_iiii,"axG",@progbits,_ZL13mul_mat_vec_fI14__hip_bfloat16fLi1ELi256ELb0ELb0EEvPKT_PKfPKi31ggml_cuda_mm_fusion_args_devicePfi15HIP_vector_typeIjLj3EEiiiSB_iiiSB_iiii,comdat
	.globl	_ZL13mul_mat_vec_fI14__hip_bfloat16fLi1ELi256ELb0ELb0EEvPKT_PKfPKi31ggml_cuda_mm_fusion_args_devicePfi15HIP_vector_typeIjLj3EEiiiSB_iiiSB_iiii ; -- Begin function _ZL13mul_mat_vec_fI14__hip_bfloat16fLi1ELi256ELb0ELb0EEvPKT_PKfPKi31ggml_cuda_mm_fusion_args_devicePfi15HIP_vector_typeIjLj3EEiiiSB_iiiSB_iiii
	.p2align	8
	.type	_ZL13mul_mat_vec_fI14__hip_bfloat16fLi1ELi256ELb0ELb0EEvPKT_PKfPKi31ggml_cuda_mm_fusion_args_devicePfi15HIP_vector_typeIjLj3EEiiiSB_iiiSB_iiii,@function
_ZL13mul_mat_vec_fI14__hip_bfloat16fLi1ELi256ELb0ELb0EEvPKT_PKfPKi31ggml_cuda_mm_fusion_args_devicePfi15HIP_vector_typeIjLj3EEiiiSB_iiiSB_iiii: ; @_ZL13mul_mat_vec_fI14__hip_bfloat16fLi1ELi256ELb0ELb0EEvPKT_PKfPKi31ggml_cuda_mm_fusion_args_devicePfi15HIP_vector_typeIjLj3EEiiiSB_iiiSB_iiii
; %bb.0:
	s_clause 0x2
	s_load_dwordx2 s[2:3], s[4:5], 0x10
	s_load_dwordx4 s[20:23], s[4:5], 0x40
	s_load_dwordx4 s[12:15], s[4:5], 0x80
	s_waitcnt lgkmcnt(0)
	s_cmp_eq_u64 s[2:3], 0
	s_cselect_b32 s9, -1, 0
	s_cmp_lg_u64 s[2:3], 0
	s_cselect_b32 s10, -1, 0
	s_and_b32 vcc_lo, exec_lo, s9
	s_cbranch_vccnz .LBB295_2
; %bb.1:
	s_mul_i32 s0, s15, s8
	s_mov_b32 s1, 0
	s_add_i32 s0, s0, s7
	s_lshl_b64 s[16:17], s[0:1], 2
	s_add_u32 s2, s2, s16
	s_addc_u32 s3, s3, s17
	s_load_dword s24, s[2:3], 0x0
	s_load_dword s25, s[4:5], 0x50
	s_cbranch_execz .LBB295_3
	s_branch .LBB295_4
.LBB295_2:
                                        ; implicit-def: $sgpr24
	s_load_dword s25, s[4:5], 0x50
.LBB295_3:
	s_load_dwordx2 s[0:1], s[4:5], 0x5c
	s_waitcnt lgkmcnt(0)
	s_mul_hi_u32 s0, s0, s7
	s_add_i32 s0, s7, s0
	s_lshr_b32 s24, s0, s1
.LBB295_4:
	s_load_dwordx4 s[16:19], s[4:5], 0x68
	s_andn2_b32 vcc_lo, exec_lo, s10
	s_mov_b32 s26, s7
	s_cbranch_vccnz .LBB295_6
; %bb.5:
	s_mul_hi_u32 s0, s21, s7
	s_add_i32 s0, s7, s0
	s_lshr_b32 s0, s0, s22
	s_mul_i32 s0, s0, s23
	s_sub_i32 s26, s7, s0
.LBB295_6:
	s_load_dword s1, s[4:5], 0x78
	v_cmp_gt_u32_e32 vcc_lo, 32, v0
	v_lshl_add_u32 v5, v0, 2, 0
	s_and_saveexec_b32 s0, vcc_lo
; %bb.7:
	v_mov_b32_e32 v1, 0
	ds_write_b32 v5, v1
; %bb.8:
	s_or_b32 exec_lo, exec_lo, s0
	v_mov_b32_e32 v6, 0
	s_and_b32 s0, exec_lo, s9
	s_mov_b32 s3, 0
	s_cselect_b32 s2, s8, 0
	s_mov_b32 s15, exec_lo
	s_waitcnt lgkmcnt(0)
	s_barrier
	buffer_gl0_inv
	v_cmpx_gt_i32_e64 s20, v0
	s_cbranch_execz .LBB295_12
; %bb.9:
	s_load_dwordx4 s[8:11], s[4:5], 0x0
	s_mul_hi_u32 s0, s19, s2
	s_mul_i32 s16, s24, s16
	s_mul_i32 s24, s26, s17
	;; [unrolled: 1-line block ×3, first 2 shown]
	s_add_i32 s0, s2, s0
	s_ashr_i32 s25, s24, 31
	s_mul_hi_i32 s27, s2, s13
	s_mul_i32 s26, s2, s13
	s_lshr_b32 s19, s0, s1
	s_lshl_b64 s[0:1], s[24:25], 2
	v_lshlrev_b32_e32 v1, 3, v0
	s_ashr_i32 s17, s16, 31
	s_ashr_i32 s23, s22, 31
	s_lshl_b64 s[26:27], s[26:27], 2
	s_mul_hi_i32 s13, s19, s12
	s_mul_i32 s12, s19, s12
	v_lshlrev_b32_e32 v3, 2, v0
	v_mov_b32_e32 v6, 0
	v_mov_b32_e32 v7, v0
	s_waitcnt lgkmcnt(0)
	s_add_u32 s0, s10, s0
	s_addc_u32 s1, s11, s1
	s_add_u32 s0, s0, s26
	s_addc_u32 s1, s1, s27
	v_add_co_u32 v1, s0, s0, v1
	v_add_co_ci_u32_e64 v2, null, s1, 0, s0
	s_lshl_b64 s[10:11], s[12:13], 1
	v_add_co_u32 v1, s0, v1, 4
	v_add_co_ci_u32_e64 v2, null, 0, v2, s0
	s_lshl_b64 s[0:1], s[16:17], 1
	s_lshl_b64 s[12:13], s[22:23], 1
	s_add_u32 s0, s8, s0
	s_addc_u32 s1, s9, s1
	s_add_u32 s0, s0, s12
	s_addc_u32 s1, s1, s13
	;; [unrolled: 2-line block ×3, first 2 shown]
	v_add_co_u32 v3, s0, s0, v3
	v_add_co_ci_u32_e64 v4, null, s1, 0, s0
	.p2align	6
.LBB295_10:                             ; =>This Inner Loop Header: Depth=1
	global_load_dword v10, v[3:4], off
	global_load_dwordx2 v[8:9], v[1:2], off offset:-4
	v_add_nc_u32_e32 v7, 0x100, v7
	v_add_co_u32 v1, s0, 0x800, v1
	v_add_co_ci_u32_e64 v2, null, 0, v2, s0
	v_add_co_u32 v3, s0, 0x400, v3
	v_cmp_le_i32_e64 s1, s20, v7
	v_add_co_ci_u32_e64 v4, null, 0, v4, s0
	s_or_b32 s3, s1, s3
	s_waitcnt vmcnt(1)
	v_lshlrev_b32_e32 v11, 16, v10
	v_and_b32_e32 v10, 0xffff0000, v10
	s_waitcnt vmcnt(0)
	v_fmac_f32_e32 v6, v8, v11
	v_fmac_f32_e32 v6, v9, v10
	s_andn2_b32 exec_lo, exec_lo, s3
	s_cbranch_execnz .LBB295_10
; %bb.11:
	s_or_b32 exec_lo, exec_lo, s3
.LBB295_12:
	s_or_b32 exec_lo, exec_lo, s15
	v_mbcnt_lo_u32_b32 v2, -1, 0
	v_xor_b32_e32 v1, 16, v2
	v_xor_b32_e32 v3, 8, v2
	v_cmp_gt_i32_e64 s0, 32, v1
	v_cndmask_b32_e64 v1, v2, v1, s0
	v_cmp_gt_i32_e64 s0, 32, v3
	v_lshlrev_b32_e32 v1, 2, v1
	v_cndmask_b32_e64 v3, v2, v3, s0
	ds_bpermute_b32 v4, v1, v6
	v_lshlrev_b32_e32 v3, 2, v3
	s_waitcnt lgkmcnt(0)
	v_add_f32_e32 v6, v6, v4
	v_xor_b32_e32 v4, 4, v2
	ds_bpermute_b32 v7, v3, v6
	v_cmp_gt_i32_e64 s0, 32, v4
	v_cndmask_b32_e64 v4, v2, v4, s0
	v_lshlrev_b32_e32 v4, 2, v4
	s_waitcnt lgkmcnt(0)
	v_add_f32_e32 v7, v6, v7
	v_xor_b32_e32 v6, 2, v2
	ds_bpermute_b32 v8, v4, v7
	v_cmp_gt_i32_e64 s0, 32, v6
	v_cndmask_b32_e64 v6, v2, v6, s0
	;; [unrolled: 7-line block ×3, first 2 shown]
	v_lshlrev_b32_e32 v7, 2, v2
	s_waitcnt lgkmcnt(0)
	v_add_f32_e32 v2, v8, v9
	v_lshrrev_b32_e32 v9, 3, v0
	ds_bpermute_b32 v8, v7, v2
	v_and_b32_e32 v9, 0x7c, v9
	v_add_nc_u32_e32 v9, 0, v9
	s_waitcnt lgkmcnt(0)
	v_add_f32_e32 v2, v2, v8
	ds_write_b32 v9, v2
	s_waitcnt lgkmcnt(0)
	s_barrier
	buffer_gl0_inv
	s_and_saveexec_b32 s0, vcc_lo
	s_cbranch_execz .LBB295_14
; %bb.13:
	ds_read_b32 v2, v5
	s_waitcnt lgkmcnt(0)
	ds_bpermute_b32 v1, v1, v2
	s_waitcnt lgkmcnt(0)
	v_add_f32_e32 v1, v2, v1
	ds_bpermute_b32 v2, v3, v1
	s_waitcnt lgkmcnt(0)
	v_add_f32_e32 v1, v1, v2
	;; [unrolled: 3-line block ×5, first 2 shown]
.LBB295_14:
	s_or_b32 exec_lo, exec_lo, s0
	s_barrier
	buffer_gl0_inv
	s_mov_b32 s0, exec_lo
	v_cmpx_eq_u32_e32 0, v0
	s_cbranch_execz .LBB295_16
; %bb.15:
	s_load_dwordx2 s[0:1], s[4:5], 0x38
	s_mul_hi_i32 s3, s14, s2
	s_mul_i32 s2, s14, s2
	s_mul_i32 s4, s18, s7
	s_lshl_b64 s[2:3], s[2:3], 2
	s_ashr_i32 s5, s4, 31
	v_mov_b32_e32 v0, 0
	s_waitcnt lgkmcnt(0)
	s_add_u32 s2, s0, s2
	s_addc_u32 s3, s1, s3
	s_lshl_b64 s[0:1], s[4:5], 2
	s_add_u32 s2, s2, s0
	s_addc_u32 s3, s3, s1
	s_ashr_i32 s7, s6, 31
	s_lshl_b64 s[0:1], s[6:7], 2
	s_add_u32 s0, s2, s0
	s_addc_u32 s1, s3, s1
	global_store_dword v0, v2, s[0:1]
.LBB295_16:
	s_endpgm
	.section	.rodata,"a",@progbits
	.p2align	6, 0x0
	.amdhsa_kernel _ZL13mul_mat_vec_fI14__hip_bfloat16fLi1ELi256ELb0ELb0EEvPKT_PKfPKi31ggml_cuda_mm_fusion_args_devicePfi15HIP_vector_typeIjLj3EEiiiSB_iiiSB_iiii
		.amdhsa_group_segment_fixed_size 0
		.amdhsa_private_segment_fixed_size 0
		.amdhsa_kernarg_size 144
		.amdhsa_user_sgpr_count 6
		.amdhsa_user_sgpr_private_segment_buffer 1
		.amdhsa_user_sgpr_dispatch_ptr 0
		.amdhsa_user_sgpr_queue_ptr 0
		.amdhsa_user_sgpr_kernarg_segment_ptr 1
		.amdhsa_user_sgpr_dispatch_id 0
		.amdhsa_user_sgpr_flat_scratch_init 0
		.amdhsa_user_sgpr_private_segment_size 0
		.amdhsa_wavefront_size32 1
		.amdhsa_uses_dynamic_stack 0
		.amdhsa_system_sgpr_private_segment_wavefront_offset 0
		.amdhsa_system_sgpr_workgroup_id_x 1
		.amdhsa_system_sgpr_workgroup_id_y 1
		.amdhsa_system_sgpr_workgroup_id_z 1
		.amdhsa_system_sgpr_workgroup_info 0
		.amdhsa_system_vgpr_workitem_id 0
		.amdhsa_next_free_vgpr 12
		.amdhsa_next_free_sgpr 28
		.amdhsa_reserve_vcc 1
		.amdhsa_reserve_flat_scratch 0
		.amdhsa_float_round_mode_32 0
		.amdhsa_float_round_mode_16_64 0
		.amdhsa_float_denorm_mode_32 3
		.amdhsa_float_denorm_mode_16_64 3
		.amdhsa_dx10_clamp 1
		.amdhsa_ieee_mode 1
		.amdhsa_fp16_overflow 0
		.amdhsa_workgroup_processor_mode 1
		.amdhsa_memory_ordered 1
		.amdhsa_forward_progress 1
		.amdhsa_shared_vgpr_count 0
		.amdhsa_exception_fp_ieee_invalid_op 0
		.amdhsa_exception_fp_denorm_src 0
		.amdhsa_exception_fp_ieee_div_zero 0
		.amdhsa_exception_fp_ieee_overflow 0
		.amdhsa_exception_fp_ieee_underflow 0
		.amdhsa_exception_fp_ieee_inexact 0
		.amdhsa_exception_int_div_zero 0
	.end_amdhsa_kernel
	.section	.text._ZL13mul_mat_vec_fI14__hip_bfloat16fLi1ELi256ELb0ELb0EEvPKT_PKfPKi31ggml_cuda_mm_fusion_args_devicePfi15HIP_vector_typeIjLj3EEiiiSB_iiiSB_iiii,"axG",@progbits,_ZL13mul_mat_vec_fI14__hip_bfloat16fLi1ELi256ELb0ELb0EEvPKT_PKfPKi31ggml_cuda_mm_fusion_args_devicePfi15HIP_vector_typeIjLj3EEiiiSB_iiiSB_iiii,comdat
.Lfunc_end295:
	.size	_ZL13mul_mat_vec_fI14__hip_bfloat16fLi1ELi256ELb0ELb0EEvPKT_PKfPKi31ggml_cuda_mm_fusion_args_devicePfi15HIP_vector_typeIjLj3EEiiiSB_iiiSB_iiii, .Lfunc_end295-_ZL13mul_mat_vec_fI14__hip_bfloat16fLi1ELi256ELb0ELb0EEvPKT_PKfPKi31ggml_cuda_mm_fusion_args_devicePfi15HIP_vector_typeIjLj3EEiiiSB_iiiSB_iiii
                                        ; -- End function
	.set _ZL13mul_mat_vec_fI14__hip_bfloat16fLi1ELi256ELb0ELb0EEvPKT_PKfPKi31ggml_cuda_mm_fusion_args_devicePfi15HIP_vector_typeIjLj3EEiiiSB_iiiSB_iiii.num_vgpr, 12
	.set _ZL13mul_mat_vec_fI14__hip_bfloat16fLi1ELi256ELb0ELb0EEvPKT_PKfPKi31ggml_cuda_mm_fusion_args_devicePfi15HIP_vector_typeIjLj3EEiiiSB_iiiSB_iiii.num_agpr, 0
	.set _ZL13mul_mat_vec_fI14__hip_bfloat16fLi1ELi256ELb0ELb0EEvPKT_PKfPKi31ggml_cuda_mm_fusion_args_devicePfi15HIP_vector_typeIjLj3EEiiiSB_iiiSB_iiii.numbered_sgpr, 28
	.set _ZL13mul_mat_vec_fI14__hip_bfloat16fLi1ELi256ELb0ELb0EEvPKT_PKfPKi31ggml_cuda_mm_fusion_args_devicePfi15HIP_vector_typeIjLj3EEiiiSB_iiiSB_iiii.num_named_barrier, 0
	.set _ZL13mul_mat_vec_fI14__hip_bfloat16fLi1ELi256ELb0ELb0EEvPKT_PKfPKi31ggml_cuda_mm_fusion_args_devicePfi15HIP_vector_typeIjLj3EEiiiSB_iiiSB_iiii.private_seg_size, 0
	.set _ZL13mul_mat_vec_fI14__hip_bfloat16fLi1ELi256ELb0ELb0EEvPKT_PKfPKi31ggml_cuda_mm_fusion_args_devicePfi15HIP_vector_typeIjLj3EEiiiSB_iiiSB_iiii.uses_vcc, 1
	.set _ZL13mul_mat_vec_fI14__hip_bfloat16fLi1ELi256ELb0ELb0EEvPKT_PKfPKi31ggml_cuda_mm_fusion_args_devicePfi15HIP_vector_typeIjLj3EEiiiSB_iiiSB_iiii.uses_flat_scratch, 0
	.set _ZL13mul_mat_vec_fI14__hip_bfloat16fLi1ELi256ELb0ELb0EEvPKT_PKfPKi31ggml_cuda_mm_fusion_args_devicePfi15HIP_vector_typeIjLj3EEiiiSB_iiiSB_iiii.has_dyn_sized_stack, 0
	.set _ZL13mul_mat_vec_fI14__hip_bfloat16fLi1ELi256ELb0ELb0EEvPKT_PKfPKi31ggml_cuda_mm_fusion_args_devicePfi15HIP_vector_typeIjLj3EEiiiSB_iiiSB_iiii.has_recursion, 0
	.set _ZL13mul_mat_vec_fI14__hip_bfloat16fLi1ELi256ELb0ELb0EEvPKT_PKfPKi31ggml_cuda_mm_fusion_args_devicePfi15HIP_vector_typeIjLj3EEiiiSB_iiiSB_iiii.has_indirect_call, 0
	.section	.AMDGPU.csdata,"",@progbits
; Kernel info:
; codeLenInByte = 1092
; TotalNumSgprs: 30
; NumVgprs: 12
; ScratchSize: 0
; MemoryBound: 0
; FloatMode: 240
; IeeeMode: 1
; LDSByteSize: 0 bytes/workgroup (compile time only)
; SGPRBlocks: 0
; VGPRBlocks: 1
; NumSGPRsForWavesPerEU: 30
; NumVGPRsForWavesPerEU: 12
; Occupancy: 16
; WaveLimiterHint : 0
; COMPUTE_PGM_RSRC2:SCRATCH_EN: 0
; COMPUTE_PGM_RSRC2:USER_SGPR: 6
; COMPUTE_PGM_RSRC2:TRAP_HANDLER: 0
; COMPUTE_PGM_RSRC2:TGID_X_EN: 1
; COMPUTE_PGM_RSRC2:TGID_Y_EN: 1
; COMPUTE_PGM_RSRC2:TGID_Z_EN: 1
; COMPUTE_PGM_RSRC2:TIDIG_COMP_CNT: 0
	.section	.text._ZL13mul_mat_vec_fI14__hip_bfloat16fLi2ELi32ELb0ELb0EEvPKT_PKfPKi31ggml_cuda_mm_fusion_args_devicePfi15HIP_vector_typeIjLj3EEiiiSB_iiiSB_iiii,"axG",@progbits,_ZL13mul_mat_vec_fI14__hip_bfloat16fLi2ELi32ELb0ELb0EEvPKT_PKfPKi31ggml_cuda_mm_fusion_args_devicePfi15HIP_vector_typeIjLj3EEiiiSB_iiiSB_iiii,comdat
	.globl	_ZL13mul_mat_vec_fI14__hip_bfloat16fLi2ELi32ELb0ELb0EEvPKT_PKfPKi31ggml_cuda_mm_fusion_args_devicePfi15HIP_vector_typeIjLj3EEiiiSB_iiiSB_iiii ; -- Begin function _ZL13mul_mat_vec_fI14__hip_bfloat16fLi2ELi32ELb0ELb0EEvPKT_PKfPKi31ggml_cuda_mm_fusion_args_devicePfi15HIP_vector_typeIjLj3EEiiiSB_iiiSB_iiii
	.p2align	8
	.type	_ZL13mul_mat_vec_fI14__hip_bfloat16fLi2ELi32ELb0ELb0EEvPKT_PKfPKi31ggml_cuda_mm_fusion_args_devicePfi15HIP_vector_typeIjLj3EEiiiSB_iiiSB_iiii,@function
_ZL13mul_mat_vec_fI14__hip_bfloat16fLi2ELi32ELb0ELb0EEvPKT_PKfPKi31ggml_cuda_mm_fusion_args_devicePfi15HIP_vector_typeIjLj3EEiiiSB_iiiSB_iiii: ; @_ZL13mul_mat_vec_fI14__hip_bfloat16fLi2ELi32ELb0ELb0EEvPKT_PKfPKi31ggml_cuda_mm_fusion_args_devicePfi15HIP_vector_typeIjLj3EEiiiSB_iiiSB_iiii
; %bb.0:
	s_clause 0x2
	s_load_dwordx2 s[20:21], s[4:5], 0x10
	s_load_dwordx8 s[12:19], s[4:5], 0x40
	s_load_dwordx4 s[0:3], s[4:5], 0x80
	s_waitcnt lgkmcnt(0)
	s_cmp_eq_u64 s[20:21], 0
	s_cselect_b32 s9, -1, 0
	s_cmp_lg_u64 s[20:21], 0
	s_cselect_b32 s25, -1, 0
	s_and_b32 vcc_lo, exec_lo, s9
	s_cbranch_vccnz .LBB296_2
; %bb.1:
	s_mul_i32 s3, s3, s8
	s_mov_b32 s11, 0
	s_add_i32 s10, s3, s7
	s_lshl_b64 s[22:23], s[10:11], 2
	s_add_u32 s20, s20, s22
	s_addc_u32 s21, s21, s23
	s_load_dword s24, s[20:21], 0x0
	s_load_dwordx4 s[20:23], s[4:5], 0x68
	s_cbranch_execz .LBB296_3
	s_branch .LBB296_4
.LBB296_2:
                                        ; implicit-def: $sgpr24
	s_load_dwordx4 s[20:23], s[4:5], 0x68
.LBB296_3:
	s_load_dwordx2 s[10:11], s[4:5], 0x5c
	s_waitcnt lgkmcnt(0)
	s_mul_hi_u32 s3, s10, s7
	s_add_i32 s3, s7, s3
	s_lshr_b32 s24, s3, s11
.LBB296_4:
	s_load_dword s19, s[4:5], 0x78
	s_andn2_b32 vcc_lo, exec_lo, s25
	s_mov_b32 s25, s7
	s_cbranch_vccnz .LBB296_6
; %bb.5:
	s_mul_hi_u32 s3, s13, s7
	s_add_i32 s3, s7, s3
	s_lshr_b32 s3, s3, s14
	s_mul_i32 s3, s3, s15
	s_sub_i32 s25, s7, s3
.LBB296_6:
	v_mov_b32_e32 v6, 0
	v_mov_b32_e32 v5, 0
	s_and_b32 s3, exec_lo, s9
	s_mov_b32 s14, 0
	s_cselect_b32 s3, s8, 0
	s_mov_b32 s13, exec_lo
	v_cmpx_gt_i32_e64 s12, v0
	s_cbranch_execz .LBB296_10
; %bb.7:
	s_load_dwordx4 s[8:11], s[4:5], 0x0
	s_waitcnt lgkmcnt(0)
	s_mul_hi_u32 s15, s23, s3
	s_mul_i32 s20, s24, s20
	s_add_i32 s15, s3, s15
	s_mul_i32 s16, s16, s6
	s_lshr_b32 s15, s15, s19
	s_mul_i32 s24, s25, s21
	s_ashr_i32 s21, s20, 31
	s_ashr_i32 s27, s17, 31
	s_mov_b32 s26, s17
	s_ashr_i32 s17, s16, 31
	s_mul_hi_i32 s31, s15, s0
	s_mul_i32 s30, s15, s0
	s_lshl_b64 s[20:21], s[20:21], 1
	s_ashr_i32 s25, s24, 31
	s_lshl_b64 s[16:17], s[16:17], 1
	s_lshl_b64 s[30:31], s[30:31], 1
	s_mul_hi_i32 s29, s3, s1
	s_mul_i32 s28, s3, s1
	v_lshlrev_b32_e32 v2, 3, v0
	s_add_u32 s0, s8, s20
	s_addc_u32 s8, s9, s21
	s_add_u32 s0, s0, s16
	s_addc_u32 s8, s8, s17
	;; [unrolled: 2-line block ×3, first 2 shown]
	s_lshl_b64 s[16:17], s[24:25], 2
	s_lshl_b64 s[8:9], s[26:27], 3
	s_lshl_b64 s[0:1], s[28:29], 2
	s_add_u32 s10, s10, s16
	s_addc_u32 s11, s11, s17
	s_add_u32 s0, s10, s0
	v_lshlrev_b32_e32 v1, 2, v0
	s_addc_u32 s1, s11, s1
	v_add_co_u32 v3, s0, s0, v2
	v_add_co_ci_u32_e64 v4, null, s1, 0, s0
	v_add_co_u32 v1, s0, s15, v1
	v_add_co_u32 v3, vcc_lo, v3, 4
	v_mov_b32_e32 v5, 0
	v_add_co_ci_u32_e64 v2, null, s19, 0, s0
	v_add_co_ci_u32_e64 v4, null, 0, v4, vcc_lo
	v_mov_b32_e32 v7, v0
	v_mov_b32_e32 v6, 0
	.p2align	6
.LBB296_8:                              ; =>This Inner Loop Header: Depth=1
	v_add_co_u32 v8, vcc_lo, v3, s8
	global_load_dword v12, v[1:2], off
	v_add_co_ci_u32_e64 v9, null, s9, v4, vcc_lo
	v_add_nc_u32_e32 v7, 32, v7
	s_clause 0x1
	global_load_dwordx2 v[10:11], v[3:4], off offset:-4
	global_load_dwordx2 v[8:9], v[8:9], off offset:-4
	v_add_co_u32 v1, vcc_lo, 0x80, v1
	v_add_co_ci_u32_e64 v2, null, 0, v2, vcc_lo
	v_cmp_le_i32_e32 vcc_lo, s12, v7
	v_add_co_u32 v3, s0, 0x100, v3
	v_add_co_ci_u32_e64 v4, null, 0, v4, s0
	s_or_b32 s14, vcc_lo, s14
	s_waitcnt vmcnt(2)
	v_lshlrev_b32_e32 v13, 16, v12
	v_and_b32_e32 v12, 0xffff0000, v12
	s_waitcnt vmcnt(1)
	v_fmac_f32_e32 v5, v10, v13
	s_waitcnt vmcnt(0)
	v_fmac_f32_e32 v6, v8, v13
	v_fmac_f32_e32 v5, v11, v12
	v_fmac_f32_e32 v6, v9, v12
	s_andn2_b32 exec_lo, exec_lo, s14
	s_cbranch_execnz .LBB296_8
; %bb.9:
	s_or_b32 exec_lo, exec_lo, s14
.LBB296_10:
	s_or_b32 exec_lo, exec_lo, s13
	v_mbcnt_lo_u32_b32 v1, -1, 0
	s_mov_b32 s0, exec_lo
	v_xor_b32_e32 v2, 16, v1
	v_xor_b32_e32 v4, 8, v1
	v_cmp_gt_i32_e32 vcc_lo, 32, v2
	v_cndmask_b32_e32 v2, v1, v2, vcc_lo
	v_cmp_gt_i32_e32 vcc_lo, 32, v4
	v_lshlrev_b32_e32 v2, 2, v2
	v_cndmask_b32_e32 v4, v1, v4, vcc_lo
	ds_bpermute_b32 v3, v2, v5
	ds_bpermute_b32 v2, v2, v6
	v_lshlrev_b32_e32 v4, 2, v4
	s_waitcnt lgkmcnt(0)
	v_add_f32_e32 v3, v5, v3
	v_add_f32_e32 v2, v6, v2
	v_xor_b32_e32 v6, 4, v1
	ds_bpermute_b32 v5, v4, v3
	ds_bpermute_b32 v4, v4, v2
	v_cmp_gt_i32_e32 vcc_lo, 32, v6
	v_cndmask_b32_e32 v6, v1, v6, vcc_lo
	v_lshlrev_b32_e32 v6, 2, v6
	s_waitcnt lgkmcnt(1)
	v_add_f32_e32 v3, v3, v5
	s_waitcnt lgkmcnt(0)
	v_add_f32_e32 v2, v2, v4
	ds_bpermute_b32 v4, v6, v3
	ds_bpermute_b32 v5, v6, v2
	v_xor_b32_e32 v6, 2, v1
	v_cmp_gt_i32_e32 vcc_lo, 32, v6
	v_cndmask_b32_e32 v6, v1, v6, vcc_lo
	v_lshlrev_b32_e32 v6, 2, v6
	s_waitcnt lgkmcnt(1)
	v_add_f32_e32 v3, v3, v4
	s_waitcnt lgkmcnt(0)
	v_add_f32_e32 v2, v2, v5
	ds_bpermute_b32 v4, v6, v3
	ds_bpermute_b32 v5, v6, v2
	v_xor_b32_e32 v6, 1, v1
	v_cmp_gt_i32_e32 vcc_lo, 32, v6
	v_cndmask_b32_e32 v1, v1, v6, vcc_lo
	v_lshlrev_b32_e32 v6, 2, v1
	s_waitcnt lgkmcnt(1)
	v_add_f32_e32 v1, v3, v4
	s_waitcnt lgkmcnt(0)
	v_add_f32_e32 v2, v2, v5
	ds_bpermute_b32 v3, v6, v1
	ds_bpermute_b32 v4, v6, v2
	v_cmpx_gt_u32_e32 2, v0
	s_cbranch_execz .LBB296_12
; %bb.11:
	s_load_dwordx2 s[0:1], s[4:5], 0x38
	v_mad_u64_u32 v[5:6], null, s18, v0, s[6:7]
	s_mul_hi_i32 s5, s2, s3
	s_mul_i32 s4, s2, s3
	s_mul_i32 s2, s22, s7
	s_lshl_b64 s[4:5], s[4:5], 2
	s_waitcnt lgkmcnt(0)
	v_add_f32_e32 v3, v1, v3
	v_add_f32_e32 v4, v2, v4
	v_ashrrev_i32_e32 v6, 31, v5
	s_ashr_i32 s3, s2, 31
	v_cmp_eq_u32_e32 vcc_lo, 1, v0
	v_lshlrev_b64 v[1:2], 2, v[5:6]
	v_cndmask_b32_e32 v3, v3, v4, vcc_lo
	s_add_u32 s4, s0, s4
	s_addc_u32 s5, s1, s5
	s_lshl_b64 s[0:1], s[2:3], 2
	s_add_u32 s0, s4, s0
	s_addc_u32 s1, s5, s1
	v_add_co_u32 v0, vcc_lo, s0, v1
	v_add_co_ci_u32_e64 v1, null, s1, v2, vcc_lo
	global_store_dword v[0:1], v3, off
.LBB296_12:
	s_endpgm
	.section	.rodata,"a",@progbits
	.p2align	6, 0x0
	.amdhsa_kernel _ZL13mul_mat_vec_fI14__hip_bfloat16fLi2ELi32ELb0ELb0EEvPKT_PKfPKi31ggml_cuda_mm_fusion_args_devicePfi15HIP_vector_typeIjLj3EEiiiSB_iiiSB_iiii
		.amdhsa_group_segment_fixed_size 0
		.amdhsa_private_segment_fixed_size 0
		.amdhsa_kernarg_size 144
		.amdhsa_user_sgpr_count 6
		.amdhsa_user_sgpr_private_segment_buffer 1
		.amdhsa_user_sgpr_dispatch_ptr 0
		.amdhsa_user_sgpr_queue_ptr 0
		.amdhsa_user_sgpr_kernarg_segment_ptr 1
		.amdhsa_user_sgpr_dispatch_id 0
		.amdhsa_user_sgpr_flat_scratch_init 0
		.amdhsa_user_sgpr_private_segment_size 0
		.amdhsa_wavefront_size32 1
		.amdhsa_uses_dynamic_stack 0
		.amdhsa_system_sgpr_private_segment_wavefront_offset 0
		.amdhsa_system_sgpr_workgroup_id_x 1
		.amdhsa_system_sgpr_workgroup_id_y 1
		.amdhsa_system_sgpr_workgroup_id_z 1
		.amdhsa_system_sgpr_workgroup_info 0
		.amdhsa_system_vgpr_workitem_id 0
		.amdhsa_next_free_vgpr 14
		.amdhsa_next_free_sgpr 32
		.amdhsa_reserve_vcc 1
		.amdhsa_reserve_flat_scratch 0
		.amdhsa_float_round_mode_32 0
		.amdhsa_float_round_mode_16_64 0
		.amdhsa_float_denorm_mode_32 3
		.amdhsa_float_denorm_mode_16_64 3
		.amdhsa_dx10_clamp 1
		.amdhsa_ieee_mode 1
		.amdhsa_fp16_overflow 0
		.amdhsa_workgroup_processor_mode 1
		.amdhsa_memory_ordered 1
		.amdhsa_forward_progress 1
		.amdhsa_shared_vgpr_count 0
		.amdhsa_exception_fp_ieee_invalid_op 0
		.amdhsa_exception_fp_denorm_src 0
		.amdhsa_exception_fp_ieee_div_zero 0
		.amdhsa_exception_fp_ieee_overflow 0
		.amdhsa_exception_fp_ieee_underflow 0
		.amdhsa_exception_fp_ieee_inexact 0
		.amdhsa_exception_int_div_zero 0
	.end_amdhsa_kernel
	.section	.text._ZL13mul_mat_vec_fI14__hip_bfloat16fLi2ELi32ELb0ELb0EEvPKT_PKfPKi31ggml_cuda_mm_fusion_args_devicePfi15HIP_vector_typeIjLj3EEiiiSB_iiiSB_iiii,"axG",@progbits,_ZL13mul_mat_vec_fI14__hip_bfloat16fLi2ELi32ELb0ELb0EEvPKT_PKfPKi31ggml_cuda_mm_fusion_args_devicePfi15HIP_vector_typeIjLj3EEiiiSB_iiiSB_iiii,comdat
.Lfunc_end296:
	.size	_ZL13mul_mat_vec_fI14__hip_bfloat16fLi2ELi32ELb0ELb0EEvPKT_PKfPKi31ggml_cuda_mm_fusion_args_devicePfi15HIP_vector_typeIjLj3EEiiiSB_iiiSB_iiii, .Lfunc_end296-_ZL13mul_mat_vec_fI14__hip_bfloat16fLi2ELi32ELb0ELb0EEvPKT_PKfPKi31ggml_cuda_mm_fusion_args_devicePfi15HIP_vector_typeIjLj3EEiiiSB_iiiSB_iiii
                                        ; -- End function
	.set _ZL13mul_mat_vec_fI14__hip_bfloat16fLi2ELi32ELb0ELb0EEvPKT_PKfPKi31ggml_cuda_mm_fusion_args_devicePfi15HIP_vector_typeIjLj3EEiiiSB_iiiSB_iiii.num_vgpr, 14
	.set _ZL13mul_mat_vec_fI14__hip_bfloat16fLi2ELi32ELb0ELb0EEvPKT_PKfPKi31ggml_cuda_mm_fusion_args_devicePfi15HIP_vector_typeIjLj3EEiiiSB_iiiSB_iiii.num_agpr, 0
	.set _ZL13mul_mat_vec_fI14__hip_bfloat16fLi2ELi32ELb0ELb0EEvPKT_PKfPKi31ggml_cuda_mm_fusion_args_devicePfi15HIP_vector_typeIjLj3EEiiiSB_iiiSB_iiii.numbered_sgpr, 32
	.set _ZL13mul_mat_vec_fI14__hip_bfloat16fLi2ELi32ELb0ELb0EEvPKT_PKfPKi31ggml_cuda_mm_fusion_args_devicePfi15HIP_vector_typeIjLj3EEiiiSB_iiiSB_iiii.num_named_barrier, 0
	.set _ZL13mul_mat_vec_fI14__hip_bfloat16fLi2ELi32ELb0ELb0EEvPKT_PKfPKi31ggml_cuda_mm_fusion_args_devicePfi15HIP_vector_typeIjLj3EEiiiSB_iiiSB_iiii.private_seg_size, 0
	.set _ZL13mul_mat_vec_fI14__hip_bfloat16fLi2ELi32ELb0ELb0EEvPKT_PKfPKi31ggml_cuda_mm_fusion_args_devicePfi15HIP_vector_typeIjLj3EEiiiSB_iiiSB_iiii.uses_vcc, 1
	.set _ZL13mul_mat_vec_fI14__hip_bfloat16fLi2ELi32ELb0ELb0EEvPKT_PKfPKi31ggml_cuda_mm_fusion_args_devicePfi15HIP_vector_typeIjLj3EEiiiSB_iiiSB_iiii.uses_flat_scratch, 0
	.set _ZL13mul_mat_vec_fI14__hip_bfloat16fLi2ELi32ELb0ELb0EEvPKT_PKfPKi31ggml_cuda_mm_fusion_args_devicePfi15HIP_vector_typeIjLj3EEiiiSB_iiiSB_iiii.has_dyn_sized_stack, 0
	.set _ZL13mul_mat_vec_fI14__hip_bfloat16fLi2ELi32ELb0ELb0EEvPKT_PKfPKi31ggml_cuda_mm_fusion_args_devicePfi15HIP_vector_typeIjLj3EEiiiSB_iiiSB_iiii.has_recursion, 0
	.set _ZL13mul_mat_vec_fI14__hip_bfloat16fLi2ELi32ELb0ELb0EEvPKT_PKfPKi31ggml_cuda_mm_fusion_args_devicePfi15HIP_vector_typeIjLj3EEiiiSB_iiiSB_iiii.has_indirect_call, 0
	.section	.AMDGPU.csdata,"",@progbits
; Kernel info:
; codeLenInByte = 956
; TotalNumSgprs: 34
; NumVgprs: 14
; ScratchSize: 0
; MemoryBound: 0
; FloatMode: 240
; IeeeMode: 1
; LDSByteSize: 0 bytes/workgroup (compile time only)
; SGPRBlocks: 0
; VGPRBlocks: 1
; NumSGPRsForWavesPerEU: 34
; NumVGPRsForWavesPerEU: 14
; Occupancy: 16
; WaveLimiterHint : 0
; COMPUTE_PGM_RSRC2:SCRATCH_EN: 0
; COMPUTE_PGM_RSRC2:USER_SGPR: 6
; COMPUTE_PGM_RSRC2:TRAP_HANDLER: 0
; COMPUTE_PGM_RSRC2:TGID_X_EN: 1
; COMPUTE_PGM_RSRC2:TGID_Y_EN: 1
; COMPUTE_PGM_RSRC2:TGID_Z_EN: 1
; COMPUTE_PGM_RSRC2:TIDIG_COMP_CNT: 0
	.section	.text._ZL13mul_mat_vec_fI14__hip_bfloat16fLi2ELi64ELb0ELb0EEvPKT_PKfPKi31ggml_cuda_mm_fusion_args_devicePfi15HIP_vector_typeIjLj3EEiiiSB_iiiSB_iiii,"axG",@progbits,_ZL13mul_mat_vec_fI14__hip_bfloat16fLi2ELi64ELb0ELb0EEvPKT_PKfPKi31ggml_cuda_mm_fusion_args_devicePfi15HIP_vector_typeIjLj3EEiiiSB_iiiSB_iiii,comdat
	.globl	_ZL13mul_mat_vec_fI14__hip_bfloat16fLi2ELi64ELb0ELb0EEvPKT_PKfPKi31ggml_cuda_mm_fusion_args_devicePfi15HIP_vector_typeIjLj3EEiiiSB_iiiSB_iiii ; -- Begin function _ZL13mul_mat_vec_fI14__hip_bfloat16fLi2ELi64ELb0ELb0EEvPKT_PKfPKi31ggml_cuda_mm_fusion_args_devicePfi15HIP_vector_typeIjLj3EEiiiSB_iiiSB_iiii
	.p2align	8
	.type	_ZL13mul_mat_vec_fI14__hip_bfloat16fLi2ELi64ELb0ELb0EEvPKT_PKfPKi31ggml_cuda_mm_fusion_args_devicePfi15HIP_vector_typeIjLj3EEiiiSB_iiiSB_iiii,@function
_ZL13mul_mat_vec_fI14__hip_bfloat16fLi2ELi64ELb0ELb0EEvPKT_PKfPKi31ggml_cuda_mm_fusion_args_devicePfi15HIP_vector_typeIjLj3EEiiiSB_iiiSB_iiii: ; @_ZL13mul_mat_vec_fI14__hip_bfloat16fLi2ELi64ELb0ELb0EEvPKT_PKfPKi31ggml_cuda_mm_fusion_args_devicePfi15HIP_vector_typeIjLj3EEiiiSB_iiiSB_iiii
; %bb.0:
	s_clause 0x2
	s_load_dwordx2 s[0:1], s[4:5], 0x10
	s_load_dwordx8 s[12:19], s[4:5], 0x40
	s_load_dwordx4 s[20:23], s[4:5], 0x80
	s_waitcnt lgkmcnt(0)
	s_cmp_eq_u64 s[0:1], 0
	s_cselect_b32 s10, -1, 0
	s_cmp_lg_u64 s[0:1], 0
	s_cselect_b32 s9, -1, 0
	s_and_b32 vcc_lo, exec_lo, s10
	s_cbranch_vccnz .LBB297_2
; %bb.1:
	s_mul_i32 s2, s23, s8
	s_mov_b32 s3, 0
	s_add_i32 s2, s2, s7
	s_lshl_b64 s[24:25], s[2:3], 2
	s_add_u32 s0, s0, s24
	s_addc_u32 s1, s1, s25
	s_load_dword s19, s[0:1], 0x0
	s_cbranch_execz .LBB297_3
	s_branch .LBB297_4
.LBB297_2:
                                        ; implicit-def: $sgpr19
.LBB297_3:
	s_load_dwordx2 s[0:1], s[4:5], 0x5c
	s_waitcnt lgkmcnt(0)
	s_mul_hi_u32 s0, s0, s7
	s_add_i32 s0, s7, s0
	s_lshr_b32 s19, s0, s1
.LBB297_4:
	s_load_dwordx4 s[24:27], s[4:5], 0x68
	s_andn2_b32 vcc_lo, exec_lo, s9
	s_mov_b32 s23, s7
	s_cbranch_vccnz .LBB297_6
; %bb.5:
	s_mul_hi_u32 s0, s13, s7
	s_add_i32 s0, s7, s0
	s_lshr_b32 s0, s0, s14
	s_mul_i32 s0, s0, s15
	s_sub_i32 s23, s7, s0
.LBB297_6:
	s_load_dword s9, s[4:5], 0x78
	v_cmp_gt_u32_e32 vcc_lo, 32, v0
	v_lshl_add_u32 v5, v0, 2, 0
	s_and_saveexec_b32 s0, vcc_lo
; %bb.7:
	v_mov_b32_e32 v1, 0
	ds_write_b32 v5, v1
; %bb.8:
	s_or_b32 exec_lo, exec_lo, s0
	v_mov_b32_e32 v7, 0
	v_mov_b32_e32 v6, 0
	s_and_b32 s0, exec_lo, s10
	s_mov_b32 s11, 0
	s_cselect_b32 s10, s8, 0
	s_mov_b32 s13, exec_lo
	s_waitcnt lgkmcnt(0)
	s_barrier
	buffer_gl0_inv
	v_cmpx_gt_i32_e64 s12, v0
	s_cbranch_execz .LBB297_12
; %bb.9:
	s_load_dwordx4 s[0:3], s[4:5], 0x0
	s_mul_hi_u32 s8, s27, s10
	s_mul_i32 s16, s16, s6
	s_add_i32 s8, s10, s8
	s_mul_i32 s14, s19, s24
	s_ashr_i32 s29, s17, 31
	s_mov_b32 s28, s17
	s_ashr_i32 s17, s16, 31
	s_lshr_b32 s19, s8, s9
	s_ashr_i32 s15, s14, 31
	s_mul_i32 s24, s23, s25
	s_lshl_b64 s[8:9], s[16:17], 1
	s_mul_hi_i32 s17, s19, s20
	s_mul_i32 s16, s19, s20
	s_lshl_b64 s[14:15], s[14:15], 1
	s_ashr_i32 s25, s24, 31
	s_lshl_b64 s[16:17], s[16:17], 1
	s_mul_hi_i32 s31, s10, s21
	s_mul_i32 s30, s10, s21
	v_lshlrev_b32_e32 v2, 3, v0
	s_waitcnt lgkmcnt(0)
	s_add_u32 s0, s0, s14
	s_addc_u32 s1, s1, s15
	s_add_u32 s0, s0, s8
	s_addc_u32 s1, s1, s9
	;; [unrolled: 2-line block ×3, first 2 shown]
	s_lshl_b64 s[14:15], s[24:25], 2
	s_lshl_b64 s[8:9], s[28:29], 3
	;; [unrolled: 1-line block ×3, first 2 shown]
	s_add_u32 s2, s2, s14
	s_addc_u32 s3, s3, s15
	v_lshlrev_b32_e32 v1, 2, v0
	s_add_u32 s0, s2, s0
	s_addc_u32 s1, s3, s1
	v_add_co_u32 v3, s0, s0, v2
	v_add_co_ci_u32_e64 v4, null, s1, 0, s0
	v_add_co_u32 v1, s0, s16, v1
	v_add_co_ci_u32_e64 v2, null, s17, 0, s0
	v_add_co_u32 v3, s0, v3, 4
	v_mov_b32_e32 v6, 0
	v_add_co_ci_u32_e64 v4, null, 0, v4, s0
	v_mov_b32_e32 v8, v0
	v_mov_b32_e32 v7, 0
	s_inst_prefetch 0x1
	.p2align	6
.LBB297_10:                             ; =>This Inner Loop Header: Depth=1
	v_add_co_u32 v9, s0, v3, s8
	global_load_dword v13, v[1:2], off
	v_add_co_ci_u32_e64 v10, null, s9, v4, s0
	v_add_nc_u32_e32 v8, 64, v8
	s_clause 0x1
	global_load_dwordx2 v[11:12], v[3:4], off offset:-4
	global_load_dwordx2 v[9:10], v[9:10], off offset:-4
	v_add_co_u32 v1, s0, 0x100, v1
	v_add_co_ci_u32_e64 v2, null, 0, v2, s0
	v_cmp_le_i32_e64 s0, s12, v8
	v_add_co_u32 v3, s1, 0x200, v3
	v_add_co_ci_u32_e64 v4, null, 0, v4, s1
	s_or_b32 s11, s0, s11
	s_waitcnt vmcnt(2)
	v_lshlrev_b32_e32 v14, 16, v13
	v_and_b32_e32 v13, 0xffff0000, v13
	s_waitcnt vmcnt(1)
	v_fmac_f32_e32 v6, v11, v14
	s_waitcnt vmcnt(0)
	v_fmac_f32_e32 v7, v9, v14
	v_fmac_f32_e32 v6, v12, v13
	v_fmac_f32_e32 v7, v10, v13
	s_andn2_b32 exec_lo, exec_lo, s11
	s_cbranch_execnz .LBB297_10
; %bb.11:
	s_inst_prefetch 0x2
	s_or_b32 exec_lo, exec_lo, s11
.LBB297_12:
	s_or_b32 exec_lo, exec_lo, s13
	v_mbcnt_lo_u32_b32 v2, -1, 0
	v_xor_b32_e32 v1, 16, v2
	v_xor_b32_e32 v3, 8, v2
	v_cmp_gt_i32_e64 s0, 32, v1
	v_cndmask_b32_e64 v1, v2, v1, s0
	v_cmp_gt_i32_e64 s0, 32, v3
	v_lshlrev_b32_e32 v1, 2, v1
	v_cndmask_b32_e64 v3, v2, v3, s0
	ds_bpermute_b32 v4, v1, v6
	v_lshlrev_b32_e32 v3, 2, v3
	s_waitcnt lgkmcnt(0)
	v_add_f32_e32 v6, v6, v4
	v_xor_b32_e32 v4, 4, v2
	ds_bpermute_b32 v8, v3, v6
	v_cmp_gt_i32_e64 s0, 32, v4
	v_cndmask_b32_e64 v4, v2, v4, s0
	v_lshlrev_b32_e32 v4, 2, v4
	s_waitcnt lgkmcnt(0)
	v_add_f32_e32 v8, v6, v8
	v_xor_b32_e32 v6, 2, v2
	ds_bpermute_b32 v9, v4, v8
	v_cmp_gt_i32_e64 s0, 32, v6
	v_cndmask_b32_e64 v6, v2, v6, s0
	;; [unrolled: 7-line block ×3, first 2 shown]
	v_lshlrev_b32_e32 v8, 2, v2
	s_waitcnt lgkmcnt(0)
	v_add_f32_e32 v2, v9, v10
	v_lshrrev_b32_e32 v9, 3, v0
	ds_bpermute_b32 v10, v8, v2
	v_and_b32_e32 v9, 0x7c, v9
	v_add_nc_u32_e32 v9, 0, v9
	s_waitcnt lgkmcnt(0)
	v_add_f32_e32 v2, v2, v10
	ds_write_b32 v9, v2
	s_waitcnt lgkmcnt(0)
	s_barrier
	buffer_gl0_inv
	s_and_saveexec_b32 s0, vcc_lo
	s_cbranch_execz .LBB297_14
; %bb.13:
	ds_read_b32 v2, v5
	s_waitcnt lgkmcnt(0)
	ds_bpermute_b32 v10, v1, v2
	s_waitcnt lgkmcnt(0)
	v_add_f32_e32 v2, v2, v10
	ds_bpermute_b32 v10, v3, v2
	s_waitcnt lgkmcnt(0)
	v_add_f32_e32 v2, v2, v10
	;; [unrolled: 3-line block ×5, first 2 shown]
.LBB297_14:
	s_or_b32 exec_lo, exec_lo, s0
	ds_bpermute_b32 v10, v1, v7
	s_waitcnt lgkmcnt(0)
	s_barrier
	buffer_gl0_inv
	v_add_f32_e32 v7, v7, v10
	ds_bpermute_b32 v10, v3, v7
	s_waitcnt lgkmcnt(0)
	v_add_f32_e32 v7, v7, v10
	ds_bpermute_b32 v10, v4, v7
	s_waitcnt lgkmcnt(0)
	;; [unrolled: 3-line block ×4, first 2 shown]
	v_add_f32_e32 v7, v7, v10
	ds_write_b32 v9, v7
	s_waitcnt lgkmcnt(0)
	s_barrier
	buffer_gl0_inv
	s_and_saveexec_b32 s0, vcc_lo
	s_cbranch_execz .LBB297_16
; %bb.15:
	ds_read_b32 v5, v5
	s_waitcnt lgkmcnt(0)
	ds_bpermute_b32 v1, v1, v5
	s_waitcnt lgkmcnt(0)
	v_add_f32_e32 v1, v5, v1
	ds_bpermute_b32 v3, v3, v1
	s_waitcnt lgkmcnt(0)
	v_add_f32_e32 v1, v1, v3
	;; [unrolled: 3-line block ×5, first 2 shown]
.LBB297_16:
	s_or_b32 exec_lo, exec_lo, s0
	s_barrier
	buffer_gl0_inv
	s_mov_b32 s0, exec_lo
	v_cmpx_gt_u32_e32 2, v0
	s_cbranch_execz .LBB297_18
; %bb.17:
	s_load_dwordx2 s[0:1], s[4:5], 0x38
	v_mad_u64_u32 v[3:4], null, s18, v0, s[6:7]
	s_mul_hi_i32 s3, s22, s10
	s_mul_i32 s2, s22, s10
	s_mul_i32 s4, s26, s7
	s_lshl_b64 s[2:3], s[2:3], 2
	s_ashr_i32 s5, s4, 31
	v_cmp_eq_u32_e32 vcc_lo, 1, v0
	v_ashrrev_i32_e32 v4, 31, v3
	v_cndmask_b32_e32 v2, v2, v7, vcc_lo
	v_lshlrev_b64 v[3:4], 2, v[3:4]
	s_waitcnt lgkmcnt(0)
	s_add_u32 s2, s0, s2
	s_addc_u32 s3, s1, s3
	s_lshl_b64 s[0:1], s[4:5], 2
	s_add_u32 s0, s2, s0
	s_addc_u32 s1, s3, s1
	v_add_co_u32 v0, vcc_lo, s0, v3
	v_add_co_ci_u32_e64 v1, null, s1, v4, vcc_lo
	global_store_dword v[0:1], v2, off
.LBB297_18:
	s_endpgm
	.section	.rodata,"a",@progbits
	.p2align	6, 0x0
	.amdhsa_kernel _ZL13mul_mat_vec_fI14__hip_bfloat16fLi2ELi64ELb0ELb0EEvPKT_PKfPKi31ggml_cuda_mm_fusion_args_devicePfi15HIP_vector_typeIjLj3EEiiiSB_iiiSB_iiii
		.amdhsa_group_segment_fixed_size 0
		.amdhsa_private_segment_fixed_size 0
		.amdhsa_kernarg_size 144
		.amdhsa_user_sgpr_count 6
		.amdhsa_user_sgpr_private_segment_buffer 1
		.amdhsa_user_sgpr_dispatch_ptr 0
		.amdhsa_user_sgpr_queue_ptr 0
		.amdhsa_user_sgpr_kernarg_segment_ptr 1
		.amdhsa_user_sgpr_dispatch_id 0
		.amdhsa_user_sgpr_flat_scratch_init 0
		.amdhsa_user_sgpr_private_segment_size 0
		.amdhsa_wavefront_size32 1
		.amdhsa_uses_dynamic_stack 0
		.amdhsa_system_sgpr_private_segment_wavefront_offset 0
		.amdhsa_system_sgpr_workgroup_id_x 1
		.amdhsa_system_sgpr_workgroup_id_y 1
		.amdhsa_system_sgpr_workgroup_id_z 1
		.amdhsa_system_sgpr_workgroup_info 0
		.amdhsa_system_vgpr_workitem_id 0
		.amdhsa_next_free_vgpr 15
		.amdhsa_next_free_sgpr 32
		.amdhsa_reserve_vcc 1
		.amdhsa_reserve_flat_scratch 0
		.amdhsa_float_round_mode_32 0
		.amdhsa_float_round_mode_16_64 0
		.amdhsa_float_denorm_mode_32 3
		.amdhsa_float_denorm_mode_16_64 3
		.amdhsa_dx10_clamp 1
		.amdhsa_ieee_mode 1
		.amdhsa_fp16_overflow 0
		.amdhsa_workgroup_processor_mode 1
		.amdhsa_memory_ordered 1
		.amdhsa_forward_progress 1
		.amdhsa_shared_vgpr_count 0
		.amdhsa_exception_fp_ieee_invalid_op 0
		.amdhsa_exception_fp_denorm_src 0
		.amdhsa_exception_fp_ieee_div_zero 0
		.amdhsa_exception_fp_ieee_overflow 0
		.amdhsa_exception_fp_ieee_underflow 0
		.amdhsa_exception_fp_ieee_inexact 0
		.amdhsa_exception_int_div_zero 0
	.end_amdhsa_kernel
	.section	.text._ZL13mul_mat_vec_fI14__hip_bfloat16fLi2ELi64ELb0ELb0EEvPKT_PKfPKi31ggml_cuda_mm_fusion_args_devicePfi15HIP_vector_typeIjLj3EEiiiSB_iiiSB_iiii,"axG",@progbits,_ZL13mul_mat_vec_fI14__hip_bfloat16fLi2ELi64ELb0ELb0EEvPKT_PKfPKi31ggml_cuda_mm_fusion_args_devicePfi15HIP_vector_typeIjLj3EEiiiSB_iiiSB_iiii,comdat
.Lfunc_end297:
	.size	_ZL13mul_mat_vec_fI14__hip_bfloat16fLi2ELi64ELb0ELb0EEvPKT_PKfPKi31ggml_cuda_mm_fusion_args_devicePfi15HIP_vector_typeIjLj3EEiiiSB_iiiSB_iiii, .Lfunc_end297-_ZL13mul_mat_vec_fI14__hip_bfloat16fLi2ELi64ELb0ELb0EEvPKT_PKfPKi31ggml_cuda_mm_fusion_args_devicePfi15HIP_vector_typeIjLj3EEiiiSB_iiiSB_iiii
                                        ; -- End function
	.set _ZL13mul_mat_vec_fI14__hip_bfloat16fLi2ELi64ELb0ELb0EEvPKT_PKfPKi31ggml_cuda_mm_fusion_args_devicePfi15HIP_vector_typeIjLj3EEiiiSB_iiiSB_iiii.num_vgpr, 15
	.set _ZL13mul_mat_vec_fI14__hip_bfloat16fLi2ELi64ELb0ELb0EEvPKT_PKfPKi31ggml_cuda_mm_fusion_args_devicePfi15HIP_vector_typeIjLj3EEiiiSB_iiiSB_iiii.num_agpr, 0
	.set _ZL13mul_mat_vec_fI14__hip_bfloat16fLi2ELi64ELb0ELb0EEvPKT_PKfPKi31ggml_cuda_mm_fusion_args_devicePfi15HIP_vector_typeIjLj3EEiiiSB_iiiSB_iiii.numbered_sgpr, 32
	.set _ZL13mul_mat_vec_fI14__hip_bfloat16fLi2ELi64ELb0ELb0EEvPKT_PKfPKi31ggml_cuda_mm_fusion_args_devicePfi15HIP_vector_typeIjLj3EEiiiSB_iiiSB_iiii.num_named_barrier, 0
	.set _ZL13mul_mat_vec_fI14__hip_bfloat16fLi2ELi64ELb0ELb0EEvPKT_PKfPKi31ggml_cuda_mm_fusion_args_devicePfi15HIP_vector_typeIjLj3EEiiiSB_iiiSB_iiii.private_seg_size, 0
	.set _ZL13mul_mat_vec_fI14__hip_bfloat16fLi2ELi64ELb0ELb0EEvPKT_PKfPKi31ggml_cuda_mm_fusion_args_devicePfi15HIP_vector_typeIjLj3EEiiiSB_iiiSB_iiii.uses_vcc, 1
	.set _ZL13mul_mat_vec_fI14__hip_bfloat16fLi2ELi64ELb0ELb0EEvPKT_PKfPKi31ggml_cuda_mm_fusion_args_devicePfi15HIP_vector_typeIjLj3EEiiiSB_iiiSB_iiii.uses_flat_scratch, 0
	.set _ZL13mul_mat_vec_fI14__hip_bfloat16fLi2ELi64ELb0ELb0EEvPKT_PKfPKi31ggml_cuda_mm_fusion_args_devicePfi15HIP_vector_typeIjLj3EEiiiSB_iiiSB_iiii.has_dyn_sized_stack, 0
	.set _ZL13mul_mat_vec_fI14__hip_bfloat16fLi2ELi64ELb0ELb0EEvPKT_PKfPKi31ggml_cuda_mm_fusion_args_devicePfi15HIP_vector_typeIjLj3EEiiiSB_iiiSB_iiii.has_recursion, 0
	.set _ZL13mul_mat_vec_fI14__hip_bfloat16fLi2ELi64ELb0ELb0EEvPKT_PKfPKi31ggml_cuda_mm_fusion_args_devicePfi15HIP_vector_typeIjLj3EEiiiSB_iiiSB_iiii.has_indirect_call, 0
	.section	.AMDGPU.csdata,"",@progbits
; Kernel info:
; codeLenInByte = 1376
; TotalNumSgprs: 34
; NumVgprs: 15
; ScratchSize: 0
; MemoryBound: 0
; FloatMode: 240
; IeeeMode: 1
; LDSByteSize: 0 bytes/workgroup (compile time only)
; SGPRBlocks: 0
; VGPRBlocks: 1
; NumSGPRsForWavesPerEU: 34
; NumVGPRsForWavesPerEU: 15
; Occupancy: 16
; WaveLimiterHint : 0
; COMPUTE_PGM_RSRC2:SCRATCH_EN: 0
; COMPUTE_PGM_RSRC2:USER_SGPR: 6
; COMPUTE_PGM_RSRC2:TRAP_HANDLER: 0
; COMPUTE_PGM_RSRC2:TGID_X_EN: 1
; COMPUTE_PGM_RSRC2:TGID_Y_EN: 1
; COMPUTE_PGM_RSRC2:TGID_Z_EN: 1
; COMPUTE_PGM_RSRC2:TIDIG_COMP_CNT: 0
	.section	.text._ZL13mul_mat_vec_fI14__hip_bfloat16fLi2ELi96ELb0ELb0EEvPKT_PKfPKi31ggml_cuda_mm_fusion_args_devicePfi15HIP_vector_typeIjLj3EEiiiSB_iiiSB_iiii,"axG",@progbits,_ZL13mul_mat_vec_fI14__hip_bfloat16fLi2ELi96ELb0ELb0EEvPKT_PKfPKi31ggml_cuda_mm_fusion_args_devicePfi15HIP_vector_typeIjLj3EEiiiSB_iiiSB_iiii,comdat
	.globl	_ZL13mul_mat_vec_fI14__hip_bfloat16fLi2ELi96ELb0ELb0EEvPKT_PKfPKi31ggml_cuda_mm_fusion_args_devicePfi15HIP_vector_typeIjLj3EEiiiSB_iiiSB_iiii ; -- Begin function _ZL13mul_mat_vec_fI14__hip_bfloat16fLi2ELi96ELb0ELb0EEvPKT_PKfPKi31ggml_cuda_mm_fusion_args_devicePfi15HIP_vector_typeIjLj3EEiiiSB_iiiSB_iiii
	.p2align	8
	.type	_ZL13mul_mat_vec_fI14__hip_bfloat16fLi2ELi96ELb0ELb0EEvPKT_PKfPKi31ggml_cuda_mm_fusion_args_devicePfi15HIP_vector_typeIjLj3EEiiiSB_iiiSB_iiii,@function
_ZL13mul_mat_vec_fI14__hip_bfloat16fLi2ELi96ELb0ELb0EEvPKT_PKfPKi31ggml_cuda_mm_fusion_args_devicePfi15HIP_vector_typeIjLj3EEiiiSB_iiiSB_iiii: ; @_ZL13mul_mat_vec_fI14__hip_bfloat16fLi2ELi96ELb0ELb0EEvPKT_PKfPKi31ggml_cuda_mm_fusion_args_devicePfi15HIP_vector_typeIjLj3EEiiiSB_iiiSB_iiii
; %bb.0:
	s_clause 0x2
	s_load_dwordx2 s[0:1], s[4:5], 0x10
	s_load_dwordx8 s[12:19], s[4:5], 0x40
	s_load_dwordx4 s[20:23], s[4:5], 0x80
	s_waitcnt lgkmcnt(0)
	s_cmp_eq_u64 s[0:1], 0
	s_cselect_b32 s10, -1, 0
	s_cmp_lg_u64 s[0:1], 0
	s_cselect_b32 s9, -1, 0
	s_and_b32 vcc_lo, exec_lo, s10
	s_cbranch_vccnz .LBB298_2
; %bb.1:
	s_mul_i32 s2, s23, s8
	s_mov_b32 s3, 0
	s_add_i32 s2, s2, s7
	s_lshl_b64 s[24:25], s[2:3], 2
	s_add_u32 s0, s0, s24
	s_addc_u32 s1, s1, s25
	s_load_dword s19, s[0:1], 0x0
	s_cbranch_execz .LBB298_3
	s_branch .LBB298_4
.LBB298_2:
                                        ; implicit-def: $sgpr19
.LBB298_3:
	s_load_dwordx2 s[0:1], s[4:5], 0x5c
	s_waitcnt lgkmcnt(0)
	s_mul_hi_u32 s0, s0, s7
	s_add_i32 s0, s7, s0
	s_lshr_b32 s19, s0, s1
.LBB298_4:
	s_load_dwordx4 s[24:27], s[4:5], 0x68
	s_andn2_b32 vcc_lo, exec_lo, s9
	s_mov_b32 s23, s7
	s_cbranch_vccnz .LBB298_6
; %bb.5:
	s_mul_hi_u32 s0, s13, s7
	s_add_i32 s0, s7, s0
	s_lshr_b32 s0, s0, s14
	s_mul_i32 s0, s0, s15
	s_sub_i32 s23, s7, s0
.LBB298_6:
	s_load_dword s9, s[4:5], 0x78
	v_cmp_gt_u32_e32 vcc_lo, 32, v0
	v_lshl_add_u32 v5, v0, 2, 0
	s_and_saveexec_b32 s0, vcc_lo
; %bb.7:
	v_mov_b32_e32 v1, 0
	ds_write_b32 v5, v1
; %bb.8:
	s_or_b32 exec_lo, exec_lo, s0
	v_mov_b32_e32 v7, 0
	v_mov_b32_e32 v6, 0
	s_and_b32 s0, exec_lo, s10
	s_mov_b32 s11, 0
	s_cselect_b32 s10, s8, 0
	s_mov_b32 s13, exec_lo
	s_waitcnt lgkmcnt(0)
	s_barrier
	buffer_gl0_inv
	v_cmpx_gt_i32_e64 s12, v0
	s_cbranch_execz .LBB298_12
; %bb.9:
	s_load_dwordx4 s[0:3], s[4:5], 0x0
	s_mul_hi_u32 s8, s27, s10
	s_mul_i32 s16, s16, s6
	s_add_i32 s8, s10, s8
	s_mul_i32 s14, s19, s24
	s_ashr_i32 s29, s17, 31
	s_mov_b32 s28, s17
	s_ashr_i32 s17, s16, 31
	s_lshr_b32 s19, s8, s9
	s_ashr_i32 s15, s14, 31
	s_mul_i32 s24, s23, s25
	s_lshl_b64 s[8:9], s[16:17], 1
	s_mul_hi_i32 s17, s19, s20
	s_mul_i32 s16, s19, s20
	s_lshl_b64 s[14:15], s[14:15], 1
	s_ashr_i32 s25, s24, 31
	s_lshl_b64 s[16:17], s[16:17], 1
	s_mul_hi_i32 s31, s10, s21
	s_mul_i32 s30, s10, s21
	v_lshlrev_b32_e32 v2, 3, v0
	s_waitcnt lgkmcnt(0)
	s_add_u32 s0, s0, s14
	s_addc_u32 s1, s1, s15
	s_add_u32 s0, s0, s8
	s_addc_u32 s1, s1, s9
	;; [unrolled: 2-line block ×3, first 2 shown]
	s_lshl_b64 s[14:15], s[24:25], 2
	s_lshl_b64 s[8:9], s[28:29], 3
	;; [unrolled: 1-line block ×3, first 2 shown]
	s_add_u32 s2, s2, s14
	s_addc_u32 s3, s3, s15
	v_lshlrev_b32_e32 v1, 2, v0
	s_add_u32 s0, s2, s0
	s_addc_u32 s1, s3, s1
	v_add_co_u32 v3, s0, s0, v2
	v_add_co_ci_u32_e64 v4, null, s1, 0, s0
	v_add_co_u32 v1, s0, s16, v1
	v_add_co_ci_u32_e64 v2, null, s17, 0, s0
	v_add_co_u32 v3, s0, v3, 4
	v_mov_b32_e32 v6, 0
	v_add_co_ci_u32_e64 v4, null, 0, v4, s0
	v_mov_b32_e32 v8, v0
	v_mov_b32_e32 v7, 0
	s_inst_prefetch 0x1
	.p2align	6
.LBB298_10:                             ; =>This Inner Loop Header: Depth=1
	v_add_co_u32 v9, s0, v3, s8
	global_load_dword v13, v[1:2], off
	v_add_co_ci_u32_e64 v10, null, s9, v4, s0
	v_add_nc_u32_e32 v8, 0x60, v8
	s_clause 0x1
	global_load_dwordx2 v[11:12], v[3:4], off offset:-4
	global_load_dwordx2 v[9:10], v[9:10], off offset:-4
	v_add_co_u32 v1, s0, 0x180, v1
	v_add_co_ci_u32_e64 v2, null, 0, v2, s0
	v_cmp_le_i32_e64 s0, s12, v8
	v_add_co_u32 v3, s1, 0x300, v3
	v_add_co_ci_u32_e64 v4, null, 0, v4, s1
	s_or_b32 s11, s0, s11
	s_waitcnt vmcnt(2)
	v_lshlrev_b32_e32 v14, 16, v13
	v_and_b32_e32 v13, 0xffff0000, v13
	s_waitcnt vmcnt(1)
	v_fmac_f32_e32 v6, v11, v14
	s_waitcnt vmcnt(0)
	v_fmac_f32_e32 v7, v9, v14
	v_fmac_f32_e32 v6, v12, v13
	;; [unrolled: 1-line block ×3, first 2 shown]
	s_andn2_b32 exec_lo, exec_lo, s11
	s_cbranch_execnz .LBB298_10
; %bb.11:
	s_inst_prefetch 0x2
	s_or_b32 exec_lo, exec_lo, s11
.LBB298_12:
	s_or_b32 exec_lo, exec_lo, s13
	v_mbcnt_lo_u32_b32 v2, -1, 0
	v_xor_b32_e32 v1, 16, v2
	v_xor_b32_e32 v3, 8, v2
	v_cmp_gt_i32_e64 s0, 32, v1
	v_cndmask_b32_e64 v1, v2, v1, s0
	v_cmp_gt_i32_e64 s0, 32, v3
	v_lshlrev_b32_e32 v1, 2, v1
	v_cndmask_b32_e64 v3, v2, v3, s0
	ds_bpermute_b32 v4, v1, v6
	v_lshlrev_b32_e32 v3, 2, v3
	s_waitcnt lgkmcnt(0)
	v_add_f32_e32 v6, v6, v4
	v_xor_b32_e32 v4, 4, v2
	ds_bpermute_b32 v8, v3, v6
	v_cmp_gt_i32_e64 s0, 32, v4
	v_cndmask_b32_e64 v4, v2, v4, s0
	v_lshlrev_b32_e32 v4, 2, v4
	s_waitcnt lgkmcnt(0)
	v_add_f32_e32 v8, v6, v8
	v_xor_b32_e32 v6, 2, v2
	ds_bpermute_b32 v9, v4, v8
	v_cmp_gt_i32_e64 s0, 32, v6
	v_cndmask_b32_e64 v6, v2, v6, s0
	;; [unrolled: 7-line block ×3, first 2 shown]
	v_lshlrev_b32_e32 v8, 2, v2
	s_waitcnt lgkmcnt(0)
	v_add_f32_e32 v2, v9, v10
	v_lshrrev_b32_e32 v9, 3, v0
	ds_bpermute_b32 v10, v8, v2
	v_and_b32_e32 v9, 0x7c, v9
	v_add_nc_u32_e32 v9, 0, v9
	s_waitcnt lgkmcnt(0)
	v_add_f32_e32 v2, v2, v10
	ds_write_b32 v9, v2
	s_waitcnt lgkmcnt(0)
	s_barrier
	buffer_gl0_inv
	s_and_saveexec_b32 s0, vcc_lo
	s_cbranch_execz .LBB298_14
; %bb.13:
	ds_read_b32 v2, v5
	s_waitcnt lgkmcnt(0)
	ds_bpermute_b32 v10, v1, v2
	s_waitcnt lgkmcnt(0)
	v_add_f32_e32 v2, v2, v10
	ds_bpermute_b32 v10, v3, v2
	s_waitcnt lgkmcnt(0)
	v_add_f32_e32 v2, v2, v10
	;; [unrolled: 3-line block ×5, first 2 shown]
.LBB298_14:
	s_or_b32 exec_lo, exec_lo, s0
	ds_bpermute_b32 v10, v1, v7
	s_waitcnt lgkmcnt(0)
	s_barrier
	buffer_gl0_inv
	v_add_f32_e32 v7, v7, v10
	ds_bpermute_b32 v10, v3, v7
	s_waitcnt lgkmcnt(0)
	v_add_f32_e32 v7, v7, v10
	ds_bpermute_b32 v10, v4, v7
	s_waitcnt lgkmcnt(0)
	;; [unrolled: 3-line block ×4, first 2 shown]
	v_add_f32_e32 v7, v7, v10
	ds_write_b32 v9, v7
	s_waitcnt lgkmcnt(0)
	s_barrier
	buffer_gl0_inv
	s_and_saveexec_b32 s0, vcc_lo
	s_cbranch_execz .LBB298_16
; %bb.15:
	ds_read_b32 v5, v5
	s_waitcnt lgkmcnt(0)
	ds_bpermute_b32 v1, v1, v5
	s_waitcnt lgkmcnt(0)
	v_add_f32_e32 v1, v5, v1
	ds_bpermute_b32 v3, v3, v1
	s_waitcnt lgkmcnt(0)
	v_add_f32_e32 v1, v1, v3
	;; [unrolled: 3-line block ×5, first 2 shown]
.LBB298_16:
	s_or_b32 exec_lo, exec_lo, s0
	s_barrier
	buffer_gl0_inv
	s_mov_b32 s0, exec_lo
	v_cmpx_gt_u32_e32 2, v0
	s_cbranch_execz .LBB298_18
; %bb.17:
	s_load_dwordx2 s[0:1], s[4:5], 0x38
	v_mad_u64_u32 v[3:4], null, s18, v0, s[6:7]
	s_mul_hi_i32 s3, s22, s10
	s_mul_i32 s2, s22, s10
	s_mul_i32 s4, s26, s7
	s_lshl_b64 s[2:3], s[2:3], 2
	s_ashr_i32 s5, s4, 31
	v_cmp_eq_u32_e32 vcc_lo, 1, v0
	v_ashrrev_i32_e32 v4, 31, v3
	v_cndmask_b32_e32 v2, v2, v7, vcc_lo
	v_lshlrev_b64 v[3:4], 2, v[3:4]
	s_waitcnt lgkmcnt(0)
	s_add_u32 s2, s0, s2
	s_addc_u32 s3, s1, s3
	s_lshl_b64 s[0:1], s[4:5], 2
	s_add_u32 s0, s2, s0
	s_addc_u32 s1, s3, s1
	v_add_co_u32 v0, vcc_lo, s0, v3
	v_add_co_ci_u32_e64 v1, null, s1, v4, vcc_lo
	global_store_dword v[0:1], v2, off
.LBB298_18:
	s_endpgm
	.section	.rodata,"a",@progbits
	.p2align	6, 0x0
	.amdhsa_kernel _ZL13mul_mat_vec_fI14__hip_bfloat16fLi2ELi96ELb0ELb0EEvPKT_PKfPKi31ggml_cuda_mm_fusion_args_devicePfi15HIP_vector_typeIjLj3EEiiiSB_iiiSB_iiii
		.amdhsa_group_segment_fixed_size 0
		.amdhsa_private_segment_fixed_size 0
		.amdhsa_kernarg_size 144
		.amdhsa_user_sgpr_count 6
		.amdhsa_user_sgpr_private_segment_buffer 1
		.amdhsa_user_sgpr_dispatch_ptr 0
		.amdhsa_user_sgpr_queue_ptr 0
		.amdhsa_user_sgpr_kernarg_segment_ptr 1
		.amdhsa_user_sgpr_dispatch_id 0
		.amdhsa_user_sgpr_flat_scratch_init 0
		.amdhsa_user_sgpr_private_segment_size 0
		.amdhsa_wavefront_size32 1
		.amdhsa_uses_dynamic_stack 0
		.amdhsa_system_sgpr_private_segment_wavefront_offset 0
		.amdhsa_system_sgpr_workgroup_id_x 1
		.amdhsa_system_sgpr_workgroup_id_y 1
		.amdhsa_system_sgpr_workgroup_id_z 1
		.amdhsa_system_sgpr_workgroup_info 0
		.amdhsa_system_vgpr_workitem_id 0
		.amdhsa_next_free_vgpr 15
		.amdhsa_next_free_sgpr 32
		.amdhsa_reserve_vcc 1
		.amdhsa_reserve_flat_scratch 0
		.amdhsa_float_round_mode_32 0
		.amdhsa_float_round_mode_16_64 0
		.amdhsa_float_denorm_mode_32 3
		.amdhsa_float_denorm_mode_16_64 3
		.amdhsa_dx10_clamp 1
		.amdhsa_ieee_mode 1
		.amdhsa_fp16_overflow 0
		.amdhsa_workgroup_processor_mode 1
		.amdhsa_memory_ordered 1
		.amdhsa_forward_progress 1
		.amdhsa_shared_vgpr_count 0
		.amdhsa_exception_fp_ieee_invalid_op 0
		.amdhsa_exception_fp_denorm_src 0
		.amdhsa_exception_fp_ieee_div_zero 0
		.amdhsa_exception_fp_ieee_overflow 0
		.amdhsa_exception_fp_ieee_underflow 0
		.amdhsa_exception_fp_ieee_inexact 0
		.amdhsa_exception_int_div_zero 0
	.end_amdhsa_kernel
	.section	.text._ZL13mul_mat_vec_fI14__hip_bfloat16fLi2ELi96ELb0ELb0EEvPKT_PKfPKi31ggml_cuda_mm_fusion_args_devicePfi15HIP_vector_typeIjLj3EEiiiSB_iiiSB_iiii,"axG",@progbits,_ZL13mul_mat_vec_fI14__hip_bfloat16fLi2ELi96ELb0ELb0EEvPKT_PKfPKi31ggml_cuda_mm_fusion_args_devicePfi15HIP_vector_typeIjLj3EEiiiSB_iiiSB_iiii,comdat
.Lfunc_end298:
	.size	_ZL13mul_mat_vec_fI14__hip_bfloat16fLi2ELi96ELb0ELb0EEvPKT_PKfPKi31ggml_cuda_mm_fusion_args_devicePfi15HIP_vector_typeIjLj3EEiiiSB_iiiSB_iiii, .Lfunc_end298-_ZL13mul_mat_vec_fI14__hip_bfloat16fLi2ELi96ELb0ELb0EEvPKT_PKfPKi31ggml_cuda_mm_fusion_args_devicePfi15HIP_vector_typeIjLj3EEiiiSB_iiiSB_iiii
                                        ; -- End function
	.set _ZL13mul_mat_vec_fI14__hip_bfloat16fLi2ELi96ELb0ELb0EEvPKT_PKfPKi31ggml_cuda_mm_fusion_args_devicePfi15HIP_vector_typeIjLj3EEiiiSB_iiiSB_iiii.num_vgpr, 15
	.set _ZL13mul_mat_vec_fI14__hip_bfloat16fLi2ELi96ELb0ELb0EEvPKT_PKfPKi31ggml_cuda_mm_fusion_args_devicePfi15HIP_vector_typeIjLj3EEiiiSB_iiiSB_iiii.num_agpr, 0
	.set _ZL13mul_mat_vec_fI14__hip_bfloat16fLi2ELi96ELb0ELb0EEvPKT_PKfPKi31ggml_cuda_mm_fusion_args_devicePfi15HIP_vector_typeIjLj3EEiiiSB_iiiSB_iiii.numbered_sgpr, 32
	.set _ZL13mul_mat_vec_fI14__hip_bfloat16fLi2ELi96ELb0ELb0EEvPKT_PKfPKi31ggml_cuda_mm_fusion_args_devicePfi15HIP_vector_typeIjLj3EEiiiSB_iiiSB_iiii.num_named_barrier, 0
	.set _ZL13mul_mat_vec_fI14__hip_bfloat16fLi2ELi96ELb0ELb0EEvPKT_PKfPKi31ggml_cuda_mm_fusion_args_devicePfi15HIP_vector_typeIjLj3EEiiiSB_iiiSB_iiii.private_seg_size, 0
	.set _ZL13mul_mat_vec_fI14__hip_bfloat16fLi2ELi96ELb0ELb0EEvPKT_PKfPKi31ggml_cuda_mm_fusion_args_devicePfi15HIP_vector_typeIjLj3EEiiiSB_iiiSB_iiii.uses_vcc, 1
	.set _ZL13mul_mat_vec_fI14__hip_bfloat16fLi2ELi96ELb0ELb0EEvPKT_PKfPKi31ggml_cuda_mm_fusion_args_devicePfi15HIP_vector_typeIjLj3EEiiiSB_iiiSB_iiii.uses_flat_scratch, 0
	.set _ZL13mul_mat_vec_fI14__hip_bfloat16fLi2ELi96ELb0ELb0EEvPKT_PKfPKi31ggml_cuda_mm_fusion_args_devicePfi15HIP_vector_typeIjLj3EEiiiSB_iiiSB_iiii.has_dyn_sized_stack, 0
	.set _ZL13mul_mat_vec_fI14__hip_bfloat16fLi2ELi96ELb0ELb0EEvPKT_PKfPKi31ggml_cuda_mm_fusion_args_devicePfi15HIP_vector_typeIjLj3EEiiiSB_iiiSB_iiii.has_recursion, 0
	.set _ZL13mul_mat_vec_fI14__hip_bfloat16fLi2ELi96ELb0ELb0EEvPKT_PKfPKi31ggml_cuda_mm_fusion_args_devicePfi15HIP_vector_typeIjLj3EEiiiSB_iiiSB_iiii.has_indirect_call, 0
	.section	.AMDGPU.csdata,"",@progbits
; Kernel info:
; codeLenInByte = 1380
; TotalNumSgprs: 34
; NumVgprs: 15
; ScratchSize: 0
; MemoryBound: 0
; FloatMode: 240
; IeeeMode: 1
; LDSByteSize: 0 bytes/workgroup (compile time only)
; SGPRBlocks: 0
; VGPRBlocks: 1
; NumSGPRsForWavesPerEU: 34
; NumVGPRsForWavesPerEU: 15
; Occupancy: 16
; WaveLimiterHint : 0
; COMPUTE_PGM_RSRC2:SCRATCH_EN: 0
; COMPUTE_PGM_RSRC2:USER_SGPR: 6
; COMPUTE_PGM_RSRC2:TRAP_HANDLER: 0
; COMPUTE_PGM_RSRC2:TGID_X_EN: 1
; COMPUTE_PGM_RSRC2:TGID_Y_EN: 1
; COMPUTE_PGM_RSRC2:TGID_Z_EN: 1
; COMPUTE_PGM_RSRC2:TIDIG_COMP_CNT: 0
	.section	.text._ZL13mul_mat_vec_fI14__hip_bfloat16fLi2ELi128ELb0ELb0EEvPKT_PKfPKi31ggml_cuda_mm_fusion_args_devicePfi15HIP_vector_typeIjLj3EEiiiSB_iiiSB_iiii,"axG",@progbits,_ZL13mul_mat_vec_fI14__hip_bfloat16fLi2ELi128ELb0ELb0EEvPKT_PKfPKi31ggml_cuda_mm_fusion_args_devicePfi15HIP_vector_typeIjLj3EEiiiSB_iiiSB_iiii,comdat
	.globl	_ZL13mul_mat_vec_fI14__hip_bfloat16fLi2ELi128ELb0ELb0EEvPKT_PKfPKi31ggml_cuda_mm_fusion_args_devicePfi15HIP_vector_typeIjLj3EEiiiSB_iiiSB_iiii ; -- Begin function _ZL13mul_mat_vec_fI14__hip_bfloat16fLi2ELi128ELb0ELb0EEvPKT_PKfPKi31ggml_cuda_mm_fusion_args_devicePfi15HIP_vector_typeIjLj3EEiiiSB_iiiSB_iiii
	.p2align	8
	.type	_ZL13mul_mat_vec_fI14__hip_bfloat16fLi2ELi128ELb0ELb0EEvPKT_PKfPKi31ggml_cuda_mm_fusion_args_devicePfi15HIP_vector_typeIjLj3EEiiiSB_iiiSB_iiii,@function
_ZL13mul_mat_vec_fI14__hip_bfloat16fLi2ELi128ELb0ELb0EEvPKT_PKfPKi31ggml_cuda_mm_fusion_args_devicePfi15HIP_vector_typeIjLj3EEiiiSB_iiiSB_iiii: ; @_ZL13mul_mat_vec_fI14__hip_bfloat16fLi2ELi128ELb0ELb0EEvPKT_PKfPKi31ggml_cuda_mm_fusion_args_devicePfi15HIP_vector_typeIjLj3EEiiiSB_iiiSB_iiii
; %bb.0:
	s_clause 0x2
	s_load_dwordx2 s[0:1], s[4:5], 0x10
	s_load_dwordx8 s[12:19], s[4:5], 0x40
	s_load_dwordx4 s[20:23], s[4:5], 0x80
	s_waitcnt lgkmcnt(0)
	s_cmp_eq_u64 s[0:1], 0
	s_cselect_b32 s10, -1, 0
	s_cmp_lg_u64 s[0:1], 0
	s_cselect_b32 s9, -1, 0
	s_and_b32 vcc_lo, exec_lo, s10
	s_cbranch_vccnz .LBB299_2
; %bb.1:
	s_mul_i32 s2, s23, s8
	s_mov_b32 s3, 0
	s_add_i32 s2, s2, s7
	s_lshl_b64 s[24:25], s[2:3], 2
	s_add_u32 s0, s0, s24
	s_addc_u32 s1, s1, s25
	s_load_dword s19, s[0:1], 0x0
	s_cbranch_execz .LBB299_3
	s_branch .LBB299_4
.LBB299_2:
                                        ; implicit-def: $sgpr19
.LBB299_3:
	s_load_dwordx2 s[0:1], s[4:5], 0x5c
	s_waitcnt lgkmcnt(0)
	s_mul_hi_u32 s0, s0, s7
	s_add_i32 s0, s7, s0
	s_lshr_b32 s19, s0, s1
.LBB299_4:
	s_load_dwordx4 s[24:27], s[4:5], 0x68
	s_andn2_b32 vcc_lo, exec_lo, s9
	s_mov_b32 s23, s7
	s_cbranch_vccnz .LBB299_6
; %bb.5:
	s_mul_hi_u32 s0, s13, s7
	s_add_i32 s0, s7, s0
	s_lshr_b32 s0, s0, s14
	s_mul_i32 s0, s0, s15
	s_sub_i32 s23, s7, s0
.LBB299_6:
	s_load_dword s9, s[4:5], 0x78
	v_cmp_gt_u32_e32 vcc_lo, 32, v0
	v_lshl_add_u32 v5, v0, 2, 0
	s_and_saveexec_b32 s0, vcc_lo
; %bb.7:
	v_mov_b32_e32 v1, 0
	ds_write_b32 v5, v1
; %bb.8:
	s_or_b32 exec_lo, exec_lo, s0
	v_mov_b32_e32 v7, 0
	v_mov_b32_e32 v6, 0
	s_and_b32 s0, exec_lo, s10
	s_mov_b32 s11, 0
	s_cselect_b32 s10, s8, 0
	s_mov_b32 s13, exec_lo
	s_waitcnt lgkmcnt(0)
	s_barrier
	buffer_gl0_inv
	v_cmpx_gt_i32_e64 s12, v0
	s_cbranch_execz .LBB299_12
; %bb.9:
	s_load_dwordx4 s[0:3], s[4:5], 0x0
	s_mul_hi_u32 s8, s27, s10
	s_mul_i32 s16, s16, s6
	s_add_i32 s8, s10, s8
	s_mul_i32 s14, s19, s24
	s_ashr_i32 s29, s17, 31
	s_mov_b32 s28, s17
	s_ashr_i32 s17, s16, 31
	s_lshr_b32 s19, s8, s9
	s_ashr_i32 s15, s14, 31
	s_mul_i32 s24, s23, s25
	s_lshl_b64 s[8:9], s[16:17], 1
	s_mul_hi_i32 s17, s19, s20
	s_mul_i32 s16, s19, s20
	s_lshl_b64 s[14:15], s[14:15], 1
	s_ashr_i32 s25, s24, 31
	s_lshl_b64 s[16:17], s[16:17], 1
	s_mul_hi_i32 s31, s10, s21
	s_mul_i32 s30, s10, s21
	v_lshlrev_b32_e32 v2, 3, v0
	s_waitcnt lgkmcnt(0)
	s_add_u32 s0, s0, s14
	s_addc_u32 s1, s1, s15
	s_add_u32 s0, s0, s8
	s_addc_u32 s1, s1, s9
	;; [unrolled: 2-line block ×3, first 2 shown]
	s_lshl_b64 s[14:15], s[24:25], 2
	s_lshl_b64 s[8:9], s[28:29], 3
	;; [unrolled: 1-line block ×3, first 2 shown]
	s_add_u32 s2, s2, s14
	s_addc_u32 s3, s3, s15
	v_lshlrev_b32_e32 v1, 2, v0
	s_add_u32 s0, s2, s0
	s_addc_u32 s1, s3, s1
	v_add_co_u32 v3, s0, s0, v2
	v_add_co_ci_u32_e64 v4, null, s1, 0, s0
	v_add_co_u32 v1, s0, s16, v1
	v_add_co_ci_u32_e64 v2, null, s17, 0, s0
	v_add_co_u32 v3, s0, v3, 4
	v_mov_b32_e32 v6, 0
	v_add_co_ci_u32_e64 v4, null, 0, v4, s0
	v_mov_b32_e32 v8, v0
	v_mov_b32_e32 v7, 0
	s_inst_prefetch 0x1
	.p2align	6
.LBB299_10:                             ; =>This Inner Loop Header: Depth=1
	v_add_co_u32 v9, s0, v3, s8
	global_load_dword v13, v[1:2], off
	v_add_co_ci_u32_e64 v10, null, s9, v4, s0
	v_add_nc_u32_e32 v8, 0x80, v8
	s_clause 0x1
	global_load_dwordx2 v[11:12], v[3:4], off offset:-4
	global_load_dwordx2 v[9:10], v[9:10], off offset:-4
	v_add_co_u32 v1, s0, 0x200, v1
	v_add_co_ci_u32_e64 v2, null, 0, v2, s0
	v_cmp_le_i32_e64 s0, s12, v8
	v_add_co_u32 v3, s1, 0x400, v3
	v_add_co_ci_u32_e64 v4, null, 0, v4, s1
	s_or_b32 s11, s0, s11
	s_waitcnt vmcnt(2)
	v_lshlrev_b32_e32 v14, 16, v13
	v_and_b32_e32 v13, 0xffff0000, v13
	s_waitcnt vmcnt(1)
	v_fmac_f32_e32 v6, v11, v14
	s_waitcnt vmcnt(0)
	v_fmac_f32_e32 v7, v9, v14
	v_fmac_f32_e32 v6, v12, v13
	v_fmac_f32_e32 v7, v10, v13
	s_andn2_b32 exec_lo, exec_lo, s11
	s_cbranch_execnz .LBB299_10
; %bb.11:
	s_inst_prefetch 0x2
	s_or_b32 exec_lo, exec_lo, s11
.LBB299_12:
	s_or_b32 exec_lo, exec_lo, s13
	v_mbcnt_lo_u32_b32 v2, -1, 0
	v_xor_b32_e32 v1, 16, v2
	v_xor_b32_e32 v3, 8, v2
	v_cmp_gt_i32_e64 s0, 32, v1
	v_cndmask_b32_e64 v1, v2, v1, s0
	v_cmp_gt_i32_e64 s0, 32, v3
	v_lshlrev_b32_e32 v1, 2, v1
	v_cndmask_b32_e64 v3, v2, v3, s0
	ds_bpermute_b32 v4, v1, v6
	v_lshlrev_b32_e32 v3, 2, v3
	s_waitcnt lgkmcnt(0)
	v_add_f32_e32 v6, v6, v4
	v_xor_b32_e32 v4, 4, v2
	ds_bpermute_b32 v8, v3, v6
	v_cmp_gt_i32_e64 s0, 32, v4
	v_cndmask_b32_e64 v4, v2, v4, s0
	v_lshlrev_b32_e32 v4, 2, v4
	s_waitcnt lgkmcnt(0)
	v_add_f32_e32 v8, v6, v8
	v_xor_b32_e32 v6, 2, v2
	ds_bpermute_b32 v9, v4, v8
	v_cmp_gt_i32_e64 s0, 32, v6
	v_cndmask_b32_e64 v6, v2, v6, s0
	;; [unrolled: 7-line block ×3, first 2 shown]
	v_lshlrev_b32_e32 v8, 2, v2
	s_waitcnt lgkmcnt(0)
	v_add_f32_e32 v2, v9, v10
	v_lshrrev_b32_e32 v9, 3, v0
	ds_bpermute_b32 v10, v8, v2
	v_and_b32_e32 v9, 0x7c, v9
	v_add_nc_u32_e32 v9, 0, v9
	s_waitcnt lgkmcnt(0)
	v_add_f32_e32 v2, v2, v10
	ds_write_b32 v9, v2
	s_waitcnt lgkmcnt(0)
	s_barrier
	buffer_gl0_inv
	s_and_saveexec_b32 s0, vcc_lo
	s_cbranch_execz .LBB299_14
; %bb.13:
	ds_read_b32 v2, v5
	s_waitcnt lgkmcnt(0)
	ds_bpermute_b32 v10, v1, v2
	s_waitcnt lgkmcnt(0)
	v_add_f32_e32 v2, v2, v10
	ds_bpermute_b32 v10, v3, v2
	s_waitcnt lgkmcnt(0)
	v_add_f32_e32 v2, v2, v10
	;; [unrolled: 3-line block ×5, first 2 shown]
.LBB299_14:
	s_or_b32 exec_lo, exec_lo, s0
	ds_bpermute_b32 v10, v1, v7
	s_waitcnt lgkmcnt(0)
	s_barrier
	buffer_gl0_inv
	v_add_f32_e32 v7, v7, v10
	ds_bpermute_b32 v10, v3, v7
	s_waitcnt lgkmcnt(0)
	v_add_f32_e32 v7, v7, v10
	ds_bpermute_b32 v10, v4, v7
	s_waitcnt lgkmcnt(0)
	;; [unrolled: 3-line block ×4, first 2 shown]
	v_add_f32_e32 v7, v7, v10
	ds_write_b32 v9, v7
	s_waitcnt lgkmcnt(0)
	s_barrier
	buffer_gl0_inv
	s_and_saveexec_b32 s0, vcc_lo
	s_cbranch_execz .LBB299_16
; %bb.15:
	ds_read_b32 v5, v5
	s_waitcnt lgkmcnt(0)
	ds_bpermute_b32 v1, v1, v5
	s_waitcnt lgkmcnt(0)
	v_add_f32_e32 v1, v5, v1
	ds_bpermute_b32 v3, v3, v1
	s_waitcnt lgkmcnt(0)
	v_add_f32_e32 v1, v1, v3
	;; [unrolled: 3-line block ×5, first 2 shown]
.LBB299_16:
	s_or_b32 exec_lo, exec_lo, s0
	s_barrier
	buffer_gl0_inv
	s_mov_b32 s0, exec_lo
	v_cmpx_gt_u32_e32 2, v0
	s_cbranch_execz .LBB299_18
; %bb.17:
	s_load_dwordx2 s[0:1], s[4:5], 0x38
	v_mad_u64_u32 v[3:4], null, s18, v0, s[6:7]
	s_mul_hi_i32 s3, s22, s10
	s_mul_i32 s2, s22, s10
	s_mul_i32 s4, s26, s7
	s_lshl_b64 s[2:3], s[2:3], 2
	s_ashr_i32 s5, s4, 31
	v_cmp_eq_u32_e32 vcc_lo, 1, v0
	v_ashrrev_i32_e32 v4, 31, v3
	v_cndmask_b32_e32 v2, v2, v7, vcc_lo
	v_lshlrev_b64 v[3:4], 2, v[3:4]
	s_waitcnt lgkmcnt(0)
	s_add_u32 s2, s0, s2
	s_addc_u32 s3, s1, s3
	s_lshl_b64 s[0:1], s[4:5], 2
	s_add_u32 s0, s2, s0
	s_addc_u32 s1, s3, s1
	v_add_co_u32 v0, vcc_lo, s0, v3
	v_add_co_ci_u32_e64 v1, null, s1, v4, vcc_lo
	global_store_dword v[0:1], v2, off
.LBB299_18:
	s_endpgm
	.section	.rodata,"a",@progbits
	.p2align	6, 0x0
	.amdhsa_kernel _ZL13mul_mat_vec_fI14__hip_bfloat16fLi2ELi128ELb0ELb0EEvPKT_PKfPKi31ggml_cuda_mm_fusion_args_devicePfi15HIP_vector_typeIjLj3EEiiiSB_iiiSB_iiii
		.amdhsa_group_segment_fixed_size 0
		.amdhsa_private_segment_fixed_size 0
		.amdhsa_kernarg_size 144
		.amdhsa_user_sgpr_count 6
		.amdhsa_user_sgpr_private_segment_buffer 1
		.amdhsa_user_sgpr_dispatch_ptr 0
		.amdhsa_user_sgpr_queue_ptr 0
		.amdhsa_user_sgpr_kernarg_segment_ptr 1
		.amdhsa_user_sgpr_dispatch_id 0
		.amdhsa_user_sgpr_flat_scratch_init 0
		.amdhsa_user_sgpr_private_segment_size 0
		.amdhsa_wavefront_size32 1
		.amdhsa_uses_dynamic_stack 0
		.amdhsa_system_sgpr_private_segment_wavefront_offset 0
		.amdhsa_system_sgpr_workgroup_id_x 1
		.amdhsa_system_sgpr_workgroup_id_y 1
		.amdhsa_system_sgpr_workgroup_id_z 1
		.amdhsa_system_sgpr_workgroup_info 0
		.amdhsa_system_vgpr_workitem_id 0
		.amdhsa_next_free_vgpr 15
		.amdhsa_next_free_sgpr 32
		.amdhsa_reserve_vcc 1
		.amdhsa_reserve_flat_scratch 0
		.amdhsa_float_round_mode_32 0
		.amdhsa_float_round_mode_16_64 0
		.amdhsa_float_denorm_mode_32 3
		.amdhsa_float_denorm_mode_16_64 3
		.amdhsa_dx10_clamp 1
		.amdhsa_ieee_mode 1
		.amdhsa_fp16_overflow 0
		.amdhsa_workgroup_processor_mode 1
		.amdhsa_memory_ordered 1
		.amdhsa_forward_progress 1
		.amdhsa_shared_vgpr_count 0
		.amdhsa_exception_fp_ieee_invalid_op 0
		.amdhsa_exception_fp_denorm_src 0
		.amdhsa_exception_fp_ieee_div_zero 0
		.amdhsa_exception_fp_ieee_overflow 0
		.amdhsa_exception_fp_ieee_underflow 0
		.amdhsa_exception_fp_ieee_inexact 0
		.amdhsa_exception_int_div_zero 0
	.end_amdhsa_kernel
	.section	.text._ZL13mul_mat_vec_fI14__hip_bfloat16fLi2ELi128ELb0ELb0EEvPKT_PKfPKi31ggml_cuda_mm_fusion_args_devicePfi15HIP_vector_typeIjLj3EEiiiSB_iiiSB_iiii,"axG",@progbits,_ZL13mul_mat_vec_fI14__hip_bfloat16fLi2ELi128ELb0ELb0EEvPKT_PKfPKi31ggml_cuda_mm_fusion_args_devicePfi15HIP_vector_typeIjLj3EEiiiSB_iiiSB_iiii,comdat
.Lfunc_end299:
	.size	_ZL13mul_mat_vec_fI14__hip_bfloat16fLi2ELi128ELb0ELb0EEvPKT_PKfPKi31ggml_cuda_mm_fusion_args_devicePfi15HIP_vector_typeIjLj3EEiiiSB_iiiSB_iiii, .Lfunc_end299-_ZL13mul_mat_vec_fI14__hip_bfloat16fLi2ELi128ELb0ELb0EEvPKT_PKfPKi31ggml_cuda_mm_fusion_args_devicePfi15HIP_vector_typeIjLj3EEiiiSB_iiiSB_iiii
                                        ; -- End function
	.set _ZL13mul_mat_vec_fI14__hip_bfloat16fLi2ELi128ELb0ELb0EEvPKT_PKfPKi31ggml_cuda_mm_fusion_args_devicePfi15HIP_vector_typeIjLj3EEiiiSB_iiiSB_iiii.num_vgpr, 15
	.set _ZL13mul_mat_vec_fI14__hip_bfloat16fLi2ELi128ELb0ELb0EEvPKT_PKfPKi31ggml_cuda_mm_fusion_args_devicePfi15HIP_vector_typeIjLj3EEiiiSB_iiiSB_iiii.num_agpr, 0
	.set _ZL13mul_mat_vec_fI14__hip_bfloat16fLi2ELi128ELb0ELb0EEvPKT_PKfPKi31ggml_cuda_mm_fusion_args_devicePfi15HIP_vector_typeIjLj3EEiiiSB_iiiSB_iiii.numbered_sgpr, 32
	.set _ZL13mul_mat_vec_fI14__hip_bfloat16fLi2ELi128ELb0ELb0EEvPKT_PKfPKi31ggml_cuda_mm_fusion_args_devicePfi15HIP_vector_typeIjLj3EEiiiSB_iiiSB_iiii.num_named_barrier, 0
	.set _ZL13mul_mat_vec_fI14__hip_bfloat16fLi2ELi128ELb0ELb0EEvPKT_PKfPKi31ggml_cuda_mm_fusion_args_devicePfi15HIP_vector_typeIjLj3EEiiiSB_iiiSB_iiii.private_seg_size, 0
	.set _ZL13mul_mat_vec_fI14__hip_bfloat16fLi2ELi128ELb0ELb0EEvPKT_PKfPKi31ggml_cuda_mm_fusion_args_devicePfi15HIP_vector_typeIjLj3EEiiiSB_iiiSB_iiii.uses_vcc, 1
	.set _ZL13mul_mat_vec_fI14__hip_bfloat16fLi2ELi128ELb0ELb0EEvPKT_PKfPKi31ggml_cuda_mm_fusion_args_devicePfi15HIP_vector_typeIjLj3EEiiiSB_iiiSB_iiii.uses_flat_scratch, 0
	.set _ZL13mul_mat_vec_fI14__hip_bfloat16fLi2ELi128ELb0ELb0EEvPKT_PKfPKi31ggml_cuda_mm_fusion_args_devicePfi15HIP_vector_typeIjLj3EEiiiSB_iiiSB_iiii.has_dyn_sized_stack, 0
	.set _ZL13mul_mat_vec_fI14__hip_bfloat16fLi2ELi128ELb0ELb0EEvPKT_PKfPKi31ggml_cuda_mm_fusion_args_devicePfi15HIP_vector_typeIjLj3EEiiiSB_iiiSB_iiii.has_recursion, 0
	.set _ZL13mul_mat_vec_fI14__hip_bfloat16fLi2ELi128ELb0ELb0EEvPKT_PKfPKi31ggml_cuda_mm_fusion_args_devicePfi15HIP_vector_typeIjLj3EEiiiSB_iiiSB_iiii.has_indirect_call, 0
	.section	.AMDGPU.csdata,"",@progbits
; Kernel info:
; codeLenInByte = 1380
; TotalNumSgprs: 34
; NumVgprs: 15
; ScratchSize: 0
; MemoryBound: 0
; FloatMode: 240
; IeeeMode: 1
; LDSByteSize: 0 bytes/workgroup (compile time only)
; SGPRBlocks: 0
; VGPRBlocks: 1
; NumSGPRsForWavesPerEU: 34
; NumVGPRsForWavesPerEU: 15
; Occupancy: 16
; WaveLimiterHint : 0
; COMPUTE_PGM_RSRC2:SCRATCH_EN: 0
; COMPUTE_PGM_RSRC2:USER_SGPR: 6
; COMPUTE_PGM_RSRC2:TRAP_HANDLER: 0
; COMPUTE_PGM_RSRC2:TGID_X_EN: 1
; COMPUTE_PGM_RSRC2:TGID_Y_EN: 1
; COMPUTE_PGM_RSRC2:TGID_Z_EN: 1
; COMPUTE_PGM_RSRC2:TIDIG_COMP_CNT: 0
	.section	.text._ZL13mul_mat_vec_fI14__hip_bfloat16fLi2ELi160ELb0ELb0EEvPKT_PKfPKi31ggml_cuda_mm_fusion_args_devicePfi15HIP_vector_typeIjLj3EEiiiSB_iiiSB_iiii,"axG",@progbits,_ZL13mul_mat_vec_fI14__hip_bfloat16fLi2ELi160ELb0ELb0EEvPKT_PKfPKi31ggml_cuda_mm_fusion_args_devicePfi15HIP_vector_typeIjLj3EEiiiSB_iiiSB_iiii,comdat
	.globl	_ZL13mul_mat_vec_fI14__hip_bfloat16fLi2ELi160ELb0ELb0EEvPKT_PKfPKi31ggml_cuda_mm_fusion_args_devicePfi15HIP_vector_typeIjLj3EEiiiSB_iiiSB_iiii ; -- Begin function _ZL13mul_mat_vec_fI14__hip_bfloat16fLi2ELi160ELb0ELb0EEvPKT_PKfPKi31ggml_cuda_mm_fusion_args_devicePfi15HIP_vector_typeIjLj3EEiiiSB_iiiSB_iiii
	.p2align	8
	.type	_ZL13mul_mat_vec_fI14__hip_bfloat16fLi2ELi160ELb0ELb0EEvPKT_PKfPKi31ggml_cuda_mm_fusion_args_devicePfi15HIP_vector_typeIjLj3EEiiiSB_iiiSB_iiii,@function
_ZL13mul_mat_vec_fI14__hip_bfloat16fLi2ELi160ELb0ELb0EEvPKT_PKfPKi31ggml_cuda_mm_fusion_args_devicePfi15HIP_vector_typeIjLj3EEiiiSB_iiiSB_iiii: ; @_ZL13mul_mat_vec_fI14__hip_bfloat16fLi2ELi160ELb0ELb0EEvPKT_PKfPKi31ggml_cuda_mm_fusion_args_devicePfi15HIP_vector_typeIjLj3EEiiiSB_iiiSB_iiii
; %bb.0:
	s_clause 0x2
	s_load_dwordx2 s[0:1], s[4:5], 0x10
	s_load_dwordx8 s[12:19], s[4:5], 0x40
	s_load_dwordx4 s[20:23], s[4:5], 0x80
	s_waitcnt lgkmcnt(0)
	s_cmp_eq_u64 s[0:1], 0
	s_cselect_b32 s10, -1, 0
	s_cmp_lg_u64 s[0:1], 0
	s_cselect_b32 s9, -1, 0
	s_and_b32 vcc_lo, exec_lo, s10
	s_cbranch_vccnz .LBB300_2
; %bb.1:
	s_mul_i32 s2, s23, s8
	s_mov_b32 s3, 0
	s_add_i32 s2, s2, s7
	s_lshl_b64 s[24:25], s[2:3], 2
	s_add_u32 s0, s0, s24
	s_addc_u32 s1, s1, s25
	s_load_dword s19, s[0:1], 0x0
	s_cbranch_execz .LBB300_3
	s_branch .LBB300_4
.LBB300_2:
                                        ; implicit-def: $sgpr19
.LBB300_3:
	s_load_dwordx2 s[0:1], s[4:5], 0x5c
	s_waitcnt lgkmcnt(0)
	s_mul_hi_u32 s0, s0, s7
	s_add_i32 s0, s7, s0
	s_lshr_b32 s19, s0, s1
.LBB300_4:
	s_load_dwordx4 s[24:27], s[4:5], 0x68
	s_andn2_b32 vcc_lo, exec_lo, s9
	s_mov_b32 s23, s7
	s_cbranch_vccnz .LBB300_6
; %bb.5:
	s_mul_hi_u32 s0, s13, s7
	s_add_i32 s0, s7, s0
	s_lshr_b32 s0, s0, s14
	s_mul_i32 s0, s0, s15
	s_sub_i32 s23, s7, s0
.LBB300_6:
	s_load_dword s9, s[4:5], 0x78
	v_cmp_gt_u32_e32 vcc_lo, 32, v0
	v_lshl_add_u32 v5, v0, 2, 0
	s_and_saveexec_b32 s0, vcc_lo
; %bb.7:
	v_mov_b32_e32 v1, 0
	ds_write_b32 v5, v1
; %bb.8:
	s_or_b32 exec_lo, exec_lo, s0
	v_mov_b32_e32 v7, 0
	v_mov_b32_e32 v6, 0
	s_and_b32 s0, exec_lo, s10
	s_mov_b32 s11, 0
	s_cselect_b32 s10, s8, 0
	s_mov_b32 s13, exec_lo
	s_waitcnt lgkmcnt(0)
	s_barrier
	buffer_gl0_inv
	v_cmpx_gt_i32_e64 s12, v0
	s_cbranch_execz .LBB300_12
; %bb.9:
	s_load_dwordx4 s[0:3], s[4:5], 0x0
	s_mul_hi_u32 s8, s27, s10
	s_mul_i32 s16, s16, s6
	s_add_i32 s8, s10, s8
	s_mul_i32 s14, s19, s24
	s_ashr_i32 s29, s17, 31
	s_mov_b32 s28, s17
	s_ashr_i32 s17, s16, 31
	s_lshr_b32 s19, s8, s9
	s_ashr_i32 s15, s14, 31
	s_mul_i32 s24, s23, s25
	s_lshl_b64 s[8:9], s[16:17], 1
	s_mul_hi_i32 s17, s19, s20
	s_mul_i32 s16, s19, s20
	s_lshl_b64 s[14:15], s[14:15], 1
	s_ashr_i32 s25, s24, 31
	s_lshl_b64 s[16:17], s[16:17], 1
	s_mul_hi_i32 s31, s10, s21
	s_mul_i32 s30, s10, s21
	v_lshlrev_b32_e32 v2, 3, v0
	s_waitcnt lgkmcnt(0)
	s_add_u32 s0, s0, s14
	s_addc_u32 s1, s1, s15
	s_add_u32 s0, s0, s8
	s_addc_u32 s1, s1, s9
	s_add_u32 s16, s0, s16
	s_addc_u32 s17, s1, s17
	s_lshl_b64 s[14:15], s[24:25], 2
	s_lshl_b64 s[8:9], s[28:29], 3
	;; [unrolled: 1-line block ×3, first 2 shown]
	s_add_u32 s2, s2, s14
	s_addc_u32 s3, s3, s15
	v_lshlrev_b32_e32 v1, 2, v0
	s_add_u32 s0, s2, s0
	s_addc_u32 s1, s3, s1
	v_add_co_u32 v3, s0, s0, v2
	v_add_co_ci_u32_e64 v4, null, s1, 0, s0
	v_add_co_u32 v1, s0, s16, v1
	v_add_co_ci_u32_e64 v2, null, s17, 0, s0
	v_add_co_u32 v3, s0, v3, 4
	v_mov_b32_e32 v6, 0
	v_add_co_ci_u32_e64 v4, null, 0, v4, s0
	v_mov_b32_e32 v8, v0
	v_mov_b32_e32 v7, 0
	s_inst_prefetch 0x1
	.p2align	6
.LBB300_10:                             ; =>This Inner Loop Header: Depth=1
	v_add_co_u32 v9, s0, v3, s8
	global_load_dword v13, v[1:2], off
	v_add_co_ci_u32_e64 v10, null, s9, v4, s0
	v_add_nc_u32_e32 v8, 0xa0, v8
	s_clause 0x1
	global_load_dwordx2 v[11:12], v[3:4], off offset:-4
	global_load_dwordx2 v[9:10], v[9:10], off offset:-4
	v_add_co_u32 v1, s0, 0x280, v1
	v_add_co_ci_u32_e64 v2, null, 0, v2, s0
	v_cmp_le_i32_e64 s0, s12, v8
	v_add_co_u32 v3, s1, 0x500, v3
	v_add_co_ci_u32_e64 v4, null, 0, v4, s1
	s_or_b32 s11, s0, s11
	s_waitcnt vmcnt(2)
	v_lshlrev_b32_e32 v14, 16, v13
	v_and_b32_e32 v13, 0xffff0000, v13
	s_waitcnt vmcnt(1)
	v_fmac_f32_e32 v6, v11, v14
	s_waitcnt vmcnt(0)
	v_fmac_f32_e32 v7, v9, v14
	v_fmac_f32_e32 v6, v12, v13
	;; [unrolled: 1-line block ×3, first 2 shown]
	s_andn2_b32 exec_lo, exec_lo, s11
	s_cbranch_execnz .LBB300_10
; %bb.11:
	s_inst_prefetch 0x2
	s_or_b32 exec_lo, exec_lo, s11
.LBB300_12:
	s_or_b32 exec_lo, exec_lo, s13
	v_mbcnt_lo_u32_b32 v2, -1, 0
	v_xor_b32_e32 v1, 16, v2
	v_xor_b32_e32 v3, 8, v2
	v_cmp_gt_i32_e64 s0, 32, v1
	v_cndmask_b32_e64 v1, v2, v1, s0
	v_cmp_gt_i32_e64 s0, 32, v3
	v_lshlrev_b32_e32 v1, 2, v1
	v_cndmask_b32_e64 v3, v2, v3, s0
	ds_bpermute_b32 v4, v1, v6
	v_lshlrev_b32_e32 v3, 2, v3
	s_waitcnt lgkmcnt(0)
	v_add_f32_e32 v6, v6, v4
	v_xor_b32_e32 v4, 4, v2
	ds_bpermute_b32 v8, v3, v6
	v_cmp_gt_i32_e64 s0, 32, v4
	v_cndmask_b32_e64 v4, v2, v4, s0
	v_lshlrev_b32_e32 v4, 2, v4
	s_waitcnt lgkmcnt(0)
	v_add_f32_e32 v8, v6, v8
	v_xor_b32_e32 v6, 2, v2
	ds_bpermute_b32 v9, v4, v8
	v_cmp_gt_i32_e64 s0, 32, v6
	v_cndmask_b32_e64 v6, v2, v6, s0
	;; [unrolled: 7-line block ×3, first 2 shown]
	v_lshlrev_b32_e32 v8, 2, v2
	s_waitcnt lgkmcnt(0)
	v_add_f32_e32 v2, v9, v10
	v_lshrrev_b32_e32 v9, 3, v0
	ds_bpermute_b32 v10, v8, v2
	v_and_b32_e32 v9, 0x7c, v9
	v_add_nc_u32_e32 v9, 0, v9
	s_waitcnt lgkmcnt(0)
	v_add_f32_e32 v2, v2, v10
	ds_write_b32 v9, v2
	s_waitcnt lgkmcnt(0)
	s_barrier
	buffer_gl0_inv
	s_and_saveexec_b32 s0, vcc_lo
	s_cbranch_execz .LBB300_14
; %bb.13:
	ds_read_b32 v2, v5
	s_waitcnt lgkmcnt(0)
	ds_bpermute_b32 v10, v1, v2
	s_waitcnt lgkmcnt(0)
	v_add_f32_e32 v2, v2, v10
	ds_bpermute_b32 v10, v3, v2
	s_waitcnt lgkmcnt(0)
	v_add_f32_e32 v2, v2, v10
	;; [unrolled: 3-line block ×5, first 2 shown]
.LBB300_14:
	s_or_b32 exec_lo, exec_lo, s0
	ds_bpermute_b32 v10, v1, v7
	s_waitcnt lgkmcnt(0)
	s_barrier
	buffer_gl0_inv
	v_add_f32_e32 v7, v7, v10
	ds_bpermute_b32 v10, v3, v7
	s_waitcnt lgkmcnt(0)
	v_add_f32_e32 v7, v7, v10
	ds_bpermute_b32 v10, v4, v7
	s_waitcnt lgkmcnt(0)
	;; [unrolled: 3-line block ×4, first 2 shown]
	v_add_f32_e32 v7, v7, v10
	ds_write_b32 v9, v7
	s_waitcnt lgkmcnt(0)
	s_barrier
	buffer_gl0_inv
	s_and_saveexec_b32 s0, vcc_lo
	s_cbranch_execz .LBB300_16
; %bb.15:
	ds_read_b32 v5, v5
	s_waitcnt lgkmcnt(0)
	ds_bpermute_b32 v1, v1, v5
	s_waitcnt lgkmcnt(0)
	v_add_f32_e32 v1, v5, v1
	ds_bpermute_b32 v3, v3, v1
	s_waitcnt lgkmcnt(0)
	v_add_f32_e32 v1, v1, v3
	;; [unrolled: 3-line block ×5, first 2 shown]
.LBB300_16:
	s_or_b32 exec_lo, exec_lo, s0
	s_barrier
	buffer_gl0_inv
	s_mov_b32 s0, exec_lo
	v_cmpx_gt_u32_e32 2, v0
	s_cbranch_execz .LBB300_18
; %bb.17:
	s_load_dwordx2 s[0:1], s[4:5], 0x38
	v_mad_u64_u32 v[3:4], null, s18, v0, s[6:7]
	s_mul_hi_i32 s3, s22, s10
	s_mul_i32 s2, s22, s10
	s_mul_i32 s4, s26, s7
	s_lshl_b64 s[2:3], s[2:3], 2
	s_ashr_i32 s5, s4, 31
	v_cmp_eq_u32_e32 vcc_lo, 1, v0
	v_ashrrev_i32_e32 v4, 31, v3
	v_cndmask_b32_e32 v2, v2, v7, vcc_lo
	v_lshlrev_b64 v[3:4], 2, v[3:4]
	s_waitcnt lgkmcnt(0)
	s_add_u32 s2, s0, s2
	s_addc_u32 s3, s1, s3
	s_lshl_b64 s[0:1], s[4:5], 2
	s_add_u32 s0, s2, s0
	s_addc_u32 s1, s3, s1
	v_add_co_u32 v0, vcc_lo, s0, v3
	v_add_co_ci_u32_e64 v1, null, s1, v4, vcc_lo
	global_store_dword v[0:1], v2, off
.LBB300_18:
	s_endpgm
	.section	.rodata,"a",@progbits
	.p2align	6, 0x0
	.amdhsa_kernel _ZL13mul_mat_vec_fI14__hip_bfloat16fLi2ELi160ELb0ELb0EEvPKT_PKfPKi31ggml_cuda_mm_fusion_args_devicePfi15HIP_vector_typeIjLj3EEiiiSB_iiiSB_iiii
		.amdhsa_group_segment_fixed_size 0
		.amdhsa_private_segment_fixed_size 0
		.amdhsa_kernarg_size 144
		.amdhsa_user_sgpr_count 6
		.amdhsa_user_sgpr_private_segment_buffer 1
		.amdhsa_user_sgpr_dispatch_ptr 0
		.amdhsa_user_sgpr_queue_ptr 0
		.amdhsa_user_sgpr_kernarg_segment_ptr 1
		.amdhsa_user_sgpr_dispatch_id 0
		.amdhsa_user_sgpr_flat_scratch_init 0
		.amdhsa_user_sgpr_private_segment_size 0
		.amdhsa_wavefront_size32 1
		.amdhsa_uses_dynamic_stack 0
		.amdhsa_system_sgpr_private_segment_wavefront_offset 0
		.amdhsa_system_sgpr_workgroup_id_x 1
		.amdhsa_system_sgpr_workgroup_id_y 1
		.amdhsa_system_sgpr_workgroup_id_z 1
		.amdhsa_system_sgpr_workgroup_info 0
		.amdhsa_system_vgpr_workitem_id 0
		.amdhsa_next_free_vgpr 15
		.amdhsa_next_free_sgpr 32
		.amdhsa_reserve_vcc 1
		.amdhsa_reserve_flat_scratch 0
		.amdhsa_float_round_mode_32 0
		.amdhsa_float_round_mode_16_64 0
		.amdhsa_float_denorm_mode_32 3
		.amdhsa_float_denorm_mode_16_64 3
		.amdhsa_dx10_clamp 1
		.amdhsa_ieee_mode 1
		.amdhsa_fp16_overflow 0
		.amdhsa_workgroup_processor_mode 1
		.amdhsa_memory_ordered 1
		.amdhsa_forward_progress 1
		.amdhsa_shared_vgpr_count 0
		.amdhsa_exception_fp_ieee_invalid_op 0
		.amdhsa_exception_fp_denorm_src 0
		.amdhsa_exception_fp_ieee_div_zero 0
		.amdhsa_exception_fp_ieee_overflow 0
		.amdhsa_exception_fp_ieee_underflow 0
		.amdhsa_exception_fp_ieee_inexact 0
		.amdhsa_exception_int_div_zero 0
	.end_amdhsa_kernel
	.section	.text._ZL13mul_mat_vec_fI14__hip_bfloat16fLi2ELi160ELb0ELb0EEvPKT_PKfPKi31ggml_cuda_mm_fusion_args_devicePfi15HIP_vector_typeIjLj3EEiiiSB_iiiSB_iiii,"axG",@progbits,_ZL13mul_mat_vec_fI14__hip_bfloat16fLi2ELi160ELb0ELb0EEvPKT_PKfPKi31ggml_cuda_mm_fusion_args_devicePfi15HIP_vector_typeIjLj3EEiiiSB_iiiSB_iiii,comdat
.Lfunc_end300:
	.size	_ZL13mul_mat_vec_fI14__hip_bfloat16fLi2ELi160ELb0ELb0EEvPKT_PKfPKi31ggml_cuda_mm_fusion_args_devicePfi15HIP_vector_typeIjLj3EEiiiSB_iiiSB_iiii, .Lfunc_end300-_ZL13mul_mat_vec_fI14__hip_bfloat16fLi2ELi160ELb0ELb0EEvPKT_PKfPKi31ggml_cuda_mm_fusion_args_devicePfi15HIP_vector_typeIjLj3EEiiiSB_iiiSB_iiii
                                        ; -- End function
	.set _ZL13mul_mat_vec_fI14__hip_bfloat16fLi2ELi160ELb0ELb0EEvPKT_PKfPKi31ggml_cuda_mm_fusion_args_devicePfi15HIP_vector_typeIjLj3EEiiiSB_iiiSB_iiii.num_vgpr, 15
	.set _ZL13mul_mat_vec_fI14__hip_bfloat16fLi2ELi160ELb0ELb0EEvPKT_PKfPKi31ggml_cuda_mm_fusion_args_devicePfi15HIP_vector_typeIjLj3EEiiiSB_iiiSB_iiii.num_agpr, 0
	.set _ZL13mul_mat_vec_fI14__hip_bfloat16fLi2ELi160ELb0ELb0EEvPKT_PKfPKi31ggml_cuda_mm_fusion_args_devicePfi15HIP_vector_typeIjLj3EEiiiSB_iiiSB_iiii.numbered_sgpr, 32
	.set _ZL13mul_mat_vec_fI14__hip_bfloat16fLi2ELi160ELb0ELb0EEvPKT_PKfPKi31ggml_cuda_mm_fusion_args_devicePfi15HIP_vector_typeIjLj3EEiiiSB_iiiSB_iiii.num_named_barrier, 0
	.set _ZL13mul_mat_vec_fI14__hip_bfloat16fLi2ELi160ELb0ELb0EEvPKT_PKfPKi31ggml_cuda_mm_fusion_args_devicePfi15HIP_vector_typeIjLj3EEiiiSB_iiiSB_iiii.private_seg_size, 0
	.set _ZL13mul_mat_vec_fI14__hip_bfloat16fLi2ELi160ELb0ELb0EEvPKT_PKfPKi31ggml_cuda_mm_fusion_args_devicePfi15HIP_vector_typeIjLj3EEiiiSB_iiiSB_iiii.uses_vcc, 1
	.set _ZL13mul_mat_vec_fI14__hip_bfloat16fLi2ELi160ELb0ELb0EEvPKT_PKfPKi31ggml_cuda_mm_fusion_args_devicePfi15HIP_vector_typeIjLj3EEiiiSB_iiiSB_iiii.uses_flat_scratch, 0
	.set _ZL13mul_mat_vec_fI14__hip_bfloat16fLi2ELi160ELb0ELb0EEvPKT_PKfPKi31ggml_cuda_mm_fusion_args_devicePfi15HIP_vector_typeIjLj3EEiiiSB_iiiSB_iiii.has_dyn_sized_stack, 0
	.set _ZL13mul_mat_vec_fI14__hip_bfloat16fLi2ELi160ELb0ELb0EEvPKT_PKfPKi31ggml_cuda_mm_fusion_args_devicePfi15HIP_vector_typeIjLj3EEiiiSB_iiiSB_iiii.has_recursion, 0
	.set _ZL13mul_mat_vec_fI14__hip_bfloat16fLi2ELi160ELb0ELb0EEvPKT_PKfPKi31ggml_cuda_mm_fusion_args_devicePfi15HIP_vector_typeIjLj3EEiiiSB_iiiSB_iiii.has_indirect_call, 0
	.section	.AMDGPU.csdata,"",@progbits
; Kernel info:
; codeLenInByte = 1380
; TotalNumSgprs: 34
; NumVgprs: 15
; ScratchSize: 0
; MemoryBound: 0
; FloatMode: 240
; IeeeMode: 1
; LDSByteSize: 0 bytes/workgroup (compile time only)
; SGPRBlocks: 0
; VGPRBlocks: 1
; NumSGPRsForWavesPerEU: 34
; NumVGPRsForWavesPerEU: 15
; Occupancy: 16
; WaveLimiterHint : 0
; COMPUTE_PGM_RSRC2:SCRATCH_EN: 0
; COMPUTE_PGM_RSRC2:USER_SGPR: 6
; COMPUTE_PGM_RSRC2:TRAP_HANDLER: 0
; COMPUTE_PGM_RSRC2:TGID_X_EN: 1
; COMPUTE_PGM_RSRC2:TGID_Y_EN: 1
; COMPUTE_PGM_RSRC2:TGID_Z_EN: 1
; COMPUTE_PGM_RSRC2:TIDIG_COMP_CNT: 0
	.section	.text._ZL13mul_mat_vec_fI14__hip_bfloat16fLi2ELi192ELb0ELb0EEvPKT_PKfPKi31ggml_cuda_mm_fusion_args_devicePfi15HIP_vector_typeIjLj3EEiiiSB_iiiSB_iiii,"axG",@progbits,_ZL13mul_mat_vec_fI14__hip_bfloat16fLi2ELi192ELb0ELb0EEvPKT_PKfPKi31ggml_cuda_mm_fusion_args_devicePfi15HIP_vector_typeIjLj3EEiiiSB_iiiSB_iiii,comdat
	.globl	_ZL13mul_mat_vec_fI14__hip_bfloat16fLi2ELi192ELb0ELb0EEvPKT_PKfPKi31ggml_cuda_mm_fusion_args_devicePfi15HIP_vector_typeIjLj3EEiiiSB_iiiSB_iiii ; -- Begin function _ZL13mul_mat_vec_fI14__hip_bfloat16fLi2ELi192ELb0ELb0EEvPKT_PKfPKi31ggml_cuda_mm_fusion_args_devicePfi15HIP_vector_typeIjLj3EEiiiSB_iiiSB_iiii
	.p2align	8
	.type	_ZL13mul_mat_vec_fI14__hip_bfloat16fLi2ELi192ELb0ELb0EEvPKT_PKfPKi31ggml_cuda_mm_fusion_args_devicePfi15HIP_vector_typeIjLj3EEiiiSB_iiiSB_iiii,@function
_ZL13mul_mat_vec_fI14__hip_bfloat16fLi2ELi192ELb0ELb0EEvPKT_PKfPKi31ggml_cuda_mm_fusion_args_devicePfi15HIP_vector_typeIjLj3EEiiiSB_iiiSB_iiii: ; @_ZL13mul_mat_vec_fI14__hip_bfloat16fLi2ELi192ELb0ELb0EEvPKT_PKfPKi31ggml_cuda_mm_fusion_args_devicePfi15HIP_vector_typeIjLj3EEiiiSB_iiiSB_iiii
; %bb.0:
	s_clause 0x2
	s_load_dwordx2 s[0:1], s[4:5], 0x10
	s_load_dwordx8 s[12:19], s[4:5], 0x40
	s_load_dwordx4 s[20:23], s[4:5], 0x80
	s_waitcnt lgkmcnt(0)
	s_cmp_eq_u64 s[0:1], 0
	s_cselect_b32 s10, -1, 0
	s_cmp_lg_u64 s[0:1], 0
	s_cselect_b32 s9, -1, 0
	s_and_b32 vcc_lo, exec_lo, s10
	s_cbranch_vccnz .LBB301_2
; %bb.1:
	s_mul_i32 s2, s23, s8
	s_mov_b32 s3, 0
	s_add_i32 s2, s2, s7
	s_lshl_b64 s[24:25], s[2:3], 2
	s_add_u32 s0, s0, s24
	s_addc_u32 s1, s1, s25
	s_load_dword s19, s[0:1], 0x0
	s_cbranch_execz .LBB301_3
	s_branch .LBB301_4
.LBB301_2:
                                        ; implicit-def: $sgpr19
.LBB301_3:
	s_load_dwordx2 s[0:1], s[4:5], 0x5c
	s_waitcnt lgkmcnt(0)
	s_mul_hi_u32 s0, s0, s7
	s_add_i32 s0, s7, s0
	s_lshr_b32 s19, s0, s1
.LBB301_4:
	s_load_dwordx4 s[24:27], s[4:5], 0x68
	s_andn2_b32 vcc_lo, exec_lo, s9
	s_mov_b32 s23, s7
	s_cbranch_vccnz .LBB301_6
; %bb.5:
	s_mul_hi_u32 s0, s13, s7
	s_add_i32 s0, s7, s0
	s_lshr_b32 s0, s0, s14
	s_mul_i32 s0, s0, s15
	s_sub_i32 s23, s7, s0
.LBB301_6:
	s_load_dword s9, s[4:5], 0x78
	v_cmp_gt_u32_e32 vcc_lo, 32, v0
	v_lshl_add_u32 v5, v0, 2, 0
	s_and_saveexec_b32 s0, vcc_lo
; %bb.7:
	v_mov_b32_e32 v1, 0
	ds_write_b32 v5, v1
; %bb.8:
	s_or_b32 exec_lo, exec_lo, s0
	v_mov_b32_e32 v7, 0
	v_mov_b32_e32 v6, 0
	s_and_b32 s0, exec_lo, s10
	s_mov_b32 s11, 0
	s_cselect_b32 s10, s8, 0
	s_mov_b32 s13, exec_lo
	s_waitcnt lgkmcnt(0)
	s_barrier
	buffer_gl0_inv
	v_cmpx_gt_i32_e64 s12, v0
	s_cbranch_execz .LBB301_12
; %bb.9:
	s_load_dwordx4 s[0:3], s[4:5], 0x0
	s_mul_hi_u32 s8, s27, s10
	s_mul_i32 s16, s16, s6
	s_add_i32 s8, s10, s8
	s_mul_i32 s14, s19, s24
	s_ashr_i32 s29, s17, 31
	s_mov_b32 s28, s17
	s_ashr_i32 s17, s16, 31
	s_lshr_b32 s19, s8, s9
	s_ashr_i32 s15, s14, 31
	s_mul_i32 s24, s23, s25
	s_lshl_b64 s[8:9], s[16:17], 1
	s_mul_hi_i32 s17, s19, s20
	s_mul_i32 s16, s19, s20
	s_lshl_b64 s[14:15], s[14:15], 1
	s_ashr_i32 s25, s24, 31
	s_lshl_b64 s[16:17], s[16:17], 1
	s_mul_hi_i32 s31, s10, s21
	s_mul_i32 s30, s10, s21
	v_lshlrev_b32_e32 v2, 3, v0
	s_waitcnt lgkmcnt(0)
	s_add_u32 s0, s0, s14
	s_addc_u32 s1, s1, s15
	s_add_u32 s0, s0, s8
	s_addc_u32 s1, s1, s9
	;; [unrolled: 2-line block ×3, first 2 shown]
	s_lshl_b64 s[14:15], s[24:25], 2
	s_lshl_b64 s[8:9], s[28:29], 3
	;; [unrolled: 1-line block ×3, first 2 shown]
	s_add_u32 s2, s2, s14
	s_addc_u32 s3, s3, s15
	v_lshlrev_b32_e32 v1, 2, v0
	s_add_u32 s0, s2, s0
	s_addc_u32 s1, s3, s1
	v_add_co_u32 v3, s0, s0, v2
	v_add_co_ci_u32_e64 v4, null, s1, 0, s0
	v_add_co_u32 v1, s0, s16, v1
	v_add_co_ci_u32_e64 v2, null, s17, 0, s0
	v_add_co_u32 v3, s0, v3, 4
	v_mov_b32_e32 v6, 0
	v_add_co_ci_u32_e64 v4, null, 0, v4, s0
	v_mov_b32_e32 v8, v0
	v_mov_b32_e32 v7, 0
	s_inst_prefetch 0x1
	.p2align	6
.LBB301_10:                             ; =>This Inner Loop Header: Depth=1
	v_add_co_u32 v9, s0, v3, s8
	global_load_dword v13, v[1:2], off
	v_add_co_ci_u32_e64 v10, null, s9, v4, s0
	v_add_nc_u32_e32 v8, 0xc0, v8
	s_clause 0x1
	global_load_dwordx2 v[11:12], v[3:4], off offset:-4
	global_load_dwordx2 v[9:10], v[9:10], off offset:-4
	v_add_co_u32 v1, s0, 0x300, v1
	v_add_co_ci_u32_e64 v2, null, 0, v2, s0
	v_cmp_le_i32_e64 s0, s12, v8
	v_add_co_u32 v3, s1, 0x600, v3
	v_add_co_ci_u32_e64 v4, null, 0, v4, s1
	s_or_b32 s11, s0, s11
	s_waitcnt vmcnt(2)
	v_lshlrev_b32_e32 v14, 16, v13
	v_and_b32_e32 v13, 0xffff0000, v13
	s_waitcnt vmcnt(1)
	v_fmac_f32_e32 v6, v11, v14
	s_waitcnt vmcnt(0)
	v_fmac_f32_e32 v7, v9, v14
	v_fmac_f32_e32 v6, v12, v13
	;; [unrolled: 1-line block ×3, first 2 shown]
	s_andn2_b32 exec_lo, exec_lo, s11
	s_cbranch_execnz .LBB301_10
; %bb.11:
	s_inst_prefetch 0x2
	s_or_b32 exec_lo, exec_lo, s11
.LBB301_12:
	s_or_b32 exec_lo, exec_lo, s13
	v_mbcnt_lo_u32_b32 v2, -1, 0
	v_xor_b32_e32 v1, 16, v2
	v_xor_b32_e32 v3, 8, v2
	v_cmp_gt_i32_e64 s0, 32, v1
	v_cndmask_b32_e64 v1, v2, v1, s0
	v_cmp_gt_i32_e64 s0, 32, v3
	v_lshlrev_b32_e32 v1, 2, v1
	v_cndmask_b32_e64 v3, v2, v3, s0
	ds_bpermute_b32 v4, v1, v6
	v_lshlrev_b32_e32 v3, 2, v3
	s_waitcnt lgkmcnt(0)
	v_add_f32_e32 v6, v6, v4
	v_xor_b32_e32 v4, 4, v2
	ds_bpermute_b32 v8, v3, v6
	v_cmp_gt_i32_e64 s0, 32, v4
	v_cndmask_b32_e64 v4, v2, v4, s0
	v_lshlrev_b32_e32 v4, 2, v4
	s_waitcnt lgkmcnt(0)
	v_add_f32_e32 v8, v6, v8
	v_xor_b32_e32 v6, 2, v2
	ds_bpermute_b32 v9, v4, v8
	v_cmp_gt_i32_e64 s0, 32, v6
	v_cndmask_b32_e64 v6, v2, v6, s0
	v_lshlrev_b32_e32 v6, 2, v6
	s_waitcnt lgkmcnt(0)
	v_add_f32_e32 v9, v8, v9
	v_xor_b32_e32 v8, 1, v2
	ds_bpermute_b32 v10, v6, v9
	v_cmp_gt_i32_e64 s0, 32, v8
	v_cndmask_b32_e64 v2, v2, v8, s0
	v_lshlrev_b32_e32 v8, 2, v2
	s_waitcnt lgkmcnt(0)
	v_add_f32_e32 v2, v9, v10
	v_lshrrev_b32_e32 v9, 3, v0
	ds_bpermute_b32 v10, v8, v2
	v_and_b32_e32 v9, 0x7c, v9
	v_add_nc_u32_e32 v9, 0, v9
	s_waitcnt lgkmcnt(0)
	v_add_f32_e32 v2, v2, v10
	ds_write_b32 v9, v2
	s_waitcnt lgkmcnt(0)
	s_barrier
	buffer_gl0_inv
	s_and_saveexec_b32 s0, vcc_lo
	s_cbranch_execz .LBB301_14
; %bb.13:
	ds_read_b32 v2, v5
	s_waitcnt lgkmcnt(0)
	ds_bpermute_b32 v10, v1, v2
	s_waitcnt lgkmcnt(0)
	v_add_f32_e32 v2, v2, v10
	ds_bpermute_b32 v10, v3, v2
	s_waitcnt lgkmcnt(0)
	v_add_f32_e32 v2, v2, v10
	;; [unrolled: 3-line block ×5, first 2 shown]
.LBB301_14:
	s_or_b32 exec_lo, exec_lo, s0
	ds_bpermute_b32 v10, v1, v7
	s_waitcnt lgkmcnt(0)
	s_barrier
	buffer_gl0_inv
	v_add_f32_e32 v7, v7, v10
	ds_bpermute_b32 v10, v3, v7
	s_waitcnt lgkmcnt(0)
	v_add_f32_e32 v7, v7, v10
	ds_bpermute_b32 v10, v4, v7
	s_waitcnt lgkmcnt(0)
	;; [unrolled: 3-line block ×4, first 2 shown]
	v_add_f32_e32 v7, v7, v10
	ds_write_b32 v9, v7
	s_waitcnt lgkmcnt(0)
	s_barrier
	buffer_gl0_inv
	s_and_saveexec_b32 s0, vcc_lo
	s_cbranch_execz .LBB301_16
; %bb.15:
	ds_read_b32 v5, v5
	s_waitcnt lgkmcnt(0)
	ds_bpermute_b32 v1, v1, v5
	s_waitcnt lgkmcnt(0)
	v_add_f32_e32 v1, v5, v1
	ds_bpermute_b32 v3, v3, v1
	s_waitcnt lgkmcnt(0)
	v_add_f32_e32 v1, v1, v3
	ds_bpermute_b32 v3, v4, v1
	s_waitcnt lgkmcnt(0)
	v_add_f32_e32 v1, v1, v3
	ds_bpermute_b32 v3, v6, v1
	s_waitcnt lgkmcnt(0)
	v_add_f32_e32 v1, v1, v3
	ds_bpermute_b32 v3, v8, v1
	s_waitcnt lgkmcnt(0)
	v_add_f32_e32 v7, v1, v3
.LBB301_16:
	s_or_b32 exec_lo, exec_lo, s0
	s_barrier
	buffer_gl0_inv
	s_mov_b32 s0, exec_lo
	v_cmpx_gt_u32_e32 2, v0
	s_cbranch_execz .LBB301_18
; %bb.17:
	s_load_dwordx2 s[0:1], s[4:5], 0x38
	v_mad_u64_u32 v[3:4], null, s18, v0, s[6:7]
	s_mul_hi_i32 s3, s22, s10
	s_mul_i32 s2, s22, s10
	s_mul_i32 s4, s26, s7
	s_lshl_b64 s[2:3], s[2:3], 2
	s_ashr_i32 s5, s4, 31
	v_cmp_eq_u32_e32 vcc_lo, 1, v0
	v_ashrrev_i32_e32 v4, 31, v3
	v_cndmask_b32_e32 v2, v2, v7, vcc_lo
	v_lshlrev_b64 v[3:4], 2, v[3:4]
	s_waitcnt lgkmcnt(0)
	s_add_u32 s2, s0, s2
	s_addc_u32 s3, s1, s3
	s_lshl_b64 s[0:1], s[4:5], 2
	s_add_u32 s0, s2, s0
	s_addc_u32 s1, s3, s1
	v_add_co_u32 v0, vcc_lo, s0, v3
	v_add_co_ci_u32_e64 v1, null, s1, v4, vcc_lo
	global_store_dword v[0:1], v2, off
.LBB301_18:
	s_endpgm
	.section	.rodata,"a",@progbits
	.p2align	6, 0x0
	.amdhsa_kernel _ZL13mul_mat_vec_fI14__hip_bfloat16fLi2ELi192ELb0ELb0EEvPKT_PKfPKi31ggml_cuda_mm_fusion_args_devicePfi15HIP_vector_typeIjLj3EEiiiSB_iiiSB_iiii
		.amdhsa_group_segment_fixed_size 0
		.amdhsa_private_segment_fixed_size 0
		.amdhsa_kernarg_size 144
		.amdhsa_user_sgpr_count 6
		.amdhsa_user_sgpr_private_segment_buffer 1
		.amdhsa_user_sgpr_dispatch_ptr 0
		.amdhsa_user_sgpr_queue_ptr 0
		.amdhsa_user_sgpr_kernarg_segment_ptr 1
		.amdhsa_user_sgpr_dispatch_id 0
		.amdhsa_user_sgpr_flat_scratch_init 0
		.amdhsa_user_sgpr_private_segment_size 0
		.amdhsa_wavefront_size32 1
		.amdhsa_uses_dynamic_stack 0
		.amdhsa_system_sgpr_private_segment_wavefront_offset 0
		.amdhsa_system_sgpr_workgroup_id_x 1
		.amdhsa_system_sgpr_workgroup_id_y 1
		.amdhsa_system_sgpr_workgroup_id_z 1
		.amdhsa_system_sgpr_workgroup_info 0
		.amdhsa_system_vgpr_workitem_id 0
		.amdhsa_next_free_vgpr 15
		.amdhsa_next_free_sgpr 32
		.amdhsa_reserve_vcc 1
		.amdhsa_reserve_flat_scratch 0
		.amdhsa_float_round_mode_32 0
		.amdhsa_float_round_mode_16_64 0
		.amdhsa_float_denorm_mode_32 3
		.amdhsa_float_denorm_mode_16_64 3
		.amdhsa_dx10_clamp 1
		.amdhsa_ieee_mode 1
		.amdhsa_fp16_overflow 0
		.amdhsa_workgroup_processor_mode 1
		.amdhsa_memory_ordered 1
		.amdhsa_forward_progress 1
		.amdhsa_shared_vgpr_count 0
		.amdhsa_exception_fp_ieee_invalid_op 0
		.amdhsa_exception_fp_denorm_src 0
		.amdhsa_exception_fp_ieee_div_zero 0
		.amdhsa_exception_fp_ieee_overflow 0
		.amdhsa_exception_fp_ieee_underflow 0
		.amdhsa_exception_fp_ieee_inexact 0
		.amdhsa_exception_int_div_zero 0
	.end_amdhsa_kernel
	.section	.text._ZL13mul_mat_vec_fI14__hip_bfloat16fLi2ELi192ELb0ELb0EEvPKT_PKfPKi31ggml_cuda_mm_fusion_args_devicePfi15HIP_vector_typeIjLj3EEiiiSB_iiiSB_iiii,"axG",@progbits,_ZL13mul_mat_vec_fI14__hip_bfloat16fLi2ELi192ELb0ELb0EEvPKT_PKfPKi31ggml_cuda_mm_fusion_args_devicePfi15HIP_vector_typeIjLj3EEiiiSB_iiiSB_iiii,comdat
.Lfunc_end301:
	.size	_ZL13mul_mat_vec_fI14__hip_bfloat16fLi2ELi192ELb0ELb0EEvPKT_PKfPKi31ggml_cuda_mm_fusion_args_devicePfi15HIP_vector_typeIjLj3EEiiiSB_iiiSB_iiii, .Lfunc_end301-_ZL13mul_mat_vec_fI14__hip_bfloat16fLi2ELi192ELb0ELb0EEvPKT_PKfPKi31ggml_cuda_mm_fusion_args_devicePfi15HIP_vector_typeIjLj3EEiiiSB_iiiSB_iiii
                                        ; -- End function
	.set _ZL13mul_mat_vec_fI14__hip_bfloat16fLi2ELi192ELb0ELb0EEvPKT_PKfPKi31ggml_cuda_mm_fusion_args_devicePfi15HIP_vector_typeIjLj3EEiiiSB_iiiSB_iiii.num_vgpr, 15
	.set _ZL13mul_mat_vec_fI14__hip_bfloat16fLi2ELi192ELb0ELb0EEvPKT_PKfPKi31ggml_cuda_mm_fusion_args_devicePfi15HIP_vector_typeIjLj3EEiiiSB_iiiSB_iiii.num_agpr, 0
	.set _ZL13mul_mat_vec_fI14__hip_bfloat16fLi2ELi192ELb0ELb0EEvPKT_PKfPKi31ggml_cuda_mm_fusion_args_devicePfi15HIP_vector_typeIjLj3EEiiiSB_iiiSB_iiii.numbered_sgpr, 32
	.set _ZL13mul_mat_vec_fI14__hip_bfloat16fLi2ELi192ELb0ELb0EEvPKT_PKfPKi31ggml_cuda_mm_fusion_args_devicePfi15HIP_vector_typeIjLj3EEiiiSB_iiiSB_iiii.num_named_barrier, 0
	.set _ZL13mul_mat_vec_fI14__hip_bfloat16fLi2ELi192ELb0ELb0EEvPKT_PKfPKi31ggml_cuda_mm_fusion_args_devicePfi15HIP_vector_typeIjLj3EEiiiSB_iiiSB_iiii.private_seg_size, 0
	.set _ZL13mul_mat_vec_fI14__hip_bfloat16fLi2ELi192ELb0ELb0EEvPKT_PKfPKi31ggml_cuda_mm_fusion_args_devicePfi15HIP_vector_typeIjLj3EEiiiSB_iiiSB_iiii.uses_vcc, 1
	.set _ZL13mul_mat_vec_fI14__hip_bfloat16fLi2ELi192ELb0ELb0EEvPKT_PKfPKi31ggml_cuda_mm_fusion_args_devicePfi15HIP_vector_typeIjLj3EEiiiSB_iiiSB_iiii.uses_flat_scratch, 0
	.set _ZL13mul_mat_vec_fI14__hip_bfloat16fLi2ELi192ELb0ELb0EEvPKT_PKfPKi31ggml_cuda_mm_fusion_args_devicePfi15HIP_vector_typeIjLj3EEiiiSB_iiiSB_iiii.has_dyn_sized_stack, 0
	.set _ZL13mul_mat_vec_fI14__hip_bfloat16fLi2ELi192ELb0ELb0EEvPKT_PKfPKi31ggml_cuda_mm_fusion_args_devicePfi15HIP_vector_typeIjLj3EEiiiSB_iiiSB_iiii.has_recursion, 0
	.set _ZL13mul_mat_vec_fI14__hip_bfloat16fLi2ELi192ELb0ELb0EEvPKT_PKfPKi31ggml_cuda_mm_fusion_args_devicePfi15HIP_vector_typeIjLj3EEiiiSB_iiiSB_iiii.has_indirect_call, 0
	.section	.AMDGPU.csdata,"",@progbits
; Kernel info:
; codeLenInByte = 1380
; TotalNumSgprs: 34
; NumVgprs: 15
; ScratchSize: 0
; MemoryBound: 0
; FloatMode: 240
; IeeeMode: 1
; LDSByteSize: 0 bytes/workgroup (compile time only)
; SGPRBlocks: 0
; VGPRBlocks: 1
; NumSGPRsForWavesPerEU: 34
; NumVGPRsForWavesPerEU: 15
; Occupancy: 16
; WaveLimiterHint : 0
; COMPUTE_PGM_RSRC2:SCRATCH_EN: 0
; COMPUTE_PGM_RSRC2:USER_SGPR: 6
; COMPUTE_PGM_RSRC2:TRAP_HANDLER: 0
; COMPUTE_PGM_RSRC2:TGID_X_EN: 1
; COMPUTE_PGM_RSRC2:TGID_Y_EN: 1
; COMPUTE_PGM_RSRC2:TGID_Z_EN: 1
; COMPUTE_PGM_RSRC2:TIDIG_COMP_CNT: 0
	.section	.text._ZL13mul_mat_vec_fI14__hip_bfloat16fLi2ELi224ELb0ELb0EEvPKT_PKfPKi31ggml_cuda_mm_fusion_args_devicePfi15HIP_vector_typeIjLj3EEiiiSB_iiiSB_iiii,"axG",@progbits,_ZL13mul_mat_vec_fI14__hip_bfloat16fLi2ELi224ELb0ELb0EEvPKT_PKfPKi31ggml_cuda_mm_fusion_args_devicePfi15HIP_vector_typeIjLj3EEiiiSB_iiiSB_iiii,comdat
	.globl	_ZL13mul_mat_vec_fI14__hip_bfloat16fLi2ELi224ELb0ELb0EEvPKT_PKfPKi31ggml_cuda_mm_fusion_args_devicePfi15HIP_vector_typeIjLj3EEiiiSB_iiiSB_iiii ; -- Begin function _ZL13mul_mat_vec_fI14__hip_bfloat16fLi2ELi224ELb0ELb0EEvPKT_PKfPKi31ggml_cuda_mm_fusion_args_devicePfi15HIP_vector_typeIjLj3EEiiiSB_iiiSB_iiii
	.p2align	8
	.type	_ZL13mul_mat_vec_fI14__hip_bfloat16fLi2ELi224ELb0ELb0EEvPKT_PKfPKi31ggml_cuda_mm_fusion_args_devicePfi15HIP_vector_typeIjLj3EEiiiSB_iiiSB_iiii,@function
_ZL13mul_mat_vec_fI14__hip_bfloat16fLi2ELi224ELb0ELb0EEvPKT_PKfPKi31ggml_cuda_mm_fusion_args_devicePfi15HIP_vector_typeIjLj3EEiiiSB_iiiSB_iiii: ; @_ZL13mul_mat_vec_fI14__hip_bfloat16fLi2ELi224ELb0ELb0EEvPKT_PKfPKi31ggml_cuda_mm_fusion_args_devicePfi15HIP_vector_typeIjLj3EEiiiSB_iiiSB_iiii
; %bb.0:
	s_clause 0x2
	s_load_dwordx2 s[0:1], s[4:5], 0x10
	s_load_dwordx8 s[12:19], s[4:5], 0x40
	s_load_dwordx4 s[20:23], s[4:5], 0x80
	s_waitcnt lgkmcnt(0)
	s_cmp_eq_u64 s[0:1], 0
	s_cselect_b32 s10, -1, 0
	s_cmp_lg_u64 s[0:1], 0
	s_cselect_b32 s9, -1, 0
	s_and_b32 vcc_lo, exec_lo, s10
	s_cbranch_vccnz .LBB302_2
; %bb.1:
	s_mul_i32 s2, s23, s8
	s_mov_b32 s3, 0
	s_add_i32 s2, s2, s7
	s_lshl_b64 s[24:25], s[2:3], 2
	s_add_u32 s0, s0, s24
	s_addc_u32 s1, s1, s25
	s_load_dword s19, s[0:1], 0x0
	s_cbranch_execz .LBB302_3
	s_branch .LBB302_4
.LBB302_2:
                                        ; implicit-def: $sgpr19
.LBB302_3:
	s_load_dwordx2 s[0:1], s[4:5], 0x5c
	s_waitcnt lgkmcnt(0)
	s_mul_hi_u32 s0, s0, s7
	s_add_i32 s0, s7, s0
	s_lshr_b32 s19, s0, s1
.LBB302_4:
	s_load_dwordx4 s[24:27], s[4:5], 0x68
	s_andn2_b32 vcc_lo, exec_lo, s9
	s_mov_b32 s23, s7
	s_cbranch_vccnz .LBB302_6
; %bb.5:
	s_mul_hi_u32 s0, s13, s7
	s_add_i32 s0, s7, s0
	s_lshr_b32 s0, s0, s14
	s_mul_i32 s0, s0, s15
	s_sub_i32 s23, s7, s0
.LBB302_6:
	s_load_dword s9, s[4:5], 0x78
	v_cmp_gt_u32_e32 vcc_lo, 32, v0
	v_lshl_add_u32 v5, v0, 2, 0
	s_and_saveexec_b32 s0, vcc_lo
; %bb.7:
	v_mov_b32_e32 v1, 0
	ds_write_b32 v5, v1
; %bb.8:
	s_or_b32 exec_lo, exec_lo, s0
	v_mov_b32_e32 v7, 0
	v_mov_b32_e32 v6, 0
	s_and_b32 s0, exec_lo, s10
	s_mov_b32 s11, 0
	s_cselect_b32 s10, s8, 0
	s_mov_b32 s13, exec_lo
	s_waitcnt lgkmcnt(0)
	s_barrier
	buffer_gl0_inv
	v_cmpx_gt_i32_e64 s12, v0
	s_cbranch_execz .LBB302_12
; %bb.9:
	s_load_dwordx4 s[0:3], s[4:5], 0x0
	s_mul_hi_u32 s8, s27, s10
	s_mul_i32 s16, s16, s6
	s_add_i32 s8, s10, s8
	s_mul_i32 s14, s19, s24
	s_ashr_i32 s29, s17, 31
	s_mov_b32 s28, s17
	s_ashr_i32 s17, s16, 31
	s_lshr_b32 s19, s8, s9
	s_ashr_i32 s15, s14, 31
	s_mul_i32 s24, s23, s25
	s_lshl_b64 s[8:9], s[16:17], 1
	s_mul_hi_i32 s17, s19, s20
	s_mul_i32 s16, s19, s20
	s_lshl_b64 s[14:15], s[14:15], 1
	s_ashr_i32 s25, s24, 31
	s_lshl_b64 s[16:17], s[16:17], 1
	s_mul_hi_i32 s31, s10, s21
	s_mul_i32 s30, s10, s21
	v_lshlrev_b32_e32 v2, 3, v0
	s_waitcnt lgkmcnt(0)
	s_add_u32 s0, s0, s14
	s_addc_u32 s1, s1, s15
	s_add_u32 s0, s0, s8
	s_addc_u32 s1, s1, s9
	;; [unrolled: 2-line block ×3, first 2 shown]
	s_lshl_b64 s[14:15], s[24:25], 2
	s_lshl_b64 s[8:9], s[28:29], 3
	;; [unrolled: 1-line block ×3, first 2 shown]
	s_add_u32 s2, s2, s14
	s_addc_u32 s3, s3, s15
	v_lshlrev_b32_e32 v1, 2, v0
	s_add_u32 s0, s2, s0
	s_addc_u32 s1, s3, s1
	v_add_co_u32 v3, s0, s0, v2
	v_add_co_ci_u32_e64 v4, null, s1, 0, s0
	v_add_co_u32 v1, s0, s16, v1
	v_add_co_ci_u32_e64 v2, null, s17, 0, s0
	v_add_co_u32 v3, s0, v3, 4
	v_mov_b32_e32 v6, 0
	v_add_co_ci_u32_e64 v4, null, 0, v4, s0
	v_mov_b32_e32 v8, v0
	v_mov_b32_e32 v7, 0
	s_inst_prefetch 0x1
	.p2align	6
.LBB302_10:                             ; =>This Inner Loop Header: Depth=1
	v_add_co_u32 v9, s0, v3, s8
	global_load_dword v13, v[1:2], off
	v_add_co_ci_u32_e64 v10, null, s9, v4, s0
	v_add_nc_u32_e32 v8, 0xe0, v8
	s_clause 0x1
	global_load_dwordx2 v[11:12], v[3:4], off offset:-4
	global_load_dwordx2 v[9:10], v[9:10], off offset:-4
	v_add_co_u32 v1, s0, 0x380, v1
	v_add_co_ci_u32_e64 v2, null, 0, v2, s0
	v_cmp_le_i32_e64 s0, s12, v8
	v_add_co_u32 v3, s1, 0x700, v3
	v_add_co_ci_u32_e64 v4, null, 0, v4, s1
	s_or_b32 s11, s0, s11
	s_waitcnt vmcnt(2)
	v_lshlrev_b32_e32 v14, 16, v13
	v_and_b32_e32 v13, 0xffff0000, v13
	s_waitcnt vmcnt(1)
	v_fmac_f32_e32 v6, v11, v14
	s_waitcnt vmcnt(0)
	v_fmac_f32_e32 v7, v9, v14
	v_fmac_f32_e32 v6, v12, v13
	;; [unrolled: 1-line block ×3, first 2 shown]
	s_andn2_b32 exec_lo, exec_lo, s11
	s_cbranch_execnz .LBB302_10
; %bb.11:
	s_inst_prefetch 0x2
	s_or_b32 exec_lo, exec_lo, s11
.LBB302_12:
	s_or_b32 exec_lo, exec_lo, s13
	v_mbcnt_lo_u32_b32 v2, -1, 0
	v_xor_b32_e32 v1, 16, v2
	v_xor_b32_e32 v3, 8, v2
	v_cmp_gt_i32_e64 s0, 32, v1
	v_cndmask_b32_e64 v1, v2, v1, s0
	v_cmp_gt_i32_e64 s0, 32, v3
	v_lshlrev_b32_e32 v1, 2, v1
	v_cndmask_b32_e64 v3, v2, v3, s0
	ds_bpermute_b32 v4, v1, v6
	v_lshlrev_b32_e32 v3, 2, v3
	s_waitcnt lgkmcnt(0)
	v_add_f32_e32 v6, v6, v4
	v_xor_b32_e32 v4, 4, v2
	ds_bpermute_b32 v8, v3, v6
	v_cmp_gt_i32_e64 s0, 32, v4
	v_cndmask_b32_e64 v4, v2, v4, s0
	v_lshlrev_b32_e32 v4, 2, v4
	s_waitcnt lgkmcnt(0)
	v_add_f32_e32 v8, v6, v8
	v_xor_b32_e32 v6, 2, v2
	ds_bpermute_b32 v9, v4, v8
	v_cmp_gt_i32_e64 s0, 32, v6
	v_cndmask_b32_e64 v6, v2, v6, s0
	;; [unrolled: 7-line block ×3, first 2 shown]
	v_lshlrev_b32_e32 v8, 2, v2
	s_waitcnt lgkmcnt(0)
	v_add_f32_e32 v2, v9, v10
	v_lshrrev_b32_e32 v9, 3, v0
	ds_bpermute_b32 v10, v8, v2
	v_and_b32_e32 v9, 0x7c, v9
	v_add_nc_u32_e32 v9, 0, v9
	s_waitcnt lgkmcnt(0)
	v_add_f32_e32 v2, v2, v10
	ds_write_b32 v9, v2
	s_waitcnt lgkmcnt(0)
	s_barrier
	buffer_gl0_inv
	s_and_saveexec_b32 s0, vcc_lo
	s_cbranch_execz .LBB302_14
; %bb.13:
	ds_read_b32 v2, v5
	s_waitcnt lgkmcnt(0)
	ds_bpermute_b32 v10, v1, v2
	s_waitcnt lgkmcnt(0)
	v_add_f32_e32 v2, v2, v10
	ds_bpermute_b32 v10, v3, v2
	s_waitcnt lgkmcnt(0)
	v_add_f32_e32 v2, v2, v10
	;; [unrolled: 3-line block ×5, first 2 shown]
.LBB302_14:
	s_or_b32 exec_lo, exec_lo, s0
	ds_bpermute_b32 v10, v1, v7
	s_waitcnt lgkmcnt(0)
	s_barrier
	buffer_gl0_inv
	v_add_f32_e32 v7, v7, v10
	ds_bpermute_b32 v10, v3, v7
	s_waitcnt lgkmcnt(0)
	v_add_f32_e32 v7, v7, v10
	ds_bpermute_b32 v10, v4, v7
	s_waitcnt lgkmcnt(0)
	;; [unrolled: 3-line block ×4, first 2 shown]
	v_add_f32_e32 v7, v7, v10
	ds_write_b32 v9, v7
	s_waitcnt lgkmcnt(0)
	s_barrier
	buffer_gl0_inv
	s_and_saveexec_b32 s0, vcc_lo
	s_cbranch_execz .LBB302_16
; %bb.15:
	ds_read_b32 v5, v5
	s_waitcnt lgkmcnt(0)
	ds_bpermute_b32 v1, v1, v5
	s_waitcnt lgkmcnt(0)
	v_add_f32_e32 v1, v5, v1
	ds_bpermute_b32 v3, v3, v1
	s_waitcnt lgkmcnt(0)
	v_add_f32_e32 v1, v1, v3
	ds_bpermute_b32 v3, v4, v1
	s_waitcnt lgkmcnt(0)
	v_add_f32_e32 v1, v1, v3
	ds_bpermute_b32 v3, v6, v1
	s_waitcnt lgkmcnt(0)
	v_add_f32_e32 v1, v1, v3
	ds_bpermute_b32 v3, v8, v1
	s_waitcnt lgkmcnt(0)
	v_add_f32_e32 v7, v1, v3
.LBB302_16:
	s_or_b32 exec_lo, exec_lo, s0
	s_barrier
	buffer_gl0_inv
	s_mov_b32 s0, exec_lo
	v_cmpx_gt_u32_e32 2, v0
	s_cbranch_execz .LBB302_18
; %bb.17:
	s_load_dwordx2 s[0:1], s[4:5], 0x38
	v_mad_u64_u32 v[3:4], null, s18, v0, s[6:7]
	s_mul_hi_i32 s3, s22, s10
	s_mul_i32 s2, s22, s10
	s_mul_i32 s4, s26, s7
	s_lshl_b64 s[2:3], s[2:3], 2
	s_ashr_i32 s5, s4, 31
	v_cmp_eq_u32_e32 vcc_lo, 1, v0
	v_ashrrev_i32_e32 v4, 31, v3
	v_cndmask_b32_e32 v2, v2, v7, vcc_lo
	v_lshlrev_b64 v[3:4], 2, v[3:4]
	s_waitcnt lgkmcnt(0)
	s_add_u32 s2, s0, s2
	s_addc_u32 s3, s1, s3
	s_lshl_b64 s[0:1], s[4:5], 2
	s_add_u32 s0, s2, s0
	s_addc_u32 s1, s3, s1
	v_add_co_u32 v0, vcc_lo, s0, v3
	v_add_co_ci_u32_e64 v1, null, s1, v4, vcc_lo
	global_store_dword v[0:1], v2, off
.LBB302_18:
	s_endpgm
	.section	.rodata,"a",@progbits
	.p2align	6, 0x0
	.amdhsa_kernel _ZL13mul_mat_vec_fI14__hip_bfloat16fLi2ELi224ELb0ELb0EEvPKT_PKfPKi31ggml_cuda_mm_fusion_args_devicePfi15HIP_vector_typeIjLj3EEiiiSB_iiiSB_iiii
		.amdhsa_group_segment_fixed_size 0
		.amdhsa_private_segment_fixed_size 0
		.amdhsa_kernarg_size 144
		.amdhsa_user_sgpr_count 6
		.amdhsa_user_sgpr_private_segment_buffer 1
		.amdhsa_user_sgpr_dispatch_ptr 0
		.amdhsa_user_sgpr_queue_ptr 0
		.amdhsa_user_sgpr_kernarg_segment_ptr 1
		.amdhsa_user_sgpr_dispatch_id 0
		.amdhsa_user_sgpr_flat_scratch_init 0
		.amdhsa_user_sgpr_private_segment_size 0
		.amdhsa_wavefront_size32 1
		.amdhsa_uses_dynamic_stack 0
		.amdhsa_system_sgpr_private_segment_wavefront_offset 0
		.amdhsa_system_sgpr_workgroup_id_x 1
		.amdhsa_system_sgpr_workgroup_id_y 1
		.amdhsa_system_sgpr_workgroup_id_z 1
		.amdhsa_system_sgpr_workgroup_info 0
		.amdhsa_system_vgpr_workitem_id 0
		.amdhsa_next_free_vgpr 15
		.amdhsa_next_free_sgpr 32
		.amdhsa_reserve_vcc 1
		.amdhsa_reserve_flat_scratch 0
		.amdhsa_float_round_mode_32 0
		.amdhsa_float_round_mode_16_64 0
		.amdhsa_float_denorm_mode_32 3
		.amdhsa_float_denorm_mode_16_64 3
		.amdhsa_dx10_clamp 1
		.amdhsa_ieee_mode 1
		.amdhsa_fp16_overflow 0
		.amdhsa_workgroup_processor_mode 1
		.amdhsa_memory_ordered 1
		.amdhsa_forward_progress 1
		.amdhsa_shared_vgpr_count 0
		.amdhsa_exception_fp_ieee_invalid_op 0
		.amdhsa_exception_fp_denorm_src 0
		.amdhsa_exception_fp_ieee_div_zero 0
		.amdhsa_exception_fp_ieee_overflow 0
		.amdhsa_exception_fp_ieee_underflow 0
		.amdhsa_exception_fp_ieee_inexact 0
		.amdhsa_exception_int_div_zero 0
	.end_amdhsa_kernel
	.section	.text._ZL13mul_mat_vec_fI14__hip_bfloat16fLi2ELi224ELb0ELb0EEvPKT_PKfPKi31ggml_cuda_mm_fusion_args_devicePfi15HIP_vector_typeIjLj3EEiiiSB_iiiSB_iiii,"axG",@progbits,_ZL13mul_mat_vec_fI14__hip_bfloat16fLi2ELi224ELb0ELb0EEvPKT_PKfPKi31ggml_cuda_mm_fusion_args_devicePfi15HIP_vector_typeIjLj3EEiiiSB_iiiSB_iiii,comdat
.Lfunc_end302:
	.size	_ZL13mul_mat_vec_fI14__hip_bfloat16fLi2ELi224ELb0ELb0EEvPKT_PKfPKi31ggml_cuda_mm_fusion_args_devicePfi15HIP_vector_typeIjLj3EEiiiSB_iiiSB_iiii, .Lfunc_end302-_ZL13mul_mat_vec_fI14__hip_bfloat16fLi2ELi224ELb0ELb0EEvPKT_PKfPKi31ggml_cuda_mm_fusion_args_devicePfi15HIP_vector_typeIjLj3EEiiiSB_iiiSB_iiii
                                        ; -- End function
	.set _ZL13mul_mat_vec_fI14__hip_bfloat16fLi2ELi224ELb0ELb0EEvPKT_PKfPKi31ggml_cuda_mm_fusion_args_devicePfi15HIP_vector_typeIjLj3EEiiiSB_iiiSB_iiii.num_vgpr, 15
	.set _ZL13mul_mat_vec_fI14__hip_bfloat16fLi2ELi224ELb0ELb0EEvPKT_PKfPKi31ggml_cuda_mm_fusion_args_devicePfi15HIP_vector_typeIjLj3EEiiiSB_iiiSB_iiii.num_agpr, 0
	.set _ZL13mul_mat_vec_fI14__hip_bfloat16fLi2ELi224ELb0ELb0EEvPKT_PKfPKi31ggml_cuda_mm_fusion_args_devicePfi15HIP_vector_typeIjLj3EEiiiSB_iiiSB_iiii.numbered_sgpr, 32
	.set _ZL13mul_mat_vec_fI14__hip_bfloat16fLi2ELi224ELb0ELb0EEvPKT_PKfPKi31ggml_cuda_mm_fusion_args_devicePfi15HIP_vector_typeIjLj3EEiiiSB_iiiSB_iiii.num_named_barrier, 0
	.set _ZL13mul_mat_vec_fI14__hip_bfloat16fLi2ELi224ELb0ELb0EEvPKT_PKfPKi31ggml_cuda_mm_fusion_args_devicePfi15HIP_vector_typeIjLj3EEiiiSB_iiiSB_iiii.private_seg_size, 0
	.set _ZL13mul_mat_vec_fI14__hip_bfloat16fLi2ELi224ELb0ELb0EEvPKT_PKfPKi31ggml_cuda_mm_fusion_args_devicePfi15HIP_vector_typeIjLj3EEiiiSB_iiiSB_iiii.uses_vcc, 1
	.set _ZL13mul_mat_vec_fI14__hip_bfloat16fLi2ELi224ELb0ELb0EEvPKT_PKfPKi31ggml_cuda_mm_fusion_args_devicePfi15HIP_vector_typeIjLj3EEiiiSB_iiiSB_iiii.uses_flat_scratch, 0
	.set _ZL13mul_mat_vec_fI14__hip_bfloat16fLi2ELi224ELb0ELb0EEvPKT_PKfPKi31ggml_cuda_mm_fusion_args_devicePfi15HIP_vector_typeIjLj3EEiiiSB_iiiSB_iiii.has_dyn_sized_stack, 0
	.set _ZL13mul_mat_vec_fI14__hip_bfloat16fLi2ELi224ELb0ELb0EEvPKT_PKfPKi31ggml_cuda_mm_fusion_args_devicePfi15HIP_vector_typeIjLj3EEiiiSB_iiiSB_iiii.has_recursion, 0
	.set _ZL13mul_mat_vec_fI14__hip_bfloat16fLi2ELi224ELb0ELb0EEvPKT_PKfPKi31ggml_cuda_mm_fusion_args_devicePfi15HIP_vector_typeIjLj3EEiiiSB_iiiSB_iiii.has_indirect_call, 0
	.section	.AMDGPU.csdata,"",@progbits
; Kernel info:
; codeLenInByte = 1380
; TotalNumSgprs: 34
; NumVgprs: 15
; ScratchSize: 0
; MemoryBound: 0
; FloatMode: 240
; IeeeMode: 1
; LDSByteSize: 0 bytes/workgroup (compile time only)
; SGPRBlocks: 0
; VGPRBlocks: 1
; NumSGPRsForWavesPerEU: 34
; NumVGPRsForWavesPerEU: 15
; Occupancy: 16
; WaveLimiterHint : 0
; COMPUTE_PGM_RSRC2:SCRATCH_EN: 0
; COMPUTE_PGM_RSRC2:USER_SGPR: 6
; COMPUTE_PGM_RSRC2:TRAP_HANDLER: 0
; COMPUTE_PGM_RSRC2:TGID_X_EN: 1
; COMPUTE_PGM_RSRC2:TGID_Y_EN: 1
; COMPUTE_PGM_RSRC2:TGID_Z_EN: 1
; COMPUTE_PGM_RSRC2:TIDIG_COMP_CNT: 0
	.section	.text._ZL13mul_mat_vec_fI14__hip_bfloat16fLi2ELi256ELb0ELb0EEvPKT_PKfPKi31ggml_cuda_mm_fusion_args_devicePfi15HIP_vector_typeIjLj3EEiiiSB_iiiSB_iiii,"axG",@progbits,_ZL13mul_mat_vec_fI14__hip_bfloat16fLi2ELi256ELb0ELb0EEvPKT_PKfPKi31ggml_cuda_mm_fusion_args_devicePfi15HIP_vector_typeIjLj3EEiiiSB_iiiSB_iiii,comdat
	.globl	_ZL13mul_mat_vec_fI14__hip_bfloat16fLi2ELi256ELb0ELb0EEvPKT_PKfPKi31ggml_cuda_mm_fusion_args_devicePfi15HIP_vector_typeIjLj3EEiiiSB_iiiSB_iiii ; -- Begin function _ZL13mul_mat_vec_fI14__hip_bfloat16fLi2ELi256ELb0ELb0EEvPKT_PKfPKi31ggml_cuda_mm_fusion_args_devicePfi15HIP_vector_typeIjLj3EEiiiSB_iiiSB_iiii
	.p2align	8
	.type	_ZL13mul_mat_vec_fI14__hip_bfloat16fLi2ELi256ELb0ELb0EEvPKT_PKfPKi31ggml_cuda_mm_fusion_args_devicePfi15HIP_vector_typeIjLj3EEiiiSB_iiiSB_iiii,@function
_ZL13mul_mat_vec_fI14__hip_bfloat16fLi2ELi256ELb0ELb0EEvPKT_PKfPKi31ggml_cuda_mm_fusion_args_devicePfi15HIP_vector_typeIjLj3EEiiiSB_iiiSB_iiii: ; @_ZL13mul_mat_vec_fI14__hip_bfloat16fLi2ELi256ELb0ELb0EEvPKT_PKfPKi31ggml_cuda_mm_fusion_args_devicePfi15HIP_vector_typeIjLj3EEiiiSB_iiiSB_iiii
; %bb.0:
	s_clause 0x2
	s_load_dwordx2 s[0:1], s[4:5], 0x10
	s_load_dwordx8 s[12:19], s[4:5], 0x40
	s_load_dwordx4 s[20:23], s[4:5], 0x80
	s_waitcnt lgkmcnt(0)
	s_cmp_eq_u64 s[0:1], 0
	s_cselect_b32 s10, -1, 0
	s_cmp_lg_u64 s[0:1], 0
	s_cselect_b32 s9, -1, 0
	s_and_b32 vcc_lo, exec_lo, s10
	s_cbranch_vccnz .LBB303_2
; %bb.1:
	s_mul_i32 s2, s23, s8
	s_mov_b32 s3, 0
	s_add_i32 s2, s2, s7
	s_lshl_b64 s[24:25], s[2:3], 2
	s_add_u32 s0, s0, s24
	s_addc_u32 s1, s1, s25
	s_load_dword s19, s[0:1], 0x0
	s_cbranch_execz .LBB303_3
	s_branch .LBB303_4
.LBB303_2:
                                        ; implicit-def: $sgpr19
.LBB303_3:
	s_load_dwordx2 s[0:1], s[4:5], 0x5c
	s_waitcnt lgkmcnt(0)
	s_mul_hi_u32 s0, s0, s7
	s_add_i32 s0, s7, s0
	s_lshr_b32 s19, s0, s1
.LBB303_4:
	s_load_dwordx4 s[24:27], s[4:5], 0x68
	s_andn2_b32 vcc_lo, exec_lo, s9
	s_mov_b32 s23, s7
	s_cbranch_vccnz .LBB303_6
; %bb.5:
	s_mul_hi_u32 s0, s13, s7
	s_add_i32 s0, s7, s0
	s_lshr_b32 s0, s0, s14
	s_mul_i32 s0, s0, s15
	s_sub_i32 s23, s7, s0
.LBB303_6:
	s_load_dword s9, s[4:5], 0x78
	v_cmp_gt_u32_e32 vcc_lo, 32, v0
	v_lshl_add_u32 v5, v0, 2, 0
	s_and_saveexec_b32 s0, vcc_lo
; %bb.7:
	v_mov_b32_e32 v1, 0
	ds_write_b32 v5, v1
; %bb.8:
	s_or_b32 exec_lo, exec_lo, s0
	v_mov_b32_e32 v7, 0
	v_mov_b32_e32 v6, 0
	s_and_b32 s0, exec_lo, s10
	s_mov_b32 s11, 0
	s_cselect_b32 s10, s8, 0
	s_mov_b32 s13, exec_lo
	s_waitcnt lgkmcnt(0)
	s_barrier
	buffer_gl0_inv
	v_cmpx_gt_i32_e64 s12, v0
	s_cbranch_execz .LBB303_12
; %bb.9:
	s_load_dwordx4 s[0:3], s[4:5], 0x0
	s_mul_hi_u32 s8, s27, s10
	s_mul_i32 s16, s16, s6
	s_add_i32 s8, s10, s8
	s_mul_i32 s14, s19, s24
	s_ashr_i32 s29, s17, 31
	s_mov_b32 s28, s17
	s_ashr_i32 s17, s16, 31
	s_lshr_b32 s19, s8, s9
	s_ashr_i32 s15, s14, 31
	s_mul_i32 s24, s23, s25
	s_lshl_b64 s[8:9], s[16:17], 1
	s_mul_hi_i32 s17, s19, s20
	s_mul_i32 s16, s19, s20
	s_lshl_b64 s[14:15], s[14:15], 1
	s_ashr_i32 s25, s24, 31
	s_lshl_b64 s[16:17], s[16:17], 1
	s_mul_hi_i32 s31, s10, s21
	s_mul_i32 s30, s10, s21
	v_lshlrev_b32_e32 v2, 3, v0
	s_waitcnt lgkmcnt(0)
	s_add_u32 s0, s0, s14
	s_addc_u32 s1, s1, s15
	s_add_u32 s0, s0, s8
	s_addc_u32 s1, s1, s9
	;; [unrolled: 2-line block ×3, first 2 shown]
	s_lshl_b64 s[14:15], s[24:25], 2
	s_lshl_b64 s[8:9], s[28:29], 3
	;; [unrolled: 1-line block ×3, first 2 shown]
	s_add_u32 s2, s2, s14
	s_addc_u32 s3, s3, s15
	v_lshlrev_b32_e32 v1, 2, v0
	s_add_u32 s0, s2, s0
	s_addc_u32 s1, s3, s1
	v_add_co_u32 v3, s0, s0, v2
	v_add_co_ci_u32_e64 v4, null, s1, 0, s0
	v_add_co_u32 v1, s0, s16, v1
	v_add_co_ci_u32_e64 v2, null, s17, 0, s0
	v_add_co_u32 v3, s0, v3, 4
	v_mov_b32_e32 v6, 0
	v_add_co_ci_u32_e64 v4, null, 0, v4, s0
	v_mov_b32_e32 v8, v0
	v_mov_b32_e32 v7, 0
	s_inst_prefetch 0x1
	.p2align	6
.LBB303_10:                             ; =>This Inner Loop Header: Depth=1
	v_add_co_u32 v9, s0, v3, s8
	global_load_dword v13, v[1:2], off
	v_add_co_ci_u32_e64 v10, null, s9, v4, s0
	v_add_nc_u32_e32 v8, 0x100, v8
	s_clause 0x1
	global_load_dwordx2 v[11:12], v[3:4], off offset:-4
	global_load_dwordx2 v[9:10], v[9:10], off offset:-4
	v_add_co_u32 v1, s0, 0x400, v1
	v_add_co_ci_u32_e64 v2, null, 0, v2, s0
	v_cmp_le_i32_e64 s0, s12, v8
	v_add_co_u32 v3, s1, 0x800, v3
	v_add_co_ci_u32_e64 v4, null, 0, v4, s1
	s_or_b32 s11, s0, s11
	s_waitcnt vmcnt(2)
	v_lshlrev_b32_e32 v14, 16, v13
	v_and_b32_e32 v13, 0xffff0000, v13
	s_waitcnt vmcnt(1)
	v_fmac_f32_e32 v6, v11, v14
	s_waitcnt vmcnt(0)
	v_fmac_f32_e32 v7, v9, v14
	v_fmac_f32_e32 v6, v12, v13
	;; [unrolled: 1-line block ×3, first 2 shown]
	s_andn2_b32 exec_lo, exec_lo, s11
	s_cbranch_execnz .LBB303_10
; %bb.11:
	s_inst_prefetch 0x2
	s_or_b32 exec_lo, exec_lo, s11
.LBB303_12:
	s_or_b32 exec_lo, exec_lo, s13
	v_mbcnt_lo_u32_b32 v2, -1, 0
	v_xor_b32_e32 v1, 16, v2
	v_xor_b32_e32 v3, 8, v2
	v_cmp_gt_i32_e64 s0, 32, v1
	v_cndmask_b32_e64 v1, v2, v1, s0
	v_cmp_gt_i32_e64 s0, 32, v3
	v_lshlrev_b32_e32 v1, 2, v1
	v_cndmask_b32_e64 v3, v2, v3, s0
	ds_bpermute_b32 v4, v1, v6
	v_lshlrev_b32_e32 v3, 2, v3
	s_waitcnt lgkmcnt(0)
	v_add_f32_e32 v6, v6, v4
	v_xor_b32_e32 v4, 4, v2
	ds_bpermute_b32 v8, v3, v6
	v_cmp_gt_i32_e64 s0, 32, v4
	v_cndmask_b32_e64 v4, v2, v4, s0
	v_lshlrev_b32_e32 v4, 2, v4
	s_waitcnt lgkmcnt(0)
	v_add_f32_e32 v8, v6, v8
	v_xor_b32_e32 v6, 2, v2
	ds_bpermute_b32 v9, v4, v8
	v_cmp_gt_i32_e64 s0, 32, v6
	v_cndmask_b32_e64 v6, v2, v6, s0
	;; [unrolled: 7-line block ×3, first 2 shown]
	v_lshlrev_b32_e32 v8, 2, v2
	s_waitcnt lgkmcnt(0)
	v_add_f32_e32 v2, v9, v10
	v_lshrrev_b32_e32 v9, 3, v0
	ds_bpermute_b32 v10, v8, v2
	v_and_b32_e32 v9, 0x7c, v9
	v_add_nc_u32_e32 v9, 0, v9
	s_waitcnt lgkmcnt(0)
	v_add_f32_e32 v2, v2, v10
	ds_write_b32 v9, v2
	s_waitcnt lgkmcnt(0)
	s_barrier
	buffer_gl0_inv
	s_and_saveexec_b32 s0, vcc_lo
	s_cbranch_execz .LBB303_14
; %bb.13:
	ds_read_b32 v2, v5
	s_waitcnt lgkmcnt(0)
	ds_bpermute_b32 v10, v1, v2
	s_waitcnt lgkmcnt(0)
	v_add_f32_e32 v2, v2, v10
	ds_bpermute_b32 v10, v3, v2
	s_waitcnt lgkmcnt(0)
	v_add_f32_e32 v2, v2, v10
	ds_bpermute_b32 v10, v4, v2
	s_waitcnt lgkmcnt(0)
	v_add_f32_e32 v2, v2, v10
	ds_bpermute_b32 v10, v6, v2
	s_waitcnt lgkmcnt(0)
	v_add_f32_e32 v2, v2, v10
	ds_bpermute_b32 v10, v8, v2
	s_waitcnt lgkmcnt(0)
	v_add_f32_e32 v2, v2, v10
.LBB303_14:
	s_or_b32 exec_lo, exec_lo, s0
	ds_bpermute_b32 v10, v1, v7
	s_waitcnt lgkmcnt(0)
	s_barrier
	buffer_gl0_inv
	v_add_f32_e32 v7, v7, v10
	ds_bpermute_b32 v10, v3, v7
	s_waitcnt lgkmcnt(0)
	v_add_f32_e32 v7, v7, v10
	ds_bpermute_b32 v10, v4, v7
	s_waitcnt lgkmcnt(0)
	;; [unrolled: 3-line block ×4, first 2 shown]
	v_add_f32_e32 v7, v7, v10
	ds_write_b32 v9, v7
	s_waitcnt lgkmcnt(0)
	s_barrier
	buffer_gl0_inv
	s_and_saveexec_b32 s0, vcc_lo
	s_cbranch_execz .LBB303_16
; %bb.15:
	ds_read_b32 v5, v5
	s_waitcnt lgkmcnt(0)
	ds_bpermute_b32 v1, v1, v5
	s_waitcnt lgkmcnt(0)
	v_add_f32_e32 v1, v5, v1
	ds_bpermute_b32 v3, v3, v1
	s_waitcnt lgkmcnt(0)
	v_add_f32_e32 v1, v1, v3
	;; [unrolled: 3-line block ×5, first 2 shown]
.LBB303_16:
	s_or_b32 exec_lo, exec_lo, s0
	s_barrier
	buffer_gl0_inv
	s_mov_b32 s0, exec_lo
	v_cmpx_gt_u32_e32 2, v0
	s_cbranch_execz .LBB303_18
; %bb.17:
	s_load_dwordx2 s[0:1], s[4:5], 0x38
	v_mad_u64_u32 v[3:4], null, s18, v0, s[6:7]
	s_mul_hi_i32 s3, s22, s10
	s_mul_i32 s2, s22, s10
	s_mul_i32 s4, s26, s7
	s_lshl_b64 s[2:3], s[2:3], 2
	s_ashr_i32 s5, s4, 31
	v_cmp_eq_u32_e32 vcc_lo, 1, v0
	v_ashrrev_i32_e32 v4, 31, v3
	v_cndmask_b32_e32 v2, v2, v7, vcc_lo
	v_lshlrev_b64 v[3:4], 2, v[3:4]
	s_waitcnt lgkmcnt(0)
	s_add_u32 s2, s0, s2
	s_addc_u32 s3, s1, s3
	s_lshl_b64 s[0:1], s[4:5], 2
	s_add_u32 s0, s2, s0
	s_addc_u32 s1, s3, s1
	v_add_co_u32 v0, vcc_lo, s0, v3
	v_add_co_ci_u32_e64 v1, null, s1, v4, vcc_lo
	global_store_dword v[0:1], v2, off
.LBB303_18:
	s_endpgm
	.section	.rodata,"a",@progbits
	.p2align	6, 0x0
	.amdhsa_kernel _ZL13mul_mat_vec_fI14__hip_bfloat16fLi2ELi256ELb0ELb0EEvPKT_PKfPKi31ggml_cuda_mm_fusion_args_devicePfi15HIP_vector_typeIjLj3EEiiiSB_iiiSB_iiii
		.amdhsa_group_segment_fixed_size 0
		.amdhsa_private_segment_fixed_size 0
		.amdhsa_kernarg_size 144
		.amdhsa_user_sgpr_count 6
		.amdhsa_user_sgpr_private_segment_buffer 1
		.amdhsa_user_sgpr_dispatch_ptr 0
		.amdhsa_user_sgpr_queue_ptr 0
		.amdhsa_user_sgpr_kernarg_segment_ptr 1
		.amdhsa_user_sgpr_dispatch_id 0
		.amdhsa_user_sgpr_flat_scratch_init 0
		.amdhsa_user_sgpr_private_segment_size 0
		.amdhsa_wavefront_size32 1
		.amdhsa_uses_dynamic_stack 0
		.amdhsa_system_sgpr_private_segment_wavefront_offset 0
		.amdhsa_system_sgpr_workgroup_id_x 1
		.amdhsa_system_sgpr_workgroup_id_y 1
		.amdhsa_system_sgpr_workgroup_id_z 1
		.amdhsa_system_sgpr_workgroup_info 0
		.amdhsa_system_vgpr_workitem_id 0
		.amdhsa_next_free_vgpr 15
		.amdhsa_next_free_sgpr 32
		.amdhsa_reserve_vcc 1
		.amdhsa_reserve_flat_scratch 0
		.amdhsa_float_round_mode_32 0
		.amdhsa_float_round_mode_16_64 0
		.amdhsa_float_denorm_mode_32 3
		.amdhsa_float_denorm_mode_16_64 3
		.amdhsa_dx10_clamp 1
		.amdhsa_ieee_mode 1
		.amdhsa_fp16_overflow 0
		.amdhsa_workgroup_processor_mode 1
		.amdhsa_memory_ordered 1
		.amdhsa_forward_progress 1
		.amdhsa_shared_vgpr_count 0
		.amdhsa_exception_fp_ieee_invalid_op 0
		.amdhsa_exception_fp_denorm_src 0
		.amdhsa_exception_fp_ieee_div_zero 0
		.amdhsa_exception_fp_ieee_overflow 0
		.amdhsa_exception_fp_ieee_underflow 0
		.amdhsa_exception_fp_ieee_inexact 0
		.amdhsa_exception_int_div_zero 0
	.end_amdhsa_kernel
	.section	.text._ZL13mul_mat_vec_fI14__hip_bfloat16fLi2ELi256ELb0ELb0EEvPKT_PKfPKi31ggml_cuda_mm_fusion_args_devicePfi15HIP_vector_typeIjLj3EEiiiSB_iiiSB_iiii,"axG",@progbits,_ZL13mul_mat_vec_fI14__hip_bfloat16fLi2ELi256ELb0ELb0EEvPKT_PKfPKi31ggml_cuda_mm_fusion_args_devicePfi15HIP_vector_typeIjLj3EEiiiSB_iiiSB_iiii,comdat
.Lfunc_end303:
	.size	_ZL13mul_mat_vec_fI14__hip_bfloat16fLi2ELi256ELb0ELb0EEvPKT_PKfPKi31ggml_cuda_mm_fusion_args_devicePfi15HIP_vector_typeIjLj3EEiiiSB_iiiSB_iiii, .Lfunc_end303-_ZL13mul_mat_vec_fI14__hip_bfloat16fLi2ELi256ELb0ELb0EEvPKT_PKfPKi31ggml_cuda_mm_fusion_args_devicePfi15HIP_vector_typeIjLj3EEiiiSB_iiiSB_iiii
                                        ; -- End function
	.set _ZL13mul_mat_vec_fI14__hip_bfloat16fLi2ELi256ELb0ELb0EEvPKT_PKfPKi31ggml_cuda_mm_fusion_args_devicePfi15HIP_vector_typeIjLj3EEiiiSB_iiiSB_iiii.num_vgpr, 15
	.set _ZL13mul_mat_vec_fI14__hip_bfloat16fLi2ELi256ELb0ELb0EEvPKT_PKfPKi31ggml_cuda_mm_fusion_args_devicePfi15HIP_vector_typeIjLj3EEiiiSB_iiiSB_iiii.num_agpr, 0
	.set _ZL13mul_mat_vec_fI14__hip_bfloat16fLi2ELi256ELb0ELb0EEvPKT_PKfPKi31ggml_cuda_mm_fusion_args_devicePfi15HIP_vector_typeIjLj3EEiiiSB_iiiSB_iiii.numbered_sgpr, 32
	.set _ZL13mul_mat_vec_fI14__hip_bfloat16fLi2ELi256ELb0ELb0EEvPKT_PKfPKi31ggml_cuda_mm_fusion_args_devicePfi15HIP_vector_typeIjLj3EEiiiSB_iiiSB_iiii.num_named_barrier, 0
	.set _ZL13mul_mat_vec_fI14__hip_bfloat16fLi2ELi256ELb0ELb0EEvPKT_PKfPKi31ggml_cuda_mm_fusion_args_devicePfi15HIP_vector_typeIjLj3EEiiiSB_iiiSB_iiii.private_seg_size, 0
	.set _ZL13mul_mat_vec_fI14__hip_bfloat16fLi2ELi256ELb0ELb0EEvPKT_PKfPKi31ggml_cuda_mm_fusion_args_devicePfi15HIP_vector_typeIjLj3EEiiiSB_iiiSB_iiii.uses_vcc, 1
	.set _ZL13mul_mat_vec_fI14__hip_bfloat16fLi2ELi256ELb0ELb0EEvPKT_PKfPKi31ggml_cuda_mm_fusion_args_devicePfi15HIP_vector_typeIjLj3EEiiiSB_iiiSB_iiii.uses_flat_scratch, 0
	.set _ZL13mul_mat_vec_fI14__hip_bfloat16fLi2ELi256ELb0ELb0EEvPKT_PKfPKi31ggml_cuda_mm_fusion_args_devicePfi15HIP_vector_typeIjLj3EEiiiSB_iiiSB_iiii.has_dyn_sized_stack, 0
	.set _ZL13mul_mat_vec_fI14__hip_bfloat16fLi2ELi256ELb0ELb0EEvPKT_PKfPKi31ggml_cuda_mm_fusion_args_devicePfi15HIP_vector_typeIjLj3EEiiiSB_iiiSB_iiii.has_recursion, 0
	.set _ZL13mul_mat_vec_fI14__hip_bfloat16fLi2ELi256ELb0ELb0EEvPKT_PKfPKi31ggml_cuda_mm_fusion_args_devicePfi15HIP_vector_typeIjLj3EEiiiSB_iiiSB_iiii.has_indirect_call, 0
	.section	.AMDGPU.csdata,"",@progbits
; Kernel info:
; codeLenInByte = 1380
; TotalNumSgprs: 34
; NumVgprs: 15
; ScratchSize: 0
; MemoryBound: 0
; FloatMode: 240
; IeeeMode: 1
; LDSByteSize: 0 bytes/workgroup (compile time only)
; SGPRBlocks: 0
; VGPRBlocks: 1
; NumSGPRsForWavesPerEU: 34
; NumVGPRsForWavesPerEU: 15
; Occupancy: 16
; WaveLimiterHint : 0
; COMPUTE_PGM_RSRC2:SCRATCH_EN: 0
; COMPUTE_PGM_RSRC2:USER_SGPR: 6
; COMPUTE_PGM_RSRC2:TRAP_HANDLER: 0
; COMPUTE_PGM_RSRC2:TGID_X_EN: 1
; COMPUTE_PGM_RSRC2:TGID_Y_EN: 1
; COMPUTE_PGM_RSRC2:TGID_Z_EN: 1
; COMPUTE_PGM_RSRC2:TIDIG_COMP_CNT: 0
	.section	.text._ZL13mul_mat_vec_fI14__hip_bfloat16fLi3ELi32ELb0ELb0EEvPKT_PKfPKi31ggml_cuda_mm_fusion_args_devicePfi15HIP_vector_typeIjLj3EEiiiSB_iiiSB_iiii,"axG",@progbits,_ZL13mul_mat_vec_fI14__hip_bfloat16fLi3ELi32ELb0ELb0EEvPKT_PKfPKi31ggml_cuda_mm_fusion_args_devicePfi15HIP_vector_typeIjLj3EEiiiSB_iiiSB_iiii,comdat
	.globl	_ZL13mul_mat_vec_fI14__hip_bfloat16fLi3ELi32ELb0ELb0EEvPKT_PKfPKi31ggml_cuda_mm_fusion_args_devicePfi15HIP_vector_typeIjLj3EEiiiSB_iiiSB_iiii ; -- Begin function _ZL13mul_mat_vec_fI14__hip_bfloat16fLi3ELi32ELb0ELb0EEvPKT_PKfPKi31ggml_cuda_mm_fusion_args_devicePfi15HIP_vector_typeIjLj3EEiiiSB_iiiSB_iiii
	.p2align	8
	.type	_ZL13mul_mat_vec_fI14__hip_bfloat16fLi3ELi32ELb0ELb0EEvPKT_PKfPKi31ggml_cuda_mm_fusion_args_devicePfi15HIP_vector_typeIjLj3EEiiiSB_iiiSB_iiii,@function
_ZL13mul_mat_vec_fI14__hip_bfloat16fLi3ELi32ELb0ELb0EEvPKT_PKfPKi31ggml_cuda_mm_fusion_args_devicePfi15HIP_vector_typeIjLj3EEiiiSB_iiiSB_iiii: ; @_ZL13mul_mat_vec_fI14__hip_bfloat16fLi3ELi32ELb0ELb0EEvPKT_PKfPKi31ggml_cuda_mm_fusion_args_devicePfi15HIP_vector_typeIjLj3EEiiiSB_iiiSB_iiii
; %bb.0:
	s_clause 0x2
	s_load_dwordx2 s[20:21], s[4:5], 0x10
	s_load_dwordx8 s[12:19], s[4:5], 0x40
	s_load_dwordx4 s[0:3], s[4:5], 0x80
	s_waitcnt lgkmcnt(0)
	s_cmp_eq_u64 s[20:21], 0
	s_cselect_b32 s9, -1, 0
	s_cmp_lg_u64 s[20:21], 0
	s_cselect_b32 s25, -1, 0
	s_and_b32 vcc_lo, exec_lo, s9
	s_cbranch_vccnz .LBB304_2
; %bb.1:
	s_mul_i32 s3, s3, s8
	s_mov_b32 s11, 0
	s_add_i32 s10, s3, s7
	s_lshl_b64 s[22:23], s[10:11], 2
	s_add_u32 s20, s20, s22
	s_addc_u32 s21, s21, s23
	s_load_dword s24, s[20:21], 0x0
	s_load_dwordx4 s[20:23], s[4:5], 0x68
	s_cbranch_execz .LBB304_3
	s_branch .LBB304_4
.LBB304_2:
                                        ; implicit-def: $sgpr24
	s_load_dwordx4 s[20:23], s[4:5], 0x68
.LBB304_3:
	s_load_dwordx2 s[10:11], s[4:5], 0x5c
	s_waitcnt lgkmcnt(0)
	s_mul_hi_u32 s3, s10, s7
	s_add_i32 s3, s7, s3
	s_lshr_b32 s24, s3, s11
.LBB304_4:
	s_load_dword s19, s[4:5], 0x78
	s_andn2_b32 vcc_lo, exec_lo, s25
	s_mov_b32 s25, s7
	s_cbranch_vccnz .LBB304_6
; %bb.5:
	s_mul_hi_u32 s3, s13, s7
	s_add_i32 s3, s7, s3
	s_lshr_b32 s3, s3, s14
	s_mul_i32 s3, s3, s15
	s_sub_i32 s25, s7, s3
.LBB304_6:
	v_mov_b32_e32 v6, 0
	v_mov_b32_e32 v7, 0
	;; [unrolled: 1-line block ×3, first 2 shown]
	s_and_b32 s3, exec_lo, s9
	s_mov_b32 s14, 0
	s_cselect_b32 s3, s8, 0
	s_mov_b32 s13, exec_lo
	v_cmpx_gt_i32_e64 s12, v0
	s_cbranch_execz .LBB304_10
; %bb.7:
	s_load_dwordx4 s[8:11], s[4:5], 0x0
	s_waitcnt lgkmcnt(0)
	s_mul_hi_u32 s15, s23, s3
	s_mul_hi_i32 s27, s1, s3
	s_mul_i32 s26, s1, s3
	s_mul_i32 s20, s24, s20
	;; [unrolled: 1-line block ×4, first 2 shown]
	s_add_i32 s1, s3, s15
	s_lshl_b64 s[26:27], s[26:27], 2
	s_ashr_i32 s21, s20, 31
	s_ashr_i32 s25, s24, 31
	;; [unrolled: 1-line block ×3, first 2 shown]
	s_lshr_b32 s15, s1, s19
	s_mov_b32 s30, s17
	s_mul_hi_i32 s1, s15, s0
	s_mul_i32 s0, s15, s0
	v_lshlrev_b32_e32 v2, 3, v0
	v_lshlrev_b32_e32 v1, 2, v0
	v_mov_b32_e32 v5, 0
	v_mov_b32_e32 v8, v0
	s_add_u32 s16, s10, s26
	s_addc_u32 s19, s11, s27
	s_lshl_b64 s[28:29], s[28:29], 2
	v_mov_b32_e32 v7, 0
	s_add_u32 s15, s16, s28
	s_addc_u32 s16, s19, s29
	s_lshl_b64 s[20:21], s[20:21], 1
	s_ashr_i32 s31, s17, 31
	s_add_i32 s17, s17, s17
	s_lshl_b64 s[0:1], s[0:1], 1
	s_lshl_b64 s[24:25], s[24:25], 1
	s_add_u32 s8, s8, s20
	s_addc_u32 s9, s9, s21
	s_add_u32 s8, s8, s24
	s_addc_u32 s9, s9, s25
	s_add_u32 s8, s8, s0
	s_addc_u32 s9, s9, s1
	s_lshl_b64 s[0:1], s[30:31], 3
	s_add_u32 s10, s10, s28
	s_addc_u32 s11, s11, s29
	s_add_u32 s10, s10, s26
	s_addc_u32 s11, s11, s27
	v_add_co_u32 v3, s10, s10, v2
	v_add_co_ci_u32_e64 v4, null, s11, 0, s10
	v_add_co_u32 v1, s8, s8, v1
	v_add_co_u32 v3, vcc_lo, v3, 4
	v_add_co_ci_u32_e64 v2, null, s9, 0, s8
	v_add_co_ci_u32_e64 v4, null, 0, v4, vcc_lo
	v_mov_b32_e32 v6, 0
	s_inst_prefetch 0x1
	.p2align	6
.LBB304_8:                              ; =>This Inner Loop Header: Depth=1
	v_add_nc_u32_e32 v9, s17, v8
	v_add_co_u32 v11, vcc_lo, v3, s0
	global_load_dword v15, v[1:2], off
	v_add_co_ci_u32_e64 v12, null, s1, v4, vcc_lo
	v_ashrrev_i32_e32 v10, 31, v9
	v_add_nc_u32_e32 v8, 32, v8
	v_lshlrev_b64 v[9:10], 3, v[9:10]
	v_add_co_u32 v9, vcc_lo, s15, v9
	v_add_co_ci_u32_e64 v10, null, s16, v10, vcc_lo
	s_clause 0x1
	global_load_dwordx2 v[13:14], v[3:4], off offset:-4
	global_load_dwordx2 v[11:12], v[11:12], off offset:-4
	global_load_dwordx2 v[9:10], v[9:10], off
	v_add_co_u32 v1, vcc_lo, 0x80, v1
	v_add_co_ci_u32_e64 v2, null, 0, v2, vcc_lo
	v_add_co_u32 v3, vcc_lo, 0x100, v3
	v_add_co_ci_u32_e64 v4, null, 0, v4, vcc_lo
	v_cmp_le_i32_e32 vcc_lo, s12, v8
	s_or_b32 s14, vcc_lo, s14
	s_waitcnt vmcnt(3)
	v_lshlrev_b32_e32 v16, 16, v15
	v_and_b32_e32 v15, 0xffff0000, v15
	s_waitcnt vmcnt(2)
	v_fmac_f32_e32 v5, v13, v16
	s_waitcnt vmcnt(1)
	v_fmac_f32_e32 v7, v11, v16
	;; [unrolled: 2-line block ×3, first 2 shown]
	v_fmac_f32_e32 v5, v14, v15
	v_fmac_f32_e32 v7, v12, v15
	;; [unrolled: 1-line block ×3, first 2 shown]
	s_andn2_b32 exec_lo, exec_lo, s14
	s_cbranch_execnz .LBB304_8
; %bb.9:
	s_inst_prefetch 0x2
	s_or_b32 exec_lo, exec_lo, s14
.LBB304_10:
	s_or_b32 exec_lo, exec_lo, s13
	v_mbcnt_lo_u32_b32 v1, -1, 0
	s_mov_b32 s0, exec_lo
	v_xor_b32_e32 v2, 16, v1
	v_xor_b32_e32 v8, 8, v1
	v_cmp_gt_i32_e32 vcc_lo, 32, v2
	v_cndmask_b32_e32 v2, v1, v2, vcc_lo
	v_cmp_gt_i32_e32 vcc_lo, 32, v8
	v_lshlrev_b32_e32 v2, 2, v2
	v_cndmask_b32_e32 v8, v1, v8, vcc_lo
	ds_bpermute_b32 v3, v2, v5
	ds_bpermute_b32 v4, v2, v7
	;; [unrolled: 1-line block ×3, first 2 shown]
	v_lshlrev_b32_e32 v8, 2, v8
	s_waitcnt lgkmcnt(0)
	v_add_f32_e32 v3, v5, v3
	v_add_f32_e32 v4, v7, v4
	;; [unrolled: 1-line block ×3, first 2 shown]
	ds_bpermute_b32 v5, v8, v3
	ds_bpermute_b32 v6, v8, v4
	ds_bpermute_b32 v7, v8, v2
	v_xor_b32_e32 v8, 4, v1
	v_cmp_gt_i32_e32 vcc_lo, 32, v8
	v_cndmask_b32_e32 v8, v1, v8, vcc_lo
	v_lshlrev_b32_e32 v8, 2, v8
	s_waitcnt lgkmcnt(2)
	v_add_f32_e32 v3, v3, v5
	s_waitcnt lgkmcnt(1)
	v_add_f32_e32 v4, v4, v6
	s_waitcnt lgkmcnt(0)
	v_add_f32_e32 v2, v2, v7
	ds_bpermute_b32 v5, v8, v3
	ds_bpermute_b32 v6, v8, v4
	ds_bpermute_b32 v7, v8, v2
	v_xor_b32_e32 v8, 2, v1
	v_cmp_gt_i32_e32 vcc_lo, 32, v8
	v_cndmask_b32_e32 v8, v1, v8, vcc_lo
	v_lshlrev_b32_e32 v8, 2, v8
	s_waitcnt lgkmcnt(2)
	v_add_f32_e32 v3, v3, v5
	s_waitcnt lgkmcnt(1)
	v_add_f32_e32 v4, v4, v6
	s_waitcnt lgkmcnt(0)
	v_add_f32_e32 v5, v2, v7
	;; [unrolled: 13-line block ×3, first 2 shown]
	ds_bpermute_b32 v4, v8, v1
	ds_bpermute_b32 v5, v8, v2
	;; [unrolled: 1-line block ×3, first 2 shown]
	v_cmpx_gt_u32_e32 3, v0
	s_cbranch_execz .LBB304_12
; %bb.11:
	s_load_dwordx2 s[0:1], s[4:5], 0x38
	v_mad_u64_u32 v[7:8], null, s18, v0, s[6:7]
	s_waitcnt lgkmcnt(0)
	v_add_f32_e32 v1, v1, v4
	v_add_f32_e32 v2, v2, v5
	v_cmp_eq_u32_e32 vcc_lo, 1, v0
	s_mul_hi_i32 s5, s2, s3
	s_mul_i32 s4, s2, s3
	s_mul_i32 s2, s22, s7
	v_ashrrev_i32_e32 v8, 31, v7
	s_lshl_b64 s[4:5], s[4:5], 2
	s_ashr_i32 s3, s2, 31
	v_cndmask_b32_e32 v4, v1, v2, vcc_lo
	v_add_f32_e32 v3, v3, v6
	v_lshlrev_b64 v[1:2], 2, v[7:8]
	v_cmp_eq_u32_e32 vcc_lo, 2, v0
	v_cndmask_b32_e32 v3, v4, v3, vcc_lo
	s_add_u32 s4, s0, s4
	s_addc_u32 s5, s1, s5
	s_lshl_b64 s[0:1], s[2:3], 2
	s_add_u32 s0, s4, s0
	s_addc_u32 s1, s5, s1
	v_add_co_u32 v0, vcc_lo, s0, v1
	v_add_co_ci_u32_e64 v1, null, s1, v2, vcc_lo
	global_store_dword v[0:1], v3, off
.LBB304_12:
	s_endpgm
	.section	.rodata,"a",@progbits
	.p2align	6, 0x0
	.amdhsa_kernel _ZL13mul_mat_vec_fI14__hip_bfloat16fLi3ELi32ELb0ELb0EEvPKT_PKfPKi31ggml_cuda_mm_fusion_args_devicePfi15HIP_vector_typeIjLj3EEiiiSB_iiiSB_iiii
		.amdhsa_group_segment_fixed_size 0
		.amdhsa_private_segment_fixed_size 0
		.amdhsa_kernarg_size 144
		.amdhsa_user_sgpr_count 6
		.amdhsa_user_sgpr_private_segment_buffer 1
		.amdhsa_user_sgpr_dispatch_ptr 0
		.amdhsa_user_sgpr_queue_ptr 0
		.amdhsa_user_sgpr_kernarg_segment_ptr 1
		.amdhsa_user_sgpr_dispatch_id 0
		.amdhsa_user_sgpr_flat_scratch_init 0
		.amdhsa_user_sgpr_private_segment_size 0
		.amdhsa_wavefront_size32 1
		.amdhsa_uses_dynamic_stack 0
		.amdhsa_system_sgpr_private_segment_wavefront_offset 0
		.amdhsa_system_sgpr_workgroup_id_x 1
		.amdhsa_system_sgpr_workgroup_id_y 1
		.amdhsa_system_sgpr_workgroup_id_z 1
		.amdhsa_system_sgpr_workgroup_info 0
		.amdhsa_system_vgpr_workitem_id 0
		.amdhsa_next_free_vgpr 17
		.amdhsa_next_free_sgpr 32
		.amdhsa_reserve_vcc 1
		.amdhsa_reserve_flat_scratch 0
		.amdhsa_float_round_mode_32 0
		.amdhsa_float_round_mode_16_64 0
		.amdhsa_float_denorm_mode_32 3
		.amdhsa_float_denorm_mode_16_64 3
		.amdhsa_dx10_clamp 1
		.amdhsa_ieee_mode 1
		.amdhsa_fp16_overflow 0
		.amdhsa_workgroup_processor_mode 1
		.amdhsa_memory_ordered 1
		.amdhsa_forward_progress 1
		.amdhsa_shared_vgpr_count 0
		.amdhsa_exception_fp_ieee_invalid_op 0
		.amdhsa_exception_fp_denorm_src 0
		.amdhsa_exception_fp_ieee_div_zero 0
		.amdhsa_exception_fp_ieee_overflow 0
		.amdhsa_exception_fp_ieee_underflow 0
		.amdhsa_exception_fp_ieee_inexact 0
		.amdhsa_exception_int_div_zero 0
	.end_amdhsa_kernel
	.section	.text._ZL13mul_mat_vec_fI14__hip_bfloat16fLi3ELi32ELb0ELb0EEvPKT_PKfPKi31ggml_cuda_mm_fusion_args_devicePfi15HIP_vector_typeIjLj3EEiiiSB_iiiSB_iiii,"axG",@progbits,_ZL13mul_mat_vec_fI14__hip_bfloat16fLi3ELi32ELb0ELb0EEvPKT_PKfPKi31ggml_cuda_mm_fusion_args_devicePfi15HIP_vector_typeIjLj3EEiiiSB_iiiSB_iiii,comdat
.Lfunc_end304:
	.size	_ZL13mul_mat_vec_fI14__hip_bfloat16fLi3ELi32ELb0ELb0EEvPKT_PKfPKi31ggml_cuda_mm_fusion_args_devicePfi15HIP_vector_typeIjLj3EEiiiSB_iiiSB_iiii, .Lfunc_end304-_ZL13mul_mat_vec_fI14__hip_bfloat16fLi3ELi32ELb0ELb0EEvPKT_PKfPKi31ggml_cuda_mm_fusion_args_devicePfi15HIP_vector_typeIjLj3EEiiiSB_iiiSB_iiii
                                        ; -- End function
	.set _ZL13mul_mat_vec_fI14__hip_bfloat16fLi3ELi32ELb0ELb0EEvPKT_PKfPKi31ggml_cuda_mm_fusion_args_devicePfi15HIP_vector_typeIjLj3EEiiiSB_iiiSB_iiii.num_vgpr, 17
	.set _ZL13mul_mat_vec_fI14__hip_bfloat16fLi3ELi32ELb0ELb0EEvPKT_PKfPKi31ggml_cuda_mm_fusion_args_devicePfi15HIP_vector_typeIjLj3EEiiiSB_iiiSB_iiii.num_agpr, 0
	.set _ZL13mul_mat_vec_fI14__hip_bfloat16fLi3ELi32ELb0ELb0EEvPKT_PKfPKi31ggml_cuda_mm_fusion_args_devicePfi15HIP_vector_typeIjLj3EEiiiSB_iiiSB_iiii.numbered_sgpr, 32
	.set _ZL13mul_mat_vec_fI14__hip_bfloat16fLi3ELi32ELb0ELb0EEvPKT_PKfPKi31ggml_cuda_mm_fusion_args_devicePfi15HIP_vector_typeIjLj3EEiiiSB_iiiSB_iiii.num_named_barrier, 0
	.set _ZL13mul_mat_vec_fI14__hip_bfloat16fLi3ELi32ELb0ELb0EEvPKT_PKfPKi31ggml_cuda_mm_fusion_args_devicePfi15HIP_vector_typeIjLj3EEiiiSB_iiiSB_iiii.private_seg_size, 0
	.set _ZL13mul_mat_vec_fI14__hip_bfloat16fLi3ELi32ELb0ELb0EEvPKT_PKfPKi31ggml_cuda_mm_fusion_args_devicePfi15HIP_vector_typeIjLj3EEiiiSB_iiiSB_iiii.uses_vcc, 1
	.set _ZL13mul_mat_vec_fI14__hip_bfloat16fLi3ELi32ELb0ELb0EEvPKT_PKfPKi31ggml_cuda_mm_fusion_args_devicePfi15HIP_vector_typeIjLj3EEiiiSB_iiiSB_iiii.uses_flat_scratch, 0
	.set _ZL13mul_mat_vec_fI14__hip_bfloat16fLi3ELi32ELb0ELb0EEvPKT_PKfPKi31ggml_cuda_mm_fusion_args_devicePfi15HIP_vector_typeIjLj3EEiiiSB_iiiSB_iiii.has_dyn_sized_stack, 0
	.set _ZL13mul_mat_vec_fI14__hip_bfloat16fLi3ELi32ELb0ELb0EEvPKT_PKfPKi31ggml_cuda_mm_fusion_args_devicePfi15HIP_vector_typeIjLj3EEiiiSB_iiiSB_iiii.has_recursion, 0
	.set _ZL13mul_mat_vec_fI14__hip_bfloat16fLi3ELi32ELb0ELb0EEvPKT_PKfPKi31ggml_cuda_mm_fusion_args_devicePfi15HIP_vector_typeIjLj3EEiiiSB_iiiSB_iiii.has_indirect_call, 0
	.section	.AMDGPU.csdata,"",@progbits
; Kernel info:
; codeLenInByte = 1092
; TotalNumSgprs: 34
; NumVgprs: 17
; ScratchSize: 0
; MemoryBound: 0
; FloatMode: 240
; IeeeMode: 1
; LDSByteSize: 0 bytes/workgroup (compile time only)
; SGPRBlocks: 0
; VGPRBlocks: 2
; NumSGPRsForWavesPerEU: 34
; NumVGPRsForWavesPerEU: 17
; Occupancy: 16
; WaveLimiterHint : 0
; COMPUTE_PGM_RSRC2:SCRATCH_EN: 0
; COMPUTE_PGM_RSRC2:USER_SGPR: 6
; COMPUTE_PGM_RSRC2:TRAP_HANDLER: 0
; COMPUTE_PGM_RSRC2:TGID_X_EN: 1
; COMPUTE_PGM_RSRC2:TGID_Y_EN: 1
; COMPUTE_PGM_RSRC2:TGID_Z_EN: 1
; COMPUTE_PGM_RSRC2:TIDIG_COMP_CNT: 0
	.section	.text._ZL13mul_mat_vec_fI14__hip_bfloat16fLi3ELi64ELb0ELb0EEvPKT_PKfPKi31ggml_cuda_mm_fusion_args_devicePfi15HIP_vector_typeIjLj3EEiiiSB_iiiSB_iiii,"axG",@progbits,_ZL13mul_mat_vec_fI14__hip_bfloat16fLi3ELi64ELb0ELb0EEvPKT_PKfPKi31ggml_cuda_mm_fusion_args_devicePfi15HIP_vector_typeIjLj3EEiiiSB_iiiSB_iiii,comdat
	.globl	_ZL13mul_mat_vec_fI14__hip_bfloat16fLi3ELi64ELb0ELb0EEvPKT_PKfPKi31ggml_cuda_mm_fusion_args_devicePfi15HIP_vector_typeIjLj3EEiiiSB_iiiSB_iiii ; -- Begin function _ZL13mul_mat_vec_fI14__hip_bfloat16fLi3ELi64ELb0ELb0EEvPKT_PKfPKi31ggml_cuda_mm_fusion_args_devicePfi15HIP_vector_typeIjLj3EEiiiSB_iiiSB_iiii
	.p2align	8
	.type	_ZL13mul_mat_vec_fI14__hip_bfloat16fLi3ELi64ELb0ELb0EEvPKT_PKfPKi31ggml_cuda_mm_fusion_args_devicePfi15HIP_vector_typeIjLj3EEiiiSB_iiiSB_iiii,@function
_ZL13mul_mat_vec_fI14__hip_bfloat16fLi3ELi64ELb0ELb0EEvPKT_PKfPKi31ggml_cuda_mm_fusion_args_devicePfi15HIP_vector_typeIjLj3EEiiiSB_iiiSB_iiii: ; @_ZL13mul_mat_vec_fI14__hip_bfloat16fLi3ELi64ELb0ELb0EEvPKT_PKfPKi31ggml_cuda_mm_fusion_args_devicePfi15HIP_vector_typeIjLj3EEiiiSB_iiiSB_iiii
; %bb.0:
	s_clause 0x2
	s_load_dwordx2 s[0:1], s[4:5], 0x10
	s_load_dwordx8 s[12:19], s[4:5], 0x40
	s_load_dwordx4 s[20:23], s[4:5], 0x80
	s_waitcnt lgkmcnt(0)
	s_cmp_eq_u64 s[0:1], 0
	s_cselect_b32 s10, -1, 0
	s_cmp_lg_u64 s[0:1], 0
	s_cselect_b32 s9, -1, 0
	s_and_b32 vcc_lo, exec_lo, s10
	s_cbranch_vccnz .LBB305_2
; %bb.1:
	s_mul_i32 s2, s23, s8
	s_mov_b32 s3, 0
	s_add_i32 s2, s2, s7
	s_lshl_b64 s[24:25], s[2:3], 2
	s_add_u32 s0, s0, s24
	s_addc_u32 s1, s1, s25
	s_load_dword s19, s[0:1], 0x0
	s_cbranch_execz .LBB305_3
	s_branch .LBB305_4
.LBB305_2:
                                        ; implicit-def: $sgpr19
.LBB305_3:
	s_load_dwordx2 s[0:1], s[4:5], 0x5c
	s_waitcnt lgkmcnt(0)
	s_mul_hi_u32 s0, s0, s7
	s_add_i32 s0, s7, s0
	s_lshr_b32 s19, s0, s1
.LBB305_4:
	s_load_dwordx4 s[24:27], s[4:5], 0x68
	s_andn2_b32 vcc_lo, exec_lo, s9
	s_mov_b32 s23, s7
	s_cbranch_vccnz .LBB305_6
; %bb.5:
	s_mul_hi_u32 s0, s13, s7
	s_add_i32 s0, s7, s0
	s_lshr_b32 s0, s0, s14
	s_mul_i32 s0, s0, s15
	s_sub_i32 s23, s7, s0
.LBB305_6:
	s_load_dword s9, s[4:5], 0x78
	v_cmp_gt_u32_e32 vcc_lo, 32, v0
	v_lshl_add_u32 v5, v0, 2, 0
	s_and_saveexec_b32 s0, vcc_lo
; %bb.7:
	v_mov_b32_e32 v1, 0
	ds_write_b32 v5, v1
; %bb.8:
	s_or_b32 exec_lo, exec_lo, s0
	v_mov_b32_e32 v6, 0
	v_mov_b32_e32 v7, 0
	;; [unrolled: 1-line block ×3, first 2 shown]
	s_and_b32 s0, exec_lo, s10
	s_mov_b32 s11, 0
	s_cselect_b32 s10, s8, 0
	s_mov_b32 s13, exec_lo
	s_waitcnt lgkmcnt(0)
	s_barrier
	buffer_gl0_inv
	v_cmpx_gt_i32_e64 s12, v0
	s_cbranch_execz .LBB305_12
; %bb.9:
	s_load_dwordx4 s[0:3], s[4:5], 0x0
	s_mul_hi_u32 s27, s27, s10
	s_mul_hi_i32 s15, s21, s10
	s_mul_i32 s14, s21, s10
	s_mul_i32 s24, s19, s24
	;; [unrolled: 1-line block ×4, first 2 shown]
	s_add_i32 s16, s10, s27
	s_lshl_b64 s[34:35], s[14:15], 2
	s_ashr_i32 s25, s24, 31
	s_ashr_i32 s29, s28, 31
	s_ashr_i32 s31, s30, 31
	s_lshr_b32 s9, s16, s9
	s_mov_b32 s8, s17
	s_mul_hi_i32 s21, s9, s20
	s_mul_i32 s20, s9, s20
	v_lshlrev_b32_e32 v2, 3, v0
	v_lshlrev_b32_e32 v1, 2, v0
	v_mov_b32_e32 v8, 0
	v_mov_b32_e32 v9, v0
	s_waitcnt lgkmcnt(0)
	s_add_u32 s14, s2, s34
	s_addc_u32 s15, s3, s35
	s_lshl_b64 s[30:31], s[30:31], 2
	v_mov_b32_e32 v7, 0
	s_add_u32 s14, s14, s30
	s_addc_u32 s15, s15, s31
	s_lshl_b64 s[24:25], s[24:25], 1
	s_ashr_i32 s9, s17, 31
	s_add_i32 s16, s17, s17
	s_lshl_b64 s[20:21], s[20:21], 1
	s_lshl_b64 s[28:29], s[28:29], 1
	s_add_u32 s0, s0, s24
	s_addc_u32 s1, s1, s25
	s_add_u32 s0, s0, s28
	s_addc_u32 s1, s1, s29
	s_add_u32 s0, s0, s20
	s_addc_u32 s1, s1, s21
	s_lshl_b64 s[8:9], s[8:9], 3
	s_add_u32 s2, s2, s30
	s_addc_u32 s3, s3, s31
	s_add_u32 s2, s2, s34
	s_addc_u32 s3, s3, s35
	v_add_co_u32 v3, s2, s2, v2
	v_add_co_ci_u32_e64 v4, null, s3, 0, s2
	v_add_co_u32 v1, s0, s0, v1
	v_add_co_ci_u32_e64 v2, null, s1, 0, s0
	;; [unrolled: 2-line block ×3, first 2 shown]
	v_mov_b32_e32 v6, 0
	s_inst_prefetch 0x1
	.p2align	6
.LBB305_10:                             ; =>This Inner Loop Header: Depth=1
	v_add_nc_u32_e32 v10, s16, v9
	v_add_co_u32 v12, s0, v3, s8
	global_load_dword v16, v[1:2], off
	v_add_co_ci_u32_e64 v13, null, s9, v4, s0
	v_ashrrev_i32_e32 v11, 31, v10
	v_add_nc_u32_e32 v9, 64, v9
	v_lshlrev_b64 v[10:11], 3, v[10:11]
	v_add_co_u32 v10, s0, s14, v10
	v_add_co_ci_u32_e64 v11, null, s15, v11, s0
	s_clause 0x1
	global_load_dwordx2 v[14:15], v[3:4], off offset:-4
	global_load_dwordx2 v[12:13], v[12:13], off offset:-4
	global_load_dwordx2 v[10:11], v[10:11], off
	v_add_co_u32 v1, s0, 0x100, v1
	v_add_co_ci_u32_e64 v2, null, 0, v2, s0
	v_add_co_u32 v3, s0, 0x200, v3
	v_add_co_ci_u32_e64 v4, null, 0, v4, s0
	v_cmp_le_i32_e64 s0, s12, v9
	s_or_b32 s11, s0, s11
	s_waitcnt vmcnt(3)
	v_lshlrev_b32_e32 v17, 16, v16
	v_and_b32_e32 v16, 0xffff0000, v16
	s_waitcnt vmcnt(2)
	v_fmac_f32_e32 v8, v14, v17
	s_waitcnt vmcnt(1)
	v_fmac_f32_e32 v7, v12, v17
	;; [unrolled: 2-line block ×3, first 2 shown]
	v_fmac_f32_e32 v8, v15, v16
	v_fmac_f32_e32 v7, v13, v16
	;; [unrolled: 1-line block ×3, first 2 shown]
	s_andn2_b32 exec_lo, exec_lo, s11
	s_cbranch_execnz .LBB305_10
; %bb.11:
	s_inst_prefetch 0x2
	s_or_b32 exec_lo, exec_lo, s11
.LBB305_12:
	s_or_b32 exec_lo, exec_lo, s13
	v_mbcnt_lo_u32_b32 v2, -1, 0
	v_xor_b32_e32 v1, 16, v2
	v_xor_b32_e32 v3, 8, v2
	v_cmp_gt_i32_e64 s0, 32, v1
	v_cndmask_b32_e64 v1, v2, v1, s0
	v_cmp_gt_i32_e64 s0, 32, v3
	v_lshlrev_b32_e32 v1, 2, v1
	v_cndmask_b32_e64 v3, v2, v3, s0
	ds_bpermute_b32 v4, v1, v8
	v_lshlrev_b32_e32 v3, 2, v3
	s_waitcnt lgkmcnt(0)
	v_add_f32_e32 v8, v8, v4
	v_xor_b32_e32 v4, 4, v2
	ds_bpermute_b32 v9, v3, v8
	v_cmp_gt_i32_e64 s0, 32, v4
	v_cndmask_b32_e64 v4, v2, v4, s0
	v_lshlrev_b32_e32 v4, 2, v4
	s_waitcnt lgkmcnt(0)
	v_add_f32_e32 v9, v8, v9
	v_xor_b32_e32 v8, 2, v2
	ds_bpermute_b32 v10, v4, v9
	v_cmp_gt_i32_e64 s0, 32, v8
	v_cndmask_b32_e64 v8, v2, v8, s0
	;; [unrolled: 7-line block ×3, first 2 shown]
	v_lshlrev_b32_e32 v9, 2, v2
	s_waitcnt lgkmcnt(0)
	v_add_f32_e32 v2, v10, v11
	v_lshrrev_b32_e32 v10, 3, v0
	ds_bpermute_b32 v11, v9, v2
	v_and_b32_e32 v10, 0x7c, v10
	v_add_nc_u32_e32 v10, 0, v10
	s_waitcnt lgkmcnt(0)
	v_add_f32_e32 v2, v2, v11
	ds_write_b32 v10, v2
	s_waitcnt lgkmcnt(0)
	s_barrier
	buffer_gl0_inv
	s_and_saveexec_b32 s0, vcc_lo
	s_cbranch_execz .LBB305_14
; %bb.13:
	ds_read_b32 v2, v5
	s_waitcnt lgkmcnt(0)
	ds_bpermute_b32 v11, v1, v2
	s_waitcnt lgkmcnt(0)
	v_add_f32_e32 v2, v2, v11
	ds_bpermute_b32 v11, v3, v2
	s_waitcnt lgkmcnt(0)
	v_add_f32_e32 v2, v2, v11
	;; [unrolled: 3-line block ×5, first 2 shown]
.LBB305_14:
	s_or_b32 exec_lo, exec_lo, s0
	ds_bpermute_b32 v11, v1, v7
	s_waitcnt lgkmcnt(0)
	s_barrier
	buffer_gl0_inv
	v_add_f32_e32 v7, v7, v11
	ds_bpermute_b32 v11, v3, v7
	s_waitcnt lgkmcnt(0)
	v_add_f32_e32 v7, v7, v11
	ds_bpermute_b32 v11, v4, v7
	s_waitcnt lgkmcnt(0)
	;; [unrolled: 3-line block ×4, first 2 shown]
	v_add_f32_e32 v7, v7, v11
	ds_write_b32 v10, v7
	s_waitcnt lgkmcnt(0)
	s_barrier
	buffer_gl0_inv
	s_and_saveexec_b32 s0, vcc_lo
	s_cbranch_execz .LBB305_16
; %bb.15:
	ds_read_b32 v7, v5
	s_waitcnt lgkmcnt(0)
	ds_bpermute_b32 v11, v1, v7
	s_waitcnt lgkmcnt(0)
	v_add_f32_e32 v7, v7, v11
	ds_bpermute_b32 v11, v3, v7
	s_waitcnt lgkmcnt(0)
	v_add_f32_e32 v7, v7, v11
	ds_bpermute_b32 v11, v4, v7
	s_waitcnt lgkmcnt(0)
	v_add_f32_e32 v7, v7, v11
	ds_bpermute_b32 v11, v8, v7
	s_waitcnt lgkmcnt(0)
	v_add_f32_e32 v7, v7, v11
	ds_bpermute_b32 v11, v9, v7
	s_waitcnt lgkmcnt(0)
	v_add_f32_e32 v7, v7, v11
.LBB305_16:
	s_or_b32 exec_lo, exec_lo, s0
	ds_bpermute_b32 v11, v1, v6
	s_waitcnt lgkmcnt(0)
	s_barrier
	buffer_gl0_inv
	v_add_f32_e32 v6, v6, v11
	ds_bpermute_b32 v11, v3, v6
	s_waitcnt lgkmcnt(0)
	v_add_f32_e32 v6, v6, v11
	ds_bpermute_b32 v11, v4, v6
	s_waitcnt lgkmcnt(0)
	;; [unrolled: 3-line block ×4, first 2 shown]
	v_add_f32_e32 v6, v6, v11
	ds_write_b32 v10, v6
	s_waitcnt lgkmcnt(0)
	s_barrier
	buffer_gl0_inv
	s_and_saveexec_b32 s0, vcc_lo
	s_cbranch_execz .LBB305_18
; %bb.17:
	ds_read_b32 v5, v5
	s_waitcnt lgkmcnt(0)
	ds_bpermute_b32 v1, v1, v5
	s_waitcnt lgkmcnt(0)
	v_add_f32_e32 v1, v5, v1
	ds_bpermute_b32 v3, v3, v1
	s_waitcnt lgkmcnt(0)
	v_add_f32_e32 v1, v1, v3
	;; [unrolled: 3-line block ×5, first 2 shown]
.LBB305_18:
	s_or_b32 exec_lo, exec_lo, s0
	s_barrier
	buffer_gl0_inv
	s_mov_b32 s0, exec_lo
	v_cmpx_gt_u32_e32 3, v0
	s_cbranch_execz .LBB305_20
; %bb.19:
	s_load_dwordx2 s[0:1], s[4:5], 0x38
	v_mad_u64_u32 v[3:4], null, s18, v0, s[6:7]
	v_cmp_eq_u32_e32 vcc_lo, 1, v0
	s_mul_hi_i32 s3, s22, s10
	s_mul_i32 s2, s22, s10
	s_mul_i32 s4, s26, s7
	s_lshl_b64 s[2:3], s[2:3], 2
	v_cndmask_b32_e32 v5, v2, v7, vcc_lo
	v_ashrrev_i32_e32 v4, 31, v3
	s_ashr_i32 s5, s4, 31
	v_cmp_eq_u32_e32 vcc_lo, 2, v0
	v_lshlrev_b64 v[1:2], 2, v[3:4]
	v_cndmask_b32_e32 v3, v5, v6, vcc_lo
	s_waitcnt lgkmcnt(0)
	s_add_u32 s2, s0, s2
	s_addc_u32 s3, s1, s3
	s_lshl_b64 s[0:1], s[4:5], 2
	s_add_u32 s0, s2, s0
	s_addc_u32 s1, s3, s1
	v_add_co_u32 v0, vcc_lo, s0, v1
	v_add_co_ci_u32_e64 v1, null, s1, v2, vcc_lo
	global_store_dword v[0:1], v3, off
.LBB305_20:
	s_endpgm
	.section	.rodata,"a",@progbits
	.p2align	6, 0x0
	.amdhsa_kernel _ZL13mul_mat_vec_fI14__hip_bfloat16fLi3ELi64ELb0ELb0EEvPKT_PKfPKi31ggml_cuda_mm_fusion_args_devicePfi15HIP_vector_typeIjLj3EEiiiSB_iiiSB_iiii
		.amdhsa_group_segment_fixed_size 0
		.amdhsa_private_segment_fixed_size 0
		.amdhsa_kernarg_size 144
		.amdhsa_user_sgpr_count 6
		.amdhsa_user_sgpr_private_segment_buffer 1
		.amdhsa_user_sgpr_dispatch_ptr 0
		.amdhsa_user_sgpr_queue_ptr 0
		.amdhsa_user_sgpr_kernarg_segment_ptr 1
		.amdhsa_user_sgpr_dispatch_id 0
		.amdhsa_user_sgpr_flat_scratch_init 0
		.amdhsa_user_sgpr_private_segment_size 0
		.amdhsa_wavefront_size32 1
		.amdhsa_uses_dynamic_stack 0
		.amdhsa_system_sgpr_private_segment_wavefront_offset 0
		.amdhsa_system_sgpr_workgroup_id_x 1
		.amdhsa_system_sgpr_workgroup_id_y 1
		.amdhsa_system_sgpr_workgroup_id_z 1
		.amdhsa_system_sgpr_workgroup_info 0
		.amdhsa_system_vgpr_workitem_id 0
		.amdhsa_next_free_vgpr 18
		.amdhsa_next_free_sgpr 36
		.amdhsa_reserve_vcc 1
		.amdhsa_reserve_flat_scratch 0
		.amdhsa_float_round_mode_32 0
		.amdhsa_float_round_mode_16_64 0
		.amdhsa_float_denorm_mode_32 3
		.amdhsa_float_denorm_mode_16_64 3
		.amdhsa_dx10_clamp 1
		.amdhsa_ieee_mode 1
		.amdhsa_fp16_overflow 0
		.amdhsa_workgroup_processor_mode 1
		.amdhsa_memory_ordered 1
		.amdhsa_forward_progress 1
		.amdhsa_shared_vgpr_count 0
		.amdhsa_exception_fp_ieee_invalid_op 0
		.amdhsa_exception_fp_denorm_src 0
		.amdhsa_exception_fp_ieee_div_zero 0
		.amdhsa_exception_fp_ieee_overflow 0
		.amdhsa_exception_fp_ieee_underflow 0
		.amdhsa_exception_fp_ieee_inexact 0
		.amdhsa_exception_int_div_zero 0
	.end_amdhsa_kernel
	.section	.text._ZL13mul_mat_vec_fI14__hip_bfloat16fLi3ELi64ELb0ELb0EEvPKT_PKfPKi31ggml_cuda_mm_fusion_args_devicePfi15HIP_vector_typeIjLj3EEiiiSB_iiiSB_iiii,"axG",@progbits,_ZL13mul_mat_vec_fI14__hip_bfloat16fLi3ELi64ELb0ELb0EEvPKT_PKfPKi31ggml_cuda_mm_fusion_args_devicePfi15HIP_vector_typeIjLj3EEiiiSB_iiiSB_iiii,comdat
.Lfunc_end305:
	.size	_ZL13mul_mat_vec_fI14__hip_bfloat16fLi3ELi64ELb0ELb0EEvPKT_PKfPKi31ggml_cuda_mm_fusion_args_devicePfi15HIP_vector_typeIjLj3EEiiiSB_iiiSB_iiii, .Lfunc_end305-_ZL13mul_mat_vec_fI14__hip_bfloat16fLi3ELi64ELb0ELb0EEvPKT_PKfPKi31ggml_cuda_mm_fusion_args_devicePfi15HIP_vector_typeIjLj3EEiiiSB_iiiSB_iiii
                                        ; -- End function
	.set _ZL13mul_mat_vec_fI14__hip_bfloat16fLi3ELi64ELb0ELb0EEvPKT_PKfPKi31ggml_cuda_mm_fusion_args_devicePfi15HIP_vector_typeIjLj3EEiiiSB_iiiSB_iiii.num_vgpr, 18
	.set _ZL13mul_mat_vec_fI14__hip_bfloat16fLi3ELi64ELb0ELb0EEvPKT_PKfPKi31ggml_cuda_mm_fusion_args_devicePfi15HIP_vector_typeIjLj3EEiiiSB_iiiSB_iiii.num_agpr, 0
	.set _ZL13mul_mat_vec_fI14__hip_bfloat16fLi3ELi64ELb0ELb0EEvPKT_PKfPKi31ggml_cuda_mm_fusion_args_devicePfi15HIP_vector_typeIjLj3EEiiiSB_iiiSB_iiii.numbered_sgpr, 36
	.set _ZL13mul_mat_vec_fI14__hip_bfloat16fLi3ELi64ELb0ELb0EEvPKT_PKfPKi31ggml_cuda_mm_fusion_args_devicePfi15HIP_vector_typeIjLj3EEiiiSB_iiiSB_iiii.num_named_barrier, 0
	.set _ZL13mul_mat_vec_fI14__hip_bfloat16fLi3ELi64ELb0ELb0EEvPKT_PKfPKi31ggml_cuda_mm_fusion_args_devicePfi15HIP_vector_typeIjLj3EEiiiSB_iiiSB_iiii.private_seg_size, 0
	.set _ZL13mul_mat_vec_fI14__hip_bfloat16fLi3ELi64ELb0ELb0EEvPKT_PKfPKi31ggml_cuda_mm_fusion_args_devicePfi15HIP_vector_typeIjLj3EEiiiSB_iiiSB_iiii.uses_vcc, 1
	.set _ZL13mul_mat_vec_fI14__hip_bfloat16fLi3ELi64ELb0ELb0EEvPKT_PKfPKi31ggml_cuda_mm_fusion_args_devicePfi15HIP_vector_typeIjLj3EEiiiSB_iiiSB_iiii.uses_flat_scratch, 0
	.set _ZL13mul_mat_vec_fI14__hip_bfloat16fLi3ELi64ELb0ELb0EEvPKT_PKfPKi31ggml_cuda_mm_fusion_args_devicePfi15HIP_vector_typeIjLj3EEiiiSB_iiiSB_iiii.has_dyn_sized_stack, 0
	.set _ZL13mul_mat_vec_fI14__hip_bfloat16fLi3ELi64ELb0ELb0EEvPKT_PKfPKi31ggml_cuda_mm_fusion_args_devicePfi15HIP_vector_typeIjLj3EEiiiSB_iiiSB_iiii.has_recursion, 0
	.set _ZL13mul_mat_vec_fI14__hip_bfloat16fLi3ELi64ELb0ELb0EEvPKT_PKfPKi31ggml_cuda_mm_fusion_args_devicePfi15HIP_vector_typeIjLj3EEiiiSB_iiiSB_iiii.has_indirect_call, 0
	.section	.AMDGPU.csdata,"",@progbits
; Kernel info:
; codeLenInByte = 1656
; TotalNumSgprs: 38
; NumVgprs: 18
; ScratchSize: 0
; MemoryBound: 0
; FloatMode: 240
; IeeeMode: 1
; LDSByteSize: 0 bytes/workgroup (compile time only)
; SGPRBlocks: 0
; VGPRBlocks: 2
; NumSGPRsForWavesPerEU: 38
; NumVGPRsForWavesPerEU: 18
; Occupancy: 16
; WaveLimiterHint : 0
; COMPUTE_PGM_RSRC2:SCRATCH_EN: 0
; COMPUTE_PGM_RSRC2:USER_SGPR: 6
; COMPUTE_PGM_RSRC2:TRAP_HANDLER: 0
; COMPUTE_PGM_RSRC2:TGID_X_EN: 1
; COMPUTE_PGM_RSRC2:TGID_Y_EN: 1
; COMPUTE_PGM_RSRC2:TGID_Z_EN: 1
; COMPUTE_PGM_RSRC2:TIDIG_COMP_CNT: 0
	.section	.text._ZL13mul_mat_vec_fI14__hip_bfloat16fLi3ELi96ELb0ELb0EEvPKT_PKfPKi31ggml_cuda_mm_fusion_args_devicePfi15HIP_vector_typeIjLj3EEiiiSB_iiiSB_iiii,"axG",@progbits,_ZL13mul_mat_vec_fI14__hip_bfloat16fLi3ELi96ELb0ELb0EEvPKT_PKfPKi31ggml_cuda_mm_fusion_args_devicePfi15HIP_vector_typeIjLj3EEiiiSB_iiiSB_iiii,comdat
	.globl	_ZL13mul_mat_vec_fI14__hip_bfloat16fLi3ELi96ELb0ELb0EEvPKT_PKfPKi31ggml_cuda_mm_fusion_args_devicePfi15HIP_vector_typeIjLj3EEiiiSB_iiiSB_iiii ; -- Begin function _ZL13mul_mat_vec_fI14__hip_bfloat16fLi3ELi96ELb0ELb0EEvPKT_PKfPKi31ggml_cuda_mm_fusion_args_devicePfi15HIP_vector_typeIjLj3EEiiiSB_iiiSB_iiii
	.p2align	8
	.type	_ZL13mul_mat_vec_fI14__hip_bfloat16fLi3ELi96ELb0ELb0EEvPKT_PKfPKi31ggml_cuda_mm_fusion_args_devicePfi15HIP_vector_typeIjLj3EEiiiSB_iiiSB_iiii,@function
_ZL13mul_mat_vec_fI14__hip_bfloat16fLi3ELi96ELb0ELb0EEvPKT_PKfPKi31ggml_cuda_mm_fusion_args_devicePfi15HIP_vector_typeIjLj3EEiiiSB_iiiSB_iiii: ; @_ZL13mul_mat_vec_fI14__hip_bfloat16fLi3ELi96ELb0ELb0EEvPKT_PKfPKi31ggml_cuda_mm_fusion_args_devicePfi15HIP_vector_typeIjLj3EEiiiSB_iiiSB_iiii
; %bb.0:
	s_clause 0x2
	s_load_dwordx2 s[0:1], s[4:5], 0x10
	s_load_dwordx8 s[12:19], s[4:5], 0x40
	s_load_dwordx4 s[20:23], s[4:5], 0x80
	s_waitcnt lgkmcnt(0)
	s_cmp_eq_u64 s[0:1], 0
	s_cselect_b32 s10, -1, 0
	s_cmp_lg_u64 s[0:1], 0
	s_cselect_b32 s9, -1, 0
	s_and_b32 vcc_lo, exec_lo, s10
	s_cbranch_vccnz .LBB306_2
; %bb.1:
	s_mul_i32 s2, s23, s8
	s_mov_b32 s3, 0
	s_add_i32 s2, s2, s7
	s_lshl_b64 s[24:25], s[2:3], 2
	s_add_u32 s0, s0, s24
	s_addc_u32 s1, s1, s25
	s_load_dword s19, s[0:1], 0x0
	s_cbranch_execz .LBB306_3
	s_branch .LBB306_4
.LBB306_2:
                                        ; implicit-def: $sgpr19
.LBB306_3:
	s_load_dwordx2 s[0:1], s[4:5], 0x5c
	s_waitcnt lgkmcnt(0)
	s_mul_hi_u32 s0, s0, s7
	s_add_i32 s0, s7, s0
	s_lshr_b32 s19, s0, s1
.LBB306_4:
	s_load_dwordx4 s[24:27], s[4:5], 0x68
	s_andn2_b32 vcc_lo, exec_lo, s9
	s_mov_b32 s23, s7
	s_cbranch_vccnz .LBB306_6
; %bb.5:
	s_mul_hi_u32 s0, s13, s7
	s_add_i32 s0, s7, s0
	s_lshr_b32 s0, s0, s14
	s_mul_i32 s0, s0, s15
	s_sub_i32 s23, s7, s0
.LBB306_6:
	s_load_dword s9, s[4:5], 0x78
	v_cmp_gt_u32_e32 vcc_lo, 32, v0
	v_lshl_add_u32 v5, v0, 2, 0
	s_and_saveexec_b32 s0, vcc_lo
; %bb.7:
	v_mov_b32_e32 v1, 0
	ds_write_b32 v5, v1
; %bb.8:
	s_or_b32 exec_lo, exec_lo, s0
	v_mov_b32_e32 v6, 0
	v_mov_b32_e32 v7, 0
	;; [unrolled: 1-line block ×3, first 2 shown]
	s_and_b32 s0, exec_lo, s10
	s_mov_b32 s11, 0
	s_cselect_b32 s10, s8, 0
	s_mov_b32 s13, exec_lo
	s_waitcnt lgkmcnt(0)
	s_barrier
	buffer_gl0_inv
	v_cmpx_gt_i32_e64 s12, v0
	s_cbranch_execz .LBB306_12
; %bb.9:
	s_load_dwordx4 s[0:3], s[4:5], 0x0
	s_mul_hi_u32 s27, s27, s10
	s_mul_hi_i32 s15, s21, s10
	s_mul_i32 s14, s21, s10
	s_mul_i32 s24, s19, s24
	;; [unrolled: 1-line block ×4, first 2 shown]
	s_add_i32 s16, s10, s27
	s_lshl_b64 s[34:35], s[14:15], 2
	s_ashr_i32 s25, s24, 31
	s_ashr_i32 s29, s28, 31
	;; [unrolled: 1-line block ×3, first 2 shown]
	s_lshr_b32 s9, s16, s9
	s_mov_b32 s8, s17
	s_mul_hi_i32 s21, s9, s20
	s_mul_i32 s20, s9, s20
	v_lshlrev_b32_e32 v2, 3, v0
	v_lshlrev_b32_e32 v1, 2, v0
	v_mov_b32_e32 v8, 0
	v_mov_b32_e32 v9, v0
	s_waitcnt lgkmcnt(0)
	s_add_u32 s14, s2, s34
	s_addc_u32 s15, s3, s35
	s_lshl_b64 s[30:31], s[30:31], 2
	v_mov_b32_e32 v7, 0
	s_add_u32 s14, s14, s30
	s_addc_u32 s15, s15, s31
	s_lshl_b64 s[24:25], s[24:25], 1
	s_ashr_i32 s9, s17, 31
	s_add_i32 s16, s17, s17
	s_lshl_b64 s[20:21], s[20:21], 1
	s_lshl_b64 s[28:29], s[28:29], 1
	s_add_u32 s0, s0, s24
	s_addc_u32 s1, s1, s25
	s_add_u32 s0, s0, s28
	s_addc_u32 s1, s1, s29
	;; [unrolled: 2-line block ×3, first 2 shown]
	s_lshl_b64 s[8:9], s[8:9], 3
	s_add_u32 s2, s2, s30
	s_addc_u32 s3, s3, s31
	s_add_u32 s2, s2, s34
	s_addc_u32 s3, s3, s35
	v_add_co_u32 v3, s2, s2, v2
	v_add_co_ci_u32_e64 v4, null, s3, 0, s2
	v_add_co_u32 v1, s0, s0, v1
	v_add_co_ci_u32_e64 v2, null, s1, 0, s0
	;; [unrolled: 2-line block ×3, first 2 shown]
	v_mov_b32_e32 v6, 0
	s_inst_prefetch 0x1
	.p2align	6
.LBB306_10:                             ; =>This Inner Loop Header: Depth=1
	v_add_nc_u32_e32 v10, s16, v9
	v_add_co_u32 v12, s0, v3, s8
	global_load_dword v16, v[1:2], off
	v_add_co_ci_u32_e64 v13, null, s9, v4, s0
	v_ashrrev_i32_e32 v11, 31, v10
	v_add_nc_u32_e32 v9, 0x60, v9
	v_lshlrev_b64 v[10:11], 3, v[10:11]
	v_add_co_u32 v10, s0, s14, v10
	v_add_co_ci_u32_e64 v11, null, s15, v11, s0
	s_clause 0x1
	global_load_dwordx2 v[14:15], v[3:4], off offset:-4
	global_load_dwordx2 v[12:13], v[12:13], off offset:-4
	global_load_dwordx2 v[10:11], v[10:11], off
	v_add_co_u32 v1, s0, 0x180, v1
	v_add_co_ci_u32_e64 v2, null, 0, v2, s0
	v_add_co_u32 v3, s0, 0x300, v3
	v_add_co_ci_u32_e64 v4, null, 0, v4, s0
	v_cmp_le_i32_e64 s0, s12, v9
	s_or_b32 s11, s0, s11
	s_waitcnt vmcnt(3)
	v_lshlrev_b32_e32 v17, 16, v16
	v_and_b32_e32 v16, 0xffff0000, v16
	s_waitcnt vmcnt(2)
	v_fmac_f32_e32 v8, v14, v17
	s_waitcnt vmcnt(1)
	v_fmac_f32_e32 v7, v12, v17
	;; [unrolled: 2-line block ×3, first 2 shown]
	v_fmac_f32_e32 v8, v15, v16
	v_fmac_f32_e32 v7, v13, v16
	;; [unrolled: 1-line block ×3, first 2 shown]
	s_andn2_b32 exec_lo, exec_lo, s11
	s_cbranch_execnz .LBB306_10
; %bb.11:
	s_inst_prefetch 0x2
	s_or_b32 exec_lo, exec_lo, s11
.LBB306_12:
	s_or_b32 exec_lo, exec_lo, s13
	v_mbcnt_lo_u32_b32 v2, -1, 0
	v_xor_b32_e32 v1, 16, v2
	v_xor_b32_e32 v3, 8, v2
	v_cmp_gt_i32_e64 s0, 32, v1
	v_cndmask_b32_e64 v1, v2, v1, s0
	v_cmp_gt_i32_e64 s0, 32, v3
	v_lshlrev_b32_e32 v1, 2, v1
	v_cndmask_b32_e64 v3, v2, v3, s0
	ds_bpermute_b32 v4, v1, v8
	v_lshlrev_b32_e32 v3, 2, v3
	s_waitcnt lgkmcnt(0)
	v_add_f32_e32 v8, v8, v4
	v_xor_b32_e32 v4, 4, v2
	ds_bpermute_b32 v9, v3, v8
	v_cmp_gt_i32_e64 s0, 32, v4
	v_cndmask_b32_e64 v4, v2, v4, s0
	v_lshlrev_b32_e32 v4, 2, v4
	s_waitcnt lgkmcnt(0)
	v_add_f32_e32 v9, v8, v9
	v_xor_b32_e32 v8, 2, v2
	ds_bpermute_b32 v10, v4, v9
	v_cmp_gt_i32_e64 s0, 32, v8
	v_cndmask_b32_e64 v8, v2, v8, s0
	v_lshlrev_b32_e32 v8, 2, v8
	s_waitcnt lgkmcnt(0)
	v_add_f32_e32 v10, v9, v10
	v_xor_b32_e32 v9, 1, v2
	ds_bpermute_b32 v11, v8, v10
	v_cmp_gt_i32_e64 s0, 32, v9
	v_cndmask_b32_e64 v2, v2, v9, s0
	v_lshlrev_b32_e32 v9, 2, v2
	s_waitcnt lgkmcnt(0)
	v_add_f32_e32 v2, v10, v11
	v_lshrrev_b32_e32 v10, 3, v0
	ds_bpermute_b32 v11, v9, v2
	v_and_b32_e32 v10, 0x7c, v10
	v_add_nc_u32_e32 v10, 0, v10
	s_waitcnt lgkmcnt(0)
	v_add_f32_e32 v2, v2, v11
	ds_write_b32 v10, v2
	s_waitcnt lgkmcnt(0)
	s_barrier
	buffer_gl0_inv
	s_and_saveexec_b32 s0, vcc_lo
	s_cbranch_execz .LBB306_14
; %bb.13:
	ds_read_b32 v2, v5
	s_waitcnt lgkmcnt(0)
	ds_bpermute_b32 v11, v1, v2
	s_waitcnt lgkmcnt(0)
	v_add_f32_e32 v2, v2, v11
	ds_bpermute_b32 v11, v3, v2
	s_waitcnt lgkmcnt(0)
	v_add_f32_e32 v2, v2, v11
	;; [unrolled: 3-line block ×5, first 2 shown]
.LBB306_14:
	s_or_b32 exec_lo, exec_lo, s0
	ds_bpermute_b32 v11, v1, v7
	s_waitcnt lgkmcnt(0)
	s_barrier
	buffer_gl0_inv
	v_add_f32_e32 v7, v7, v11
	ds_bpermute_b32 v11, v3, v7
	s_waitcnt lgkmcnt(0)
	v_add_f32_e32 v7, v7, v11
	ds_bpermute_b32 v11, v4, v7
	s_waitcnt lgkmcnt(0)
	;; [unrolled: 3-line block ×4, first 2 shown]
	v_add_f32_e32 v7, v7, v11
	ds_write_b32 v10, v7
	s_waitcnt lgkmcnt(0)
	s_barrier
	buffer_gl0_inv
	s_and_saveexec_b32 s0, vcc_lo
	s_cbranch_execz .LBB306_16
; %bb.15:
	ds_read_b32 v7, v5
	s_waitcnt lgkmcnt(0)
	ds_bpermute_b32 v11, v1, v7
	s_waitcnt lgkmcnt(0)
	v_add_f32_e32 v7, v7, v11
	ds_bpermute_b32 v11, v3, v7
	s_waitcnt lgkmcnt(0)
	v_add_f32_e32 v7, v7, v11
	;; [unrolled: 3-line block ×5, first 2 shown]
.LBB306_16:
	s_or_b32 exec_lo, exec_lo, s0
	ds_bpermute_b32 v11, v1, v6
	s_waitcnt lgkmcnt(0)
	s_barrier
	buffer_gl0_inv
	v_add_f32_e32 v6, v6, v11
	ds_bpermute_b32 v11, v3, v6
	s_waitcnt lgkmcnt(0)
	v_add_f32_e32 v6, v6, v11
	ds_bpermute_b32 v11, v4, v6
	s_waitcnt lgkmcnt(0)
	;; [unrolled: 3-line block ×4, first 2 shown]
	v_add_f32_e32 v6, v6, v11
	ds_write_b32 v10, v6
	s_waitcnt lgkmcnt(0)
	s_barrier
	buffer_gl0_inv
	s_and_saveexec_b32 s0, vcc_lo
	s_cbranch_execz .LBB306_18
; %bb.17:
	ds_read_b32 v5, v5
	s_waitcnt lgkmcnt(0)
	ds_bpermute_b32 v1, v1, v5
	s_waitcnt lgkmcnt(0)
	v_add_f32_e32 v1, v5, v1
	ds_bpermute_b32 v3, v3, v1
	s_waitcnt lgkmcnt(0)
	v_add_f32_e32 v1, v1, v3
	;; [unrolled: 3-line block ×5, first 2 shown]
.LBB306_18:
	s_or_b32 exec_lo, exec_lo, s0
	s_barrier
	buffer_gl0_inv
	s_mov_b32 s0, exec_lo
	v_cmpx_gt_u32_e32 3, v0
	s_cbranch_execz .LBB306_20
; %bb.19:
	s_load_dwordx2 s[0:1], s[4:5], 0x38
	v_mad_u64_u32 v[3:4], null, s18, v0, s[6:7]
	v_cmp_eq_u32_e32 vcc_lo, 1, v0
	s_mul_hi_i32 s3, s22, s10
	s_mul_i32 s2, s22, s10
	s_mul_i32 s4, s26, s7
	s_lshl_b64 s[2:3], s[2:3], 2
	v_cndmask_b32_e32 v5, v2, v7, vcc_lo
	v_ashrrev_i32_e32 v4, 31, v3
	s_ashr_i32 s5, s4, 31
	v_cmp_eq_u32_e32 vcc_lo, 2, v0
	v_lshlrev_b64 v[1:2], 2, v[3:4]
	v_cndmask_b32_e32 v3, v5, v6, vcc_lo
	s_waitcnt lgkmcnt(0)
	s_add_u32 s2, s0, s2
	s_addc_u32 s3, s1, s3
	s_lshl_b64 s[0:1], s[4:5], 2
	s_add_u32 s0, s2, s0
	s_addc_u32 s1, s3, s1
	v_add_co_u32 v0, vcc_lo, s0, v1
	v_add_co_ci_u32_e64 v1, null, s1, v2, vcc_lo
	global_store_dword v[0:1], v3, off
.LBB306_20:
	s_endpgm
	.section	.rodata,"a",@progbits
	.p2align	6, 0x0
	.amdhsa_kernel _ZL13mul_mat_vec_fI14__hip_bfloat16fLi3ELi96ELb0ELb0EEvPKT_PKfPKi31ggml_cuda_mm_fusion_args_devicePfi15HIP_vector_typeIjLj3EEiiiSB_iiiSB_iiii
		.amdhsa_group_segment_fixed_size 0
		.amdhsa_private_segment_fixed_size 0
		.amdhsa_kernarg_size 144
		.amdhsa_user_sgpr_count 6
		.amdhsa_user_sgpr_private_segment_buffer 1
		.amdhsa_user_sgpr_dispatch_ptr 0
		.amdhsa_user_sgpr_queue_ptr 0
		.amdhsa_user_sgpr_kernarg_segment_ptr 1
		.amdhsa_user_sgpr_dispatch_id 0
		.amdhsa_user_sgpr_flat_scratch_init 0
		.amdhsa_user_sgpr_private_segment_size 0
		.amdhsa_wavefront_size32 1
		.amdhsa_uses_dynamic_stack 0
		.amdhsa_system_sgpr_private_segment_wavefront_offset 0
		.amdhsa_system_sgpr_workgroup_id_x 1
		.amdhsa_system_sgpr_workgroup_id_y 1
		.amdhsa_system_sgpr_workgroup_id_z 1
		.amdhsa_system_sgpr_workgroup_info 0
		.amdhsa_system_vgpr_workitem_id 0
		.amdhsa_next_free_vgpr 18
		.amdhsa_next_free_sgpr 36
		.amdhsa_reserve_vcc 1
		.amdhsa_reserve_flat_scratch 0
		.amdhsa_float_round_mode_32 0
		.amdhsa_float_round_mode_16_64 0
		.amdhsa_float_denorm_mode_32 3
		.amdhsa_float_denorm_mode_16_64 3
		.amdhsa_dx10_clamp 1
		.amdhsa_ieee_mode 1
		.amdhsa_fp16_overflow 0
		.amdhsa_workgroup_processor_mode 1
		.amdhsa_memory_ordered 1
		.amdhsa_forward_progress 1
		.amdhsa_shared_vgpr_count 0
		.amdhsa_exception_fp_ieee_invalid_op 0
		.amdhsa_exception_fp_denorm_src 0
		.amdhsa_exception_fp_ieee_div_zero 0
		.amdhsa_exception_fp_ieee_overflow 0
		.amdhsa_exception_fp_ieee_underflow 0
		.amdhsa_exception_fp_ieee_inexact 0
		.amdhsa_exception_int_div_zero 0
	.end_amdhsa_kernel
	.section	.text._ZL13mul_mat_vec_fI14__hip_bfloat16fLi3ELi96ELb0ELb0EEvPKT_PKfPKi31ggml_cuda_mm_fusion_args_devicePfi15HIP_vector_typeIjLj3EEiiiSB_iiiSB_iiii,"axG",@progbits,_ZL13mul_mat_vec_fI14__hip_bfloat16fLi3ELi96ELb0ELb0EEvPKT_PKfPKi31ggml_cuda_mm_fusion_args_devicePfi15HIP_vector_typeIjLj3EEiiiSB_iiiSB_iiii,comdat
.Lfunc_end306:
	.size	_ZL13mul_mat_vec_fI14__hip_bfloat16fLi3ELi96ELb0ELb0EEvPKT_PKfPKi31ggml_cuda_mm_fusion_args_devicePfi15HIP_vector_typeIjLj3EEiiiSB_iiiSB_iiii, .Lfunc_end306-_ZL13mul_mat_vec_fI14__hip_bfloat16fLi3ELi96ELb0ELb0EEvPKT_PKfPKi31ggml_cuda_mm_fusion_args_devicePfi15HIP_vector_typeIjLj3EEiiiSB_iiiSB_iiii
                                        ; -- End function
	.set _ZL13mul_mat_vec_fI14__hip_bfloat16fLi3ELi96ELb0ELb0EEvPKT_PKfPKi31ggml_cuda_mm_fusion_args_devicePfi15HIP_vector_typeIjLj3EEiiiSB_iiiSB_iiii.num_vgpr, 18
	.set _ZL13mul_mat_vec_fI14__hip_bfloat16fLi3ELi96ELb0ELb0EEvPKT_PKfPKi31ggml_cuda_mm_fusion_args_devicePfi15HIP_vector_typeIjLj3EEiiiSB_iiiSB_iiii.num_agpr, 0
	.set _ZL13mul_mat_vec_fI14__hip_bfloat16fLi3ELi96ELb0ELb0EEvPKT_PKfPKi31ggml_cuda_mm_fusion_args_devicePfi15HIP_vector_typeIjLj3EEiiiSB_iiiSB_iiii.numbered_sgpr, 36
	.set _ZL13mul_mat_vec_fI14__hip_bfloat16fLi3ELi96ELb0ELb0EEvPKT_PKfPKi31ggml_cuda_mm_fusion_args_devicePfi15HIP_vector_typeIjLj3EEiiiSB_iiiSB_iiii.num_named_barrier, 0
	.set _ZL13mul_mat_vec_fI14__hip_bfloat16fLi3ELi96ELb0ELb0EEvPKT_PKfPKi31ggml_cuda_mm_fusion_args_devicePfi15HIP_vector_typeIjLj3EEiiiSB_iiiSB_iiii.private_seg_size, 0
	.set _ZL13mul_mat_vec_fI14__hip_bfloat16fLi3ELi96ELb0ELb0EEvPKT_PKfPKi31ggml_cuda_mm_fusion_args_devicePfi15HIP_vector_typeIjLj3EEiiiSB_iiiSB_iiii.uses_vcc, 1
	.set _ZL13mul_mat_vec_fI14__hip_bfloat16fLi3ELi96ELb0ELb0EEvPKT_PKfPKi31ggml_cuda_mm_fusion_args_devicePfi15HIP_vector_typeIjLj3EEiiiSB_iiiSB_iiii.uses_flat_scratch, 0
	.set _ZL13mul_mat_vec_fI14__hip_bfloat16fLi3ELi96ELb0ELb0EEvPKT_PKfPKi31ggml_cuda_mm_fusion_args_devicePfi15HIP_vector_typeIjLj3EEiiiSB_iiiSB_iiii.has_dyn_sized_stack, 0
	.set _ZL13mul_mat_vec_fI14__hip_bfloat16fLi3ELi96ELb0ELb0EEvPKT_PKfPKi31ggml_cuda_mm_fusion_args_devicePfi15HIP_vector_typeIjLj3EEiiiSB_iiiSB_iiii.has_recursion, 0
	.set _ZL13mul_mat_vec_fI14__hip_bfloat16fLi3ELi96ELb0ELb0EEvPKT_PKfPKi31ggml_cuda_mm_fusion_args_devicePfi15HIP_vector_typeIjLj3EEiiiSB_iiiSB_iiii.has_indirect_call, 0
	.section	.AMDGPU.csdata,"",@progbits
; Kernel info:
; codeLenInByte = 1660
; TotalNumSgprs: 38
; NumVgprs: 18
; ScratchSize: 0
; MemoryBound: 0
; FloatMode: 240
; IeeeMode: 1
; LDSByteSize: 0 bytes/workgroup (compile time only)
; SGPRBlocks: 0
; VGPRBlocks: 2
; NumSGPRsForWavesPerEU: 38
; NumVGPRsForWavesPerEU: 18
; Occupancy: 16
; WaveLimiterHint : 0
; COMPUTE_PGM_RSRC2:SCRATCH_EN: 0
; COMPUTE_PGM_RSRC2:USER_SGPR: 6
; COMPUTE_PGM_RSRC2:TRAP_HANDLER: 0
; COMPUTE_PGM_RSRC2:TGID_X_EN: 1
; COMPUTE_PGM_RSRC2:TGID_Y_EN: 1
; COMPUTE_PGM_RSRC2:TGID_Z_EN: 1
; COMPUTE_PGM_RSRC2:TIDIG_COMP_CNT: 0
	.section	.text._ZL13mul_mat_vec_fI14__hip_bfloat16fLi3ELi128ELb0ELb0EEvPKT_PKfPKi31ggml_cuda_mm_fusion_args_devicePfi15HIP_vector_typeIjLj3EEiiiSB_iiiSB_iiii,"axG",@progbits,_ZL13mul_mat_vec_fI14__hip_bfloat16fLi3ELi128ELb0ELb0EEvPKT_PKfPKi31ggml_cuda_mm_fusion_args_devicePfi15HIP_vector_typeIjLj3EEiiiSB_iiiSB_iiii,comdat
	.globl	_ZL13mul_mat_vec_fI14__hip_bfloat16fLi3ELi128ELb0ELb0EEvPKT_PKfPKi31ggml_cuda_mm_fusion_args_devicePfi15HIP_vector_typeIjLj3EEiiiSB_iiiSB_iiii ; -- Begin function _ZL13mul_mat_vec_fI14__hip_bfloat16fLi3ELi128ELb0ELb0EEvPKT_PKfPKi31ggml_cuda_mm_fusion_args_devicePfi15HIP_vector_typeIjLj3EEiiiSB_iiiSB_iiii
	.p2align	8
	.type	_ZL13mul_mat_vec_fI14__hip_bfloat16fLi3ELi128ELb0ELb0EEvPKT_PKfPKi31ggml_cuda_mm_fusion_args_devicePfi15HIP_vector_typeIjLj3EEiiiSB_iiiSB_iiii,@function
_ZL13mul_mat_vec_fI14__hip_bfloat16fLi3ELi128ELb0ELb0EEvPKT_PKfPKi31ggml_cuda_mm_fusion_args_devicePfi15HIP_vector_typeIjLj3EEiiiSB_iiiSB_iiii: ; @_ZL13mul_mat_vec_fI14__hip_bfloat16fLi3ELi128ELb0ELb0EEvPKT_PKfPKi31ggml_cuda_mm_fusion_args_devicePfi15HIP_vector_typeIjLj3EEiiiSB_iiiSB_iiii
; %bb.0:
	s_clause 0x2
	s_load_dwordx2 s[0:1], s[4:5], 0x10
	s_load_dwordx8 s[12:19], s[4:5], 0x40
	s_load_dwordx4 s[20:23], s[4:5], 0x80
	s_waitcnt lgkmcnt(0)
	s_cmp_eq_u64 s[0:1], 0
	s_cselect_b32 s10, -1, 0
	s_cmp_lg_u64 s[0:1], 0
	s_cselect_b32 s9, -1, 0
	s_and_b32 vcc_lo, exec_lo, s10
	s_cbranch_vccnz .LBB307_2
; %bb.1:
	s_mul_i32 s2, s23, s8
	s_mov_b32 s3, 0
	s_add_i32 s2, s2, s7
	s_lshl_b64 s[24:25], s[2:3], 2
	s_add_u32 s0, s0, s24
	s_addc_u32 s1, s1, s25
	s_load_dword s19, s[0:1], 0x0
	s_cbranch_execz .LBB307_3
	s_branch .LBB307_4
.LBB307_2:
                                        ; implicit-def: $sgpr19
.LBB307_3:
	s_load_dwordx2 s[0:1], s[4:5], 0x5c
	s_waitcnt lgkmcnt(0)
	s_mul_hi_u32 s0, s0, s7
	s_add_i32 s0, s7, s0
	s_lshr_b32 s19, s0, s1
.LBB307_4:
	s_load_dwordx4 s[24:27], s[4:5], 0x68
	s_andn2_b32 vcc_lo, exec_lo, s9
	s_mov_b32 s23, s7
	s_cbranch_vccnz .LBB307_6
; %bb.5:
	s_mul_hi_u32 s0, s13, s7
	s_add_i32 s0, s7, s0
	s_lshr_b32 s0, s0, s14
	s_mul_i32 s0, s0, s15
	s_sub_i32 s23, s7, s0
.LBB307_6:
	s_load_dword s9, s[4:5], 0x78
	v_cmp_gt_u32_e32 vcc_lo, 32, v0
	v_lshl_add_u32 v5, v0, 2, 0
	s_and_saveexec_b32 s0, vcc_lo
; %bb.7:
	v_mov_b32_e32 v1, 0
	ds_write_b32 v5, v1
; %bb.8:
	s_or_b32 exec_lo, exec_lo, s0
	v_mov_b32_e32 v6, 0
	v_mov_b32_e32 v7, 0
	;; [unrolled: 1-line block ×3, first 2 shown]
	s_and_b32 s0, exec_lo, s10
	s_mov_b32 s11, 0
	s_cselect_b32 s10, s8, 0
	s_mov_b32 s13, exec_lo
	s_waitcnt lgkmcnt(0)
	s_barrier
	buffer_gl0_inv
	v_cmpx_gt_i32_e64 s12, v0
	s_cbranch_execz .LBB307_12
; %bb.9:
	s_load_dwordx4 s[0:3], s[4:5], 0x0
	s_mul_hi_u32 s27, s27, s10
	s_mul_hi_i32 s15, s21, s10
	s_mul_i32 s14, s21, s10
	s_mul_i32 s24, s19, s24
	s_mul_i32 s28, s16, s6
	s_mul_i32 s30, s23, s25
	s_add_i32 s16, s10, s27
	s_lshl_b64 s[34:35], s[14:15], 2
	s_ashr_i32 s25, s24, 31
	s_ashr_i32 s29, s28, 31
	;; [unrolled: 1-line block ×3, first 2 shown]
	s_lshr_b32 s9, s16, s9
	s_mov_b32 s8, s17
	s_mul_hi_i32 s21, s9, s20
	s_mul_i32 s20, s9, s20
	v_lshlrev_b32_e32 v2, 3, v0
	v_lshlrev_b32_e32 v1, 2, v0
	v_mov_b32_e32 v8, 0
	v_mov_b32_e32 v9, v0
	s_waitcnt lgkmcnt(0)
	s_add_u32 s14, s2, s34
	s_addc_u32 s15, s3, s35
	s_lshl_b64 s[30:31], s[30:31], 2
	v_mov_b32_e32 v7, 0
	s_add_u32 s14, s14, s30
	s_addc_u32 s15, s15, s31
	s_lshl_b64 s[24:25], s[24:25], 1
	s_ashr_i32 s9, s17, 31
	s_add_i32 s16, s17, s17
	s_lshl_b64 s[20:21], s[20:21], 1
	s_lshl_b64 s[28:29], s[28:29], 1
	s_add_u32 s0, s0, s24
	s_addc_u32 s1, s1, s25
	s_add_u32 s0, s0, s28
	s_addc_u32 s1, s1, s29
	;; [unrolled: 2-line block ×3, first 2 shown]
	s_lshl_b64 s[8:9], s[8:9], 3
	s_add_u32 s2, s2, s30
	s_addc_u32 s3, s3, s31
	s_add_u32 s2, s2, s34
	s_addc_u32 s3, s3, s35
	v_add_co_u32 v3, s2, s2, v2
	v_add_co_ci_u32_e64 v4, null, s3, 0, s2
	v_add_co_u32 v1, s0, s0, v1
	v_add_co_ci_u32_e64 v2, null, s1, 0, s0
	;; [unrolled: 2-line block ×3, first 2 shown]
	v_mov_b32_e32 v6, 0
	s_inst_prefetch 0x1
	.p2align	6
.LBB307_10:                             ; =>This Inner Loop Header: Depth=1
	v_add_nc_u32_e32 v10, s16, v9
	v_add_co_u32 v12, s0, v3, s8
	global_load_dword v16, v[1:2], off
	v_add_co_ci_u32_e64 v13, null, s9, v4, s0
	v_ashrrev_i32_e32 v11, 31, v10
	v_add_nc_u32_e32 v9, 0x80, v9
	v_lshlrev_b64 v[10:11], 3, v[10:11]
	v_add_co_u32 v10, s0, s14, v10
	v_add_co_ci_u32_e64 v11, null, s15, v11, s0
	s_clause 0x1
	global_load_dwordx2 v[14:15], v[3:4], off offset:-4
	global_load_dwordx2 v[12:13], v[12:13], off offset:-4
	global_load_dwordx2 v[10:11], v[10:11], off
	v_add_co_u32 v1, s0, 0x200, v1
	v_add_co_ci_u32_e64 v2, null, 0, v2, s0
	v_add_co_u32 v3, s0, 0x400, v3
	v_add_co_ci_u32_e64 v4, null, 0, v4, s0
	v_cmp_le_i32_e64 s0, s12, v9
	s_or_b32 s11, s0, s11
	s_waitcnt vmcnt(3)
	v_lshlrev_b32_e32 v17, 16, v16
	v_and_b32_e32 v16, 0xffff0000, v16
	s_waitcnt vmcnt(2)
	v_fmac_f32_e32 v8, v14, v17
	s_waitcnt vmcnt(1)
	v_fmac_f32_e32 v7, v12, v17
	;; [unrolled: 2-line block ×3, first 2 shown]
	v_fmac_f32_e32 v8, v15, v16
	v_fmac_f32_e32 v7, v13, v16
	;; [unrolled: 1-line block ×3, first 2 shown]
	s_andn2_b32 exec_lo, exec_lo, s11
	s_cbranch_execnz .LBB307_10
; %bb.11:
	s_inst_prefetch 0x2
	s_or_b32 exec_lo, exec_lo, s11
.LBB307_12:
	s_or_b32 exec_lo, exec_lo, s13
	v_mbcnt_lo_u32_b32 v2, -1, 0
	v_xor_b32_e32 v1, 16, v2
	v_xor_b32_e32 v3, 8, v2
	v_cmp_gt_i32_e64 s0, 32, v1
	v_cndmask_b32_e64 v1, v2, v1, s0
	v_cmp_gt_i32_e64 s0, 32, v3
	v_lshlrev_b32_e32 v1, 2, v1
	v_cndmask_b32_e64 v3, v2, v3, s0
	ds_bpermute_b32 v4, v1, v8
	v_lshlrev_b32_e32 v3, 2, v3
	s_waitcnt lgkmcnt(0)
	v_add_f32_e32 v8, v8, v4
	v_xor_b32_e32 v4, 4, v2
	ds_bpermute_b32 v9, v3, v8
	v_cmp_gt_i32_e64 s0, 32, v4
	v_cndmask_b32_e64 v4, v2, v4, s0
	v_lshlrev_b32_e32 v4, 2, v4
	s_waitcnt lgkmcnt(0)
	v_add_f32_e32 v9, v8, v9
	v_xor_b32_e32 v8, 2, v2
	ds_bpermute_b32 v10, v4, v9
	v_cmp_gt_i32_e64 s0, 32, v8
	v_cndmask_b32_e64 v8, v2, v8, s0
	;; [unrolled: 7-line block ×3, first 2 shown]
	v_lshlrev_b32_e32 v9, 2, v2
	s_waitcnt lgkmcnt(0)
	v_add_f32_e32 v2, v10, v11
	v_lshrrev_b32_e32 v10, 3, v0
	ds_bpermute_b32 v11, v9, v2
	v_and_b32_e32 v10, 0x7c, v10
	v_add_nc_u32_e32 v10, 0, v10
	s_waitcnt lgkmcnt(0)
	v_add_f32_e32 v2, v2, v11
	ds_write_b32 v10, v2
	s_waitcnt lgkmcnt(0)
	s_barrier
	buffer_gl0_inv
	s_and_saveexec_b32 s0, vcc_lo
	s_cbranch_execz .LBB307_14
; %bb.13:
	ds_read_b32 v2, v5
	s_waitcnt lgkmcnt(0)
	ds_bpermute_b32 v11, v1, v2
	s_waitcnt lgkmcnt(0)
	v_add_f32_e32 v2, v2, v11
	ds_bpermute_b32 v11, v3, v2
	s_waitcnt lgkmcnt(0)
	v_add_f32_e32 v2, v2, v11
	;; [unrolled: 3-line block ×5, first 2 shown]
.LBB307_14:
	s_or_b32 exec_lo, exec_lo, s0
	ds_bpermute_b32 v11, v1, v7
	s_waitcnt lgkmcnt(0)
	s_barrier
	buffer_gl0_inv
	v_add_f32_e32 v7, v7, v11
	ds_bpermute_b32 v11, v3, v7
	s_waitcnt lgkmcnt(0)
	v_add_f32_e32 v7, v7, v11
	ds_bpermute_b32 v11, v4, v7
	s_waitcnt lgkmcnt(0)
	;; [unrolled: 3-line block ×4, first 2 shown]
	v_add_f32_e32 v7, v7, v11
	ds_write_b32 v10, v7
	s_waitcnt lgkmcnt(0)
	s_barrier
	buffer_gl0_inv
	s_and_saveexec_b32 s0, vcc_lo
	s_cbranch_execz .LBB307_16
; %bb.15:
	ds_read_b32 v7, v5
	s_waitcnt lgkmcnt(0)
	ds_bpermute_b32 v11, v1, v7
	s_waitcnt lgkmcnt(0)
	v_add_f32_e32 v7, v7, v11
	ds_bpermute_b32 v11, v3, v7
	s_waitcnt lgkmcnt(0)
	v_add_f32_e32 v7, v7, v11
	ds_bpermute_b32 v11, v4, v7
	s_waitcnt lgkmcnt(0)
	v_add_f32_e32 v7, v7, v11
	ds_bpermute_b32 v11, v8, v7
	s_waitcnt lgkmcnt(0)
	v_add_f32_e32 v7, v7, v11
	ds_bpermute_b32 v11, v9, v7
	s_waitcnt lgkmcnt(0)
	v_add_f32_e32 v7, v7, v11
.LBB307_16:
	s_or_b32 exec_lo, exec_lo, s0
	ds_bpermute_b32 v11, v1, v6
	s_waitcnt lgkmcnt(0)
	s_barrier
	buffer_gl0_inv
	v_add_f32_e32 v6, v6, v11
	ds_bpermute_b32 v11, v3, v6
	s_waitcnt lgkmcnt(0)
	v_add_f32_e32 v6, v6, v11
	ds_bpermute_b32 v11, v4, v6
	s_waitcnt lgkmcnt(0)
	;; [unrolled: 3-line block ×4, first 2 shown]
	v_add_f32_e32 v6, v6, v11
	ds_write_b32 v10, v6
	s_waitcnt lgkmcnt(0)
	s_barrier
	buffer_gl0_inv
	s_and_saveexec_b32 s0, vcc_lo
	s_cbranch_execz .LBB307_18
; %bb.17:
	ds_read_b32 v5, v5
	s_waitcnt lgkmcnt(0)
	ds_bpermute_b32 v1, v1, v5
	s_waitcnt lgkmcnt(0)
	v_add_f32_e32 v1, v5, v1
	ds_bpermute_b32 v3, v3, v1
	s_waitcnt lgkmcnt(0)
	v_add_f32_e32 v1, v1, v3
	;; [unrolled: 3-line block ×5, first 2 shown]
.LBB307_18:
	s_or_b32 exec_lo, exec_lo, s0
	s_barrier
	buffer_gl0_inv
	s_mov_b32 s0, exec_lo
	v_cmpx_gt_u32_e32 3, v0
	s_cbranch_execz .LBB307_20
; %bb.19:
	s_load_dwordx2 s[0:1], s[4:5], 0x38
	v_mad_u64_u32 v[3:4], null, s18, v0, s[6:7]
	v_cmp_eq_u32_e32 vcc_lo, 1, v0
	s_mul_hi_i32 s3, s22, s10
	s_mul_i32 s2, s22, s10
	s_mul_i32 s4, s26, s7
	s_lshl_b64 s[2:3], s[2:3], 2
	v_cndmask_b32_e32 v5, v2, v7, vcc_lo
	v_ashrrev_i32_e32 v4, 31, v3
	s_ashr_i32 s5, s4, 31
	v_cmp_eq_u32_e32 vcc_lo, 2, v0
	v_lshlrev_b64 v[1:2], 2, v[3:4]
	v_cndmask_b32_e32 v3, v5, v6, vcc_lo
	s_waitcnt lgkmcnt(0)
	s_add_u32 s2, s0, s2
	s_addc_u32 s3, s1, s3
	s_lshl_b64 s[0:1], s[4:5], 2
	s_add_u32 s0, s2, s0
	s_addc_u32 s1, s3, s1
	v_add_co_u32 v0, vcc_lo, s0, v1
	v_add_co_ci_u32_e64 v1, null, s1, v2, vcc_lo
	global_store_dword v[0:1], v3, off
.LBB307_20:
	s_endpgm
	.section	.rodata,"a",@progbits
	.p2align	6, 0x0
	.amdhsa_kernel _ZL13mul_mat_vec_fI14__hip_bfloat16fLi3ELi128ELb0ELb0EEvPKT_PKfPKi31ggml_cuda_mm_fusion_args_devicePfi15HIP_vector_typeIjLj3EEiiiSB_iiiSB_iiii
		.amdhsa_group_segment_fixed_size 0
		.amdhsa_private_segment_fixed_size 0
		.amdhsa_kernarg_size 144
		.amdhsa_user_sgpr_count 6
		.amdhsa_user_sgpr_private_segment_buffer 1
		.amdhsa_user_sgpr_dispatch_ptr 0
		.amdhsa_user_sgpr_queue_ptr 0
		.amdhsa_user_sgpr_kernarg_segment_ptr 1
		.amdhsa_user_sgpr_dispatch_id 0
		.amdhsa_user_sgpr_flat_scratch_init 0
		.amdhsa_user_sgpr_private_segment_size 0
		.amdhsa_wavefront_size32 1
		.amdhsa_uses_dynamic_stack 0
		.amdhsa_system_sgpr_private_segment_wavefront_offset 0
		.amdhsa_system_sgpr_workgroup_id_x 1
		.amdhsa_system_sgpr_workgroup_id_y 1
		.amdhsa_system_sgpr_workgroup_id_z 1
		.amdhsa_system_sgpr_workgroup_info 0
		.amdhsa_system_vgpr_workitem_id 0
		.amdhsa_next_free_vgpr 18
		.amdhsa_next_free_sgpr 36
		.amdhsa_reserve_vcc 1
		.amdhsa_reserve_flat_scratch 0
		.amdhsa_float_round_mode_32 0
		.amdhsa_float_round_mode_16_64 0
		.amdhsa_float_denorm_mode_32 3
		.amdhsa_float_denorm_mode_16_64 3
		.amdhsa_dx10_clamp 1
		.amdhsa_ieee_mode 1
		.amdhsa_fp16_overflow 0
		.amdhsa_workgroup_processor_mode 1
		.amdhsa_memory_ordered 1
		.amdhsa_forward_progress 1
		.amdhsa_shared_vgpr_count 0
		.amdhsa_exception_fp_ieee_invalid_op 0
		.amdhsa_exception_fp_denorm_src 0
		.amdhsa_exception_fp_ieee_div_zero 0
		.amdhsa_exception_fp_ieee_overflow 0
		.amdhsa_exception_fp_ieee_underflow 0
		.amdhsa_exception_fp_ieee_inexact 0
		.amdhsa_exception_int_div_zero 0
	.end_amdhsa_kernel
	.section	.text._ZL13mul_mat_vec_fI14__hip_bfloat16fLi3ELi128ELb0ELb0EEvPKT_PKfPKi31ggml_cuda_mm_fusion_args_devicePfi15HIP_vector_typeIjLj3EEiiiSB_iiiSB_iiii,"axG",@progbits,_ZL13mul_mat_vec_fI14__hip_bfloat16fLi3ELi128ELb0ELb0EEvPKT_PKfPKi31ggml_cuda_mm_fusion_args_devicePfi15HIP_vector_typeIjLj3EEiiiSB_iiiSB_iiii,comdat
.Lfunc_end307:
	.size	_ZL13mul_mat_vec_fI14__hip_bfloat16fLi3ELi128ELb0ELb0EEvPKT_PKfPKi31ggml_cuda_mm_fusion_args_devicePfi15HIP_vector_typeIjLj3EEiiiSB_iiiSB_iiii, .Lfunc_end307-_ZL13mul_mat_vec_fI14__hip_bfloat16fLi3ELi128ELb0ELb0EEvPKT_PKfPKi31ggml_cuda_mm_fusion_args_devicePfi15HIP_vector_typeIjLj3EEiiiSB_iiiSB_iiii
                                        ; -- End function
	.set _ZL13mul_mat_vec_fI14__hip_bfloat16fLi3ELi128ELb0ELb0EEvPKT_PKfPKi31ggml_cuda_mm_fusion_args_devicePfi15HIP_vector_typeIjLj3EEiiiSB_iiiSB_iiii.num_vgpr, 18
	.set _ZL13mul_mat_vec_fI14__hip_bfloat16fLi3ELi128ELb0ELb0EEvPKT_PKfPKi31ggml_cuda_mm_fusion_args_devicePfi15HIP_vector_typeIjLj3EEiiiSB_iiiSB_iiii.num_agpr, 0
	.set _ZL13mul_mat_vec_fI14__hip_bfloat16fLi3ELi128ELb0ELb0EEvPKT_PKfPKi31ggml_cuda_mm_fusion_args_devicePfi15HIP_vector_typeIjLj3EEiiiSB_iiiSB_iiii.numbered_sgpr, 36
	.set _ZL13mul_mat_vec_fI14__hip_bfloat16fLi3ELi128ELb0ELb0EEvPKT_PKfPKi31ggml_cuda_mm_fusion_args_devicePfi15HIP_vector_typeIjLj3EEiiiSB_iiiSB_iiii.num_named_barrier, 0
	.set _ZL13mul_mat_vec_fI14__hip_bfloat16fLi3ELi128ELb0ELb0EEvPKT_PKfPKi31ggml_cuda_mm_fusion_args_devicePfi15HIP_vector_typeIjLj3EEiiiSB_iiiSB_iiii.private_seg_size, 0
	.set _ZL13mul_mat_vec_fI14__hip_bfloat16fLi3ELi128ELb0ELb0EEvPKT_PKfPKi31ggml_cuda_mm_fusion_args_devicePfi15HIP_vector_typeIjLj3EEiiiSB_iiiSB_iiii.uses_vcc, 1
	.set _ZL13mul_mat_vec_fI14__hip_bfloat16fLi3ELi128ELb0ELb0EEvPKT_PKfPKi31ggml_cuda_mm_fusion_args_devicePfi15HIP_vector_typeIjLj3EEiiiSB_iiiSB_iiii.uses_flat_scratch, 0
	.set _ZL13mul_mat_vec_fI14__hip_bfloat16fLi3ELi128ELb0ELb0EEvPKT_PKfPKi31ggml_cuda_mm_fusion_args_devicePfi15HIP_vector_typeIjLj3EEiiiSB_iiiSB_iiii.has_dyn_sized_stack, 0
	.set _ZL13mul_mat_vec_fI14__hip_bfloat16fLi3ELi128ELb0ELb0EEvPKT_PKfPKi31ggml_cuda_mm_fusion_args_devicePfi15HIP_vector_typeIjLj3EEiiiSB_iiiSB_iiii.has_recursion, 0
	.set _ZL13mul_mat_vec_fI14__hip_bfloat16fLi3ELi128ELb0ELb0EEvPKT_PKfPKi31ggml_cuda_mm_fusion_args_devicePfi15HIP_vector_typeIjLj3EEiiiSB_iiiSB_iiii.has_indirect_call, 0
	.section	.AMDGPU.csdata,"",@progbits
; Kernel info:
; codeLenInByte = 1660
; TotalNumSgprs: 38
; NumVgprs: 18
; ScratchSize: 0
; MemoryBound: 0
; FloatMode: 240
; IeeeMode: 1
; LDSByteSize: 0 bytes/workgroup (compile time only)
; SGPRBlocks: 0
; VGPRBlocks: 2
; NumSGPRsForWavesPerEU: 38
; NumVGPRsForWavesPerEU: 18
; Occupancy: 16
; WaveLimiterHint : 0
; COMPUTE_PGM_RSRC2:SCRATCH_EN: 0
; COMPUTE_PGM_RSRC2:USER_SGPR: 6
; COMPUTE_PGM_RSRC2:TRAP_HANDLER: 0
; COMPUTE_PGM_RSRC2:TGID_X_EN: 1
; COMPUTE_PGM_RSRC2:TGID_Y_EN: 1
; COMPUTE_PGM_RSRC2:TGID_Z_EN: 1
; COMPUTE_PGM_RSRC2:TIDIG_COMP_CNT: 0
	.section	.text._ZL13mul_mat_vec_fI14__hip_bfloat16fLi3ELi160ELb0ELb0EEvPKT_PKfPKi31ggml_cuda_mm_fusion_args_devicePfi15HIP_vector_typeIjLj3EEiiiSB_iiiSB_iiii,"axG",@progbits,_ZL13mul_mat_vec_fI14__hip_bfloat16fLi3ELi160ELb0ELb0EEvPKT_PKfPKi31ggml_cuda_mm_fusion_args_devicePfi15HIP_vector_typeIjLj3EEiiiSB_iiiSB_iiii,comdat
	.globl	_ZL13mul_mat_vec_fI14__hip_bfloat16fLi3ELi160ELb0ELb0EEvPKT_PKfPKi31ggml_cuda_mm_fusion_args_devicePfi15HIP_vector_typeIjLj3EEiiiSB_iiiSB_iiii ; -- Begin function _ZL13mul_mat_vec_fI14__hip_bfloat16fLi3ELi160ELb0ELb0EEvPKT_PKfPKi31ggml_cuda_mm_fusion_args_devicePfi15HIP_vector_typeIjLj3EEiiiSB_iiiSB_iiii
	.p2align	8
	.type	_ZL13mul_mat_vec_fI14__hip_bfloat16fLi3ELi160ELb0ELb0EEvPKT_PKfPKi31ggml_cuda_mm_fusion_args_devicePfi15HIP_vector_typeIjLj3EEiiiSB_iiiSB_iiii,@function
_ZL13mul_mat_vec_fI14__hip_bfloat16fLi3ELi160ELb0ELb0EEvPKT_PKfPKi31ggml_cuda_mm_fusion_args_devicePfi15HIP_vector_typeIjLj3EEiiiSB_iiiSB_iiii: ; @_ZL13mul_mat_vec_fI14__hip_bfloat16fLi3ELi160ELb0ELb0EEvPKT_PKfPKi31ggml_cuda_mm_fusion_args_devicePfi15HIP_vector_typeIjLj3EEiiiSB_iiiSB_iiii
; %bb.0:
	s_clause 0x2
	s_load_dwordx2 s[0:1], s[4:5], 0x10
	s_load_dwordx8 s[12:19], s[4:5], 0x40
	s_load_dwordx4 s[20:23], s[4:5], 0x80
	s_waitcnt lgkmcnt(0)
	s_cmp_eq_u64 s[0:1], 0
	s_cselect_b32 s10, -1, 0
	s_cmp_lg_u64 s[0:1], 0
	s_cselect_b32 s9, -1, 0
	s_and_b32 vcc_lo, exec_lo, s10
	s_cbranch_vccnz .LBB308_2
; %bb.1:
	s_mul_i32 s2, s23, s8
	s_mov_b32 s3, 0
	s_add_i32 s2, s2, s7
	s_lshl_b64 s[24:25], s[2:3], 2
	s_add_u32 s0, s0, s24
	s_addc_u32 s1, s1, s25
	s_load_dword s19, s[0:1], 0x0
	s_cbranch_execz .LBB308_3
	s_branch .LBB308_4
.LBB308_2:
                                        ; implicit-def: $sgpr19
.LBB308_3:
	s_load_dwordx2 s[0:1], s[4:5], 0x5c
	s_waitcnt lgkmcnt(0)
	s_mul_hi_u32 s0, s0, s7
	s_add_i32 s0, s7, s0
	s_lshr_b32 s19, s0, s1
.LBB308_4:
	s_load_dwordx4 s[24:27], s[4:5], 0x68
	s_andn2_b32 vcc_lo, exec_lo, s9
	s_mov_b32 s23, s7
	s_cbranch_vccnz .LBB308_6
; %bb.5:
	s_mul_hi_u32 s0, s13, s7
	s_add_i32 s0, s7, s0
	s_lshr_b32 s0, s0, s14
	s_mul_i32 s0, s0, s15
	s_sub_i32 s23, s7, s0
.LBB308_6:
	s_load_dword s9, s[4:5], 0x78
	v_cmp_gt_u32_e32 vcc_lo, 32, v0
	v_lshl_add_u32 v5, v0, 2, 0
	s_and_saveexec_b32 s0, vcc_lo
; %bb.7:
	v_mov_b32_e32 v1, 0
	ds_write_b32 v5, v1
; %bb.8:
	s_or_b32 exec_lo, exec_lo, s0
	v_mov_b32_e32 v6, 0
	v_mov_b32_e32 v7, 0
	;; [unrolled: 1-line block ×3, first 2 shown]
	s_and_b32 s0, exec_lo, s10
	s_mov_b32 s11, 0
	s_cselect_b32 s10, s8, 0
	s_mov_b32 s13, exec_lo
	s_waitcnt lgkmcnt(0)
	s_barrier
	buffer_gl0_inv
	v_cmpx_gt_i32_e64 s12, v0
	s_cbranch_execz .LBB308_12
; %bb.9:
	s_load_dwordx4 s[0:3], s[4:5], 0x0
	s_mul_hi_u32 s27, s27, s10
	s_mul_hi_i32 s15, s21, s10
	s_mul_i32 s14, s21, s10
	s_mul_i32 s24, s19, s24
	s_mul_i32 s28, s16, s6
	s_mul_i32 s30, s23, s25
	s_add_i32 s16, s10, s27
	s_lshl_b64 s[34:35], s[14:15], 2
	s_ashr_i32 s25, s24, 31
	s_ashr_i32 s29, s28, 31
	s_ashr_i32 s31, s30, 31
	s_lshr_b32 s9, s16, s9
	s_mov_b32 s8, s17
	s_mul_hi_i32 s21, s9, s20
	s_mul_i32 s20, s9, s20
	v_lshlrev_b32_e32 v2, 3, v0
	v_lshlrev_b32_e32 v1, 2, v0
	v_mov_b32_e32 v8, 0
	v_mov_b32_e32 v9, v0
	s_waitcnt lgkmcnt(0)
	s_add_u32 s14, s2, s34
	s_addc_u32 s15, s3, s35
	s_lshl_b64 s[30:31], s[30:31], 2
	v_mov_b32_e32 v7, 0
	s_add_u32 s14, s14, s30
	s_addc_u32 s15, s15, s31
	s_lshl_b64 s[24:25], s[24:25], 1
	s_ashr_i32 s9, s17, 31
	s_add_i32 s16, s17, s17
	s_lshl_b64 s[20:21], s[20:21], 1
	s_lshl_b64 s[28:29], s[28:29], 1
	s_add_u32 s0, s0, s24
	s_addc_u32 s1, s1, s25
	s_add_u32 s0, s0, s28
	s_addc_u32 s1, s1, s29
	;; [unrolled: 2-line block ×3, first 2 shown]
	s_lshl_b64 s[8:9], s[8:9], 3
	s_add_u32 s2, s2, s30
	s_addc_u32 s3, s3, s31
	s_add_u32 s2, s2, s34
	s_addc_u32 s3, s3, s35
	v_add_co_u32 v3, s2, s2, v2
	v_add_co_ci_u32_e64 v4, null, s3, 0, s2
	v_add_co_u32 v1, s0, s0, v1
	v_add_co_ci_u32_e64 v2, null, s1, 0, s0
	;; [unrolled: 2-line block ×3, first 2 shown]
	v_mov_b32_e32 v6, 0
	s_inst_prefetch 0x1
	.p2align	6
.LBB308_10:                             ; =>This Inner Loop Header: Depth=1
	v_add_nc_u32_e32 v10, s16, v9
	v_add_co_u32 v12, s0, v3, s8
	global_load_dword v16, v[1:2], off
	v_add_co_ci_u32_e64 v13, null, s9, v4, s0
	v_ashrrev_i32_e32 v11, 31, v10
	v_add_nc_u32_e32 v9, 0xa0, v9
	v_lshlrev_b64 v[10:11], 3, v[10:11]
	v_add_co_u32 v10, s0, s14, v10
	v_add_co_ci_u32_e64 v11, null, s15, v11, s0
	s_clause 0x1
	global_load_dwordx2 v[14:15], v[3:4], off offset:-4
	global_load_dwordx2 v[12:13], v[12:13], off offset:-4
	global_load_dwordx2 v[10:11], v[10:11], off
	v_add_co_u32 v1, s0, 0x280, v1
	v_add_co_ci_u32_e64 v2, null, 0, v2, s0
	v_add_co_u32 v3, s0, 0x500, v3
	v_add_co_ci_u32_e64 v4, null, 0, v4, s0
	v_cmp_le_i32_e64 s0, s12, v9
	s_or_b32 s11, s0, s11
	s_waitcnt vmcnt(3)
	v_lshlrev_b32_e32 v17, 16, v16
	v_and_b32_e32 v16, 0xffff0000, v16
	s_waitcnt vmcnt(2)
	v_fmac_f32_e32 v8, v14, v17
	s_waitcnt vmcnt(1)
	v_fmac_f32_e32 v7, v12, v17
	;; [unrolled: 2-line block ×3, first 2 shown]
	v_fmac_f32_e32 v8, v15, v16
	v_fmac_f32_e32 v7, v13, v16
	;; [unrolled: 1-line block ×3, first 2 shown]
	s_andn2_b32 exec_lo, exec_lo, s11
	s_cbranch_execnz .LBB308_10
; %bb.11:
	s_inst_prefetch 0x2
	s_or_b32 exec_lo, exec_lo, s11
.LBB308_12:
	s_or_b32 exec_lo, exec_lo, s13
	v_mbcnt_lo_u32_b32 v2, -1, 0
	v_xor_b32_e32 v1, 16, v2
	v_xor_b32_e32 v3, 8, v2
	v_cmp_gt_i32_e64 s0, 32, v1
	v_cndmask_b32_e64 v1, v2, v1, s0
	v_cmp_gt_i32_e64 s0, 32, v3
	v_lshlrev_b32_e32 v1, 2, v1
	v_cndmask_b32_e64 v3, v2, v3, s0
	ds_bpermute_b32 v4, v1, v8
	v_lshlrev_b32_e32 v3, 2, v3
	s_waitcnt lgkmcnt(0)
	v_add_f32_e32 v8, v8, v4
	v_xor_b32_e32 v4, 4, v2
	ds_bpermute_b32 v9, v3, v8
	v_cmp_gt_i32_e64 s0, 32, v4
	v_cndmask_b32_e64 v4, v2, v4, s0
	v_lshlrev_b32_e32 v4, 2, v4
	s_waitcnt lgkmcnt(0)
	v_add_f32_e32 v9, v8, v9
	v_xor_b32_e32 v8, 2, v2
	ds_bpermute_b32 v10, v4, v9
	v_cmp_gt_i32_e64 s0, 32, v8
	v_cndmask_b32_e64 v8, v2, v8, s0
	;; [unrolled: 7-line block ×3, first 2 shown]
	v_lshlrev_b32_e32 v9, 2, v2
	s_waitcnt lgkmcnt(0)
	v_add_f32_e32 v2, v10, v11
	v_lshrrev_b32_e32 v10, 3, v0
	ds_bpermute_b32 v11, v9, v2
	v_and_b32_e32 v10, 0x7c, v10
	v_add_nc_u32_e32 v10, 0, v10
	s_waitcnt lgkmcnt(0)
	v_add_f32_e32 v2, v2, v11
	ds_write_b32 v10, v2
	s_waitcnt lgkmcnt(0)
	s_barrier
	buffer_gl0_inv
	s_and_saveexec_b32 s0, vcc_lo
	s_cbranch_execz .LBB308_14
; %bb.13:
	ds_read_b32 v2, v5
	s_waitcnt lgkmcnt(0)
	ds_bpermute_b32 v11, v1, v2
	s_waitcnt lgkmcnt(0)
	v_add_f32_e32 v2, v2, v11
	ds_bpermute_b32 v11, v3, v2
	s_waitcnt lgkmcnt(0)
	v_add_f32_e32 v2, v2, v11
	;; [unrolled: 3-line block ×5, first 2 shown]
.LBB308_14:
	s_or_b32 exec_lo, exec_lo, s0
	ds_bpermute_b32 v11, v1, v7
	s_waitcnt lgkmcnt(0)
	s_barrier
	buffer_gl0_inv
	v_add_f32_e32 v7, v7, v11
	ds_bpermute_b32 v11, v3, v7
	s_waitcnt lgkmcnt(0)
	v_add_f32_e32 v7, v7, v11
	ds_bpermute_b32 v11, v4, v7
	s_waitcnt lgkmcnt(0)
	;; [unrolled: 3-line block ×4, first 2 shown]
	v_add_f32_e32 v7, v7, v11
	ds_write_b32 v10, v7
	s_waitcnt lgkmcnt(0)
	s_barrier
	buffer_gl0_inv
	s_and_saveexec_b32 s0, vcc_lo
	s_cbranch_execz .LBB308_16
; %bb.15:
	ds_read_b32 v7, v5
	s_waitcnt lgkmcnt(0)
	ds_bpermute_b32 v11, v1, v7
	s_waitcnt lgkmcnt(0)
	v_add_f32_e32 v7, v7, v11
	ds_bpermute_b32 v11, v3, v7
	s_waitcnt lgkmcnt(0)
	v_add_f32_e32 v7, v7, v11
	;; [unrolled: 3-line block ×5, first 2 shown]
.LBB308_16:
	s_or_b32 exec_lo, exec_lo, s0
	ds_bpermute_b32 v11, v1, v6
	s_waitcnt lgkmcnt(0)
	s_barrier
	buffer_gl0_inv
	v_add_f32_e32 v6, v6, v11
	ds_bpermute_b32 v11, v3, v6
	s_waitcnt lgkmcnt(0)
	v_add_f32_e32 v6, v6, v11
	ds_bpermute_b32 v11, v4, v6
	s_waitcnt lgkmcnt(0)
	;; [unrolled: 3-line block ×4, first 2 shown]
	v_add_f32_e32 v6, v6, v11
	ds_write_b32 v10, v6
	s_waitcnt lgkmcnt(0)
	s_barrier
	buffer_gl0_inv
	s_and_saveexec_b32 s0, vcc_lo
	s_cbranch_execz .LBB308_18
; %bb.17:
	ds_read_b32 v5, v5
	s_waitcnt lgkmcnt(0)
	ds_bpermute_b32 v1, v1, v5
	s_waitcnt lgkmcnt(0)
	v_add_f32_e32 v1, v5, v1
	ds_bpermute_b32 v3, v3, v1
	s_waitcnt lgkmcnt(0)
	v_add_f32_e32 v1, v1, v3
	ds_bpermute_b32 v3, v4, v1
	s_waitcnt lgkmcnt(0)
	v_add_f32_e32 v1, v1, v3
	ds_bpermute_b32 v3, v8, v1
	s_waitcnt lgkmcnt(0)
	v_add_f32_e32 v1, v1, v3
	ds_bpermute_b32 v3, v9, v1
	s_waitcnt lgkmcnt(0)
	v_add_f32_e32 v6, v1, v3
.LBB308_18:
	s_or_b32 exec_lo, exec_lo, s0
	s_barrier
	buffer_gl0_inv
	s_mov_b32 s0, exec_lo
	v_cmpx_gt_u32_e32 3, v0
	s_cbranch_execz .LBB308_20
; %bb.19:
	s_load_dwordx2 s[0:1], s[4:5], 0x38
	v_mad_u64_u32 v[3:4], null, s18, v0, s[6:7]
	v_cmp_eq_u32_e32 vcc_lo, 1, v0
	s_mul_hi_i32 s3, s22, s10
	s_mul_i32 s2, s22, s10
	s_mul_i32 s4, s26, s7
	s_lshl_b64 s[2:3], s[2:3], 2
	v_cndmask_b32_e32 v5, v2, v7, vcc_lo
	v_ashrrev_i32_e32 v4, 31, v3
	s_ashr_i32 s5, s4, 31
	v_cmp_eq_u32_e32 vcc_lo, 2, v0
	v_lshlrev_b64 v[1:2], 2, v[3:4]
	v_cndmask_b32_e32 v3, v5, v6, vcc_lo
	s_waitcnt lgkmcnt(0)
	s_add_u32 s2, s0, s2
	s_addc_u32 s3, s1, s3
	s_lshl_b64 s[0:1], s[4:5], 2
	s_add_u32 s0, s2, s0
	s_addc_u32 s1, s3, s1
	v_add_co_u32 v0, vcc_lo, s0, v1
	v_add_co_ci_u32_e64 v1, null, s1, v2, vcc_lo
	global_store_dword v[0:1], v3, off
.LBB308_20:
	s_endpgm
	.section	.rodata,"a",@progbits
	.p2align	6, 0x0
	.amdhsa_kernel _ZL13mul_mat_vec_fI14__hip_bfloat16fLi3ELi160ELb0ELb0EEvPKT_PKfPKi31ggml_cuda_mm_fusion_args_devicePfi15HIP_vector_typeIjLj3EEiiiSB_iiiSB_iiii
		.amdhsa_group_segment_fixed_size 0
		.amdhsa_private_segment_fixed_size 0
		.amdhsa_kernarg_size 144
		.amdhsa_user_sgpr_count 6
		.amdhsa_user_sgpr_private_segment_buffer 1
		.amdhsa_user_sgpr_dispatch_ptr 0
		.amdhsa_user_sgpr_queue_ptr 0
		.amdhsa_user_sgpr_kernarg_segment_ptr 1
		.amdhsa_user_sgpr_dispatch_id 0
		.amdhsa_user_sgpr_flat_scratch_init 0
		.amdhsa_user_sgpr_private_segment_size 0
		.amdhsa_wavefront_size32 1
		.amdhsa_uses_dynamic_stack 0
		.amdhsa_system_sgpr_private_segment_wavefront_offset 0
		.amdhsa_system_sgpr_workgroup_id_x 1
		.amdhsa_system_sgpr_workgroup_id_y 1
		.amdhsa_system_sgpr_workgroup_id_z 1
		.amdhsa_system_sgpr_workgroup_info 0
		.amdhsa_system_vgpr_workitem_id 0
		.amdhsa_next_free_vgpr 18
		.amdhsa_next_free_sgpr 36
		.amdhsa_reserve_vcc 1
		.amdhsa_reserve_flat_scratch 0
		.amdhsa_float_round_mode_32 0
		.amdhsa_float_round_mode_16_64 0
		.amdhsa_float_denorm_mode_32 3
		.amdhsa_float_denorm_mode_16_64 3
		.amdhsa_dx10_clamp 1
		.amdhsa_ieee_mode 1
		.amdhsa_fp16_overflow 0
		.amdhsa_workgroup_processor_mode 1
		.amdhsa_memory_ordered 1
		.amdhsa_forward_progress 1
		.amdhsa_shared_vgpr_count 0
		.amdhsa_exception_fp_ieee_invalid_op 0
		.amdhsa_exception_fp_denorm_src 0
		.amdhsa_exception_fp_ieee_div_zero 0
		.amdhsa_exception_fp_ieee_overflow 0
		.amdhsa_exception_fp_ieee_underflow 0
		.amdhsa_exception_fp_ieee_inexact 0
		.amdhsa_exception_int_div_zero 0
	.end_amdhsa_kernel
	.section	.text._ZL13mul_mat_vec_fI14__hip_bfloat16fLi3ELi160ELb0ELb0EEvPKT_PKfPKi31ggml_cuda_mm_fusion_args_devicePfi15HIP_vector_typeIjLj3EEiiiSB_iiiSB_iiii,"axG",@progbits,_ZL13mul_mat_vec_fI14__hip_bfloat16fLi3ELi160ELb0ELb0EEvPKT_PKfPKi31ggml_cuda_mm_fusion_args_devicePfi15HIP_vector_typeIjLj3EEiiiSB_iiiSB_iiii,comdat
.Lfunc_end308:
	.size	_ZL13mul_mat_vec_fI14__hip_bfloat16fLi3ELi160ELb0ELb0EEvPKT_PKfPKi31ggml_cuda_mm_fusion_args_devicePfi15HIP_vector_typeIjLj3EEiiiSB_iiiSB_iiii, .Lfunc_end308-_ZL13mul_mat_vec_fI14__hip_bfloat16fLi3ELi160ELb0ELb0EEvPKT_PKfPKi31ggml_cuda_mm_fusion_args_devicePfi15HIP_vector_typeIjLj3EEiiiSB_iiiSB_iiii
                                        ; -- End function
	.set _ZL13mul_mat_vec_fI14__hip_bfloat16fLi3ELi160ELb0ELb0EEvPKT_PKfPKi31ggml_cuda_mm_fusion_args_devicePfi15HIP_vector_typeIjLj3EEiiiSB_iiiSB_iiii.num_vgpr, 18
	.set _ZL13mul_mat_vec_fI14__hip_bfloat16fLi3ELi160ELb0ELb0EEvPKT_PKfPKi31ggml_cuda_mm_fusion_args_devicePfi15HIP_vector_typeIjLj3EEiiiSB_iiiSB_iiii.num_agpr, 0
	.set _ZL13mul_mat_vec_fI14__hip_bfloat16fLi3ELi160ELb0ELb0EEvPKT_PKfPKi31ggml_cuda_mm_fusion_args_devicePfi15HIP_vector_typeIjLj3EEiiiSB_iiiSB_iiii.numbered_sgpr, 36
	.set _ZL13mul_mat_vec_fI14__hip_bfloat16fLi3ELi160ELb0ELb0EEvPKT_PKfPKi31ggml_cuda_mm_fusion_args_devicePfi15HIP_vector_typeIjLj3EEiiiSB_iiiSB_iiii.num_named_barrier, 0
	.set _ZL13mul_mat_vec_fI14__hip_bfloat16fLi3ELi160ELb0ELb0EEvPKT_PKfPKi31ggml_cuda_mm_fusion_args_devicePfi15HIP_vector_typeIjLj3EEiiiSB_iiiSB_iiii.private_seg_size, 0
	.set _ZL13mul_mat_vec_fI14__hip_bfloat16fLi3ELi160ELb0ELb0EEvPKT_PKfPKi31ggml_cuda_mm_fusion_args_devicePfi15HIP_vector_typeIjLj3EEiiiSB_iiiSB_iiii.uses_vcc, 1
	.set _ZL13mul_mat_vec_fI14__hip_bfloat16fLi3ELi160ELb0ELb0EEvPKT_PKfPKi31ggml_cuda_mm_fusion_args_devicePfi15HIP_vector_typeIjLj3EEiiiSB_iiiSB_iiii.uses_flat_scratch, 0
	.set _ZL13mul_mat_vec_fI14__hip_bfloat16fLi3ELi160ELb0ELb0EEvPKT_PKfPKi31ggml_cuda_mm_fusion_args_devicePfi15HIP_vector_typeIjLj3EEiiiSB_iiiSB_iiii.has_dyn_sized_stack, 0
	.set _ZL13mul_mat_vec_fI14__hip_bfloat16fLi3ELi160ELb0ELb0EEvPKT_PKfPKi31ggml_cuda_mm_fusion_args_devicePfi15HIP_vector_typeIjLj3EEiiiSB_iiiSB_iiii.has_recursion, 0
	.set _ZL13mul_mat_vec_fI14__hip_bfloat16fLi3ELi160ELb0ELb0EEvPKT_PKfPKi31ggml_cuda_mm_fusion_args_devicePfi15HIP_vector_typeIjLj3EEiiiSB_iiiSB_iiii.has_indirect_call, 0
	.section	.AMDGPU.csdata,"",@progbits
; Kernel info:
; codeLenInByte = 1660
; TotalNumSgprs: 38
; NumVgprs: 18
; ScratchSize: 0
; MemoryBound: 0
; FloatMode: 240
; IeeeMode: 1
; LDSByteSize: 0 bytes/workgroup (compile time only)
; SGPRBlocks: 0
; VGPRBlocks: 2
; NumSGPRsForWavesPerEU: 38
; NumVGPRsForWavesPerEU: 18
; Occupancy: 16
; WaveLimiterHint : 0
; COMPUTE_PGM_RSRC2:SCRATCH_EN: 0
; COMPUTE_PGM_RSRC2:USER_SGPR: 6
; COMPUTE_PGM_RSRC2:TRAP_HANDLER: 0
; COMPUTE_PGM_RSRC2:TGID_X_EN: 1
; COMPUTE_PGM_RSRC2:TGID_Y_EN: 1
; COMPUTE_PGM_RSRC2:TGID_Z_EN: 1
; COMPUTE_PGM_RSRC2:TIDIG_COMP_CNT: 0
	.section	.text._ZL13mul_mat_vec_fI14__hip_bfloat16fLi3ELi192ELb0ELb0EEvPKT_PKfPKi31ggml_cuda_mm_fusion_args_devicePfi15HIP_vector_typeIjLj3EEiiiSB_iiiSB_iiii,"axG",@progbits,_ZL13mul_mat_vec_fI14__hip_bfloat16fLi3ELi192ELb0ELb0EEvPKT_PKfPKi31ggml_cuda_mm_fusion_args_devicePfi15HIP_vector_typeIjLj3EEiiiSB_iiiSB_iiii,comdat
	.globl	_ZL13mul_mat_vec_fI14__hip_bfloat16fLi3ELi192ELb0ELb0EEvPKT_PKfPKi31ggml_cuda_mm_fusion_args_devicePfi15HIP_vector_typeIjLj3EEiiiSB_iiiSB_iiii ; -- Begin function _ZL13mul_mat_vec_fI14__hip_bfloat16fLi3ELi192ELb0ELb0EEvPKT_PKfPKi31ggml_cuda_mm_fusion_args_devicePfi15HIP_vector_typeIjLj3EEiiiSB_iiiSB_iiii
	.p2align	8
	.type	_ZL13mul_mat_vec_fI14__hip_bfloat16fLi3ELi192ELb0ELb0EEvPKT_PKfPKi31ggml_cuda_mm_fusion_args_devicePfi15HIP_vector_typeIjLj3EEiiiSB_iiiSB_iiii,@function
_ZL13mul_mat_vec_fI14__hip_bfloat16fLi3ELi192ELb0ELb0EEvPKT_PKfPKi31ggml_cuda_mm_fusion_args_devicePfi15HIP_vector_typeIjLj3EEiiiSB_iiiSB_iiii: ; @_ZL13mul_mat_vec_fI14__hip_bfloat16fLi3ELi192ELb0ELb0EEvPKT_PKfPKi31ggml_cuda_mm_fusion_args_devicePfi15HIP_vector_typeIjLj3EEiiiSB_iiiSB_iiii
; %bb.0:
	s_clause 0x2
	s_load_dwordx2 s[0:1], s[4:5], 0x10
	s_load_dwordx8 s[12:19], s[4:5], 0x40
	s_load_dwordx4 s[20:23], s[4:5], 0x80
	s_waitcnt lgkmcnt(0)
	s_cmp_eq_u64 s[0:1], 0
	s_cselect_b32 s10, -1, 0
	s_cmp_lg_u64 s[0:1], 0
	s_cselect_b32 s9, -1, 0
	s_and_b32 vcc_lo, exec_lo, s10
	s_cbranch_vccnz .LBB309_2
; %bb.1:
	s_mul_i32 s2, s23, s8
	s_mov_b32 s3, 0
	s_add_i32 s2, s2, s7
	s_lshl_b64 s[24:25], s[2:3], 2
	s_add_u32 s0, s0, s24
	s_addc_u32 s1, s1, s25
	s_load_dword s19, s[0:1], 0x0
	s_cbranch_execz .LBB309_3
	s_branch .LBB309_4
.LBB309_2:
                                        ; implicit-def: $sgpr19
.LBB309_3:
	s_load_dwordx2 s[0:1], s[4:5], 0x5c
	s_waitcnt lgkmcnt(0)
	s_mul_hi_u32 s0, s0, s7
	s_add_i32 s0, s7, s0
	s_lshr_b32 s19, s0, s1
.LBB309_4:
	s_load_dwordx4 s[24:27], s[4:5], 0x68
	s_andn2_b32 vcc_lo, exec_lo, s9
	s_mov_b32 s23, s7
	s_cbranch_vccnz .LBB309_6
; %bb.5:
	s_mul_hi_u32 s0, s13, s7
	s_add_i32 s0, s7, s0
	s_lshr_b32 s0, s0, s14
	s_mul_i32 s0, s0, s15
	s_sub_i32 s23, s7, s0
.LBB309_6:
	s_load_dword s9, s[4:5], 0x78
	v_cmp_gt_u32_e32 vcc_lo, 32, v0
	v_lshl_add_u32 v5, v0, 2, 0
	s_and_saveexec_b32 s0, vcc_lo
; %bb.7:
	v_mov_b32_e32 v1, 0
	ds_write_b32 v5, v1
; %bb.8:
	s_or_b32 exec_lo, exec_lo, s0
	v_mov_b32_e32 v6, 0
	v_mov_b32_e32 v7, 0
	;; [unrolled: 1-line block ×3, first 2 shown]
	s_and_b32 s0, exec_lo, s10
	s_mov_b32 s11, 0
	s_cselect_b32 s10, s8, 0
	s_mov_b32 s13, exec_lo
	s_waitcnt lgkmcnt(0)
	s_barrier
	buffer_gl0_inv
	v_cmpx_gt_i32_e64 s12, v0
	s_cbranch_execz .LBB309_12
; %bb.9:
	s_load_dwordx4 s[0:3], s[4:5], 0x0
	s_mul_hi_u32 s27, s27, s10
	s_mul_hi_i32 s15, s21, s10
	s_mul_i32 s14, s21, s10
	s_mul_i32 s24, s19, s24
	;; [unrolled: 1-line block ×4, first 2 shown]
	s_add_i32 s16, s10, s27
	s_lshl_b64 s[34:35], s[14:15], 2
	s_ashr_i32 s25, s24, 31
	s_ashr_i32 s29, s28, 31
	;; [unrolled: 1-line block ×3, first 2 shown]
	s_lshr_b32 s9, s16, s9
	s_mov_b32 s8, s17
	s_mul_hi_i32 s21, s9, s20
	s_mul_i32 s20, s9, s20
	v_lshlrev_b32_e32 v2, 3, v0
	v_lshlrev_b32_e32 v1, 2, v0
	v_mov_b32_e32 v8, 0
	v_mov_b32_e32 v9, v0
	s_waitcnt lgkmcnt(0)
	s_add_u32 s14, s2, s34
	s_addc_u32 s15, s3, s35
	s_lshl_b64 s[30:31], s[30:31], 2
	v_mov_b32_e32 v7, 0
	s_add_u32 s14, s14, s30
	s_addc_u32 s15, s15, s31
	s_lshl_b64 s[24:25], s[24:25], 1
	s_ashr_i32 s9, s17, 31
	s_add_i32 s16, s17, s17
	s_lshl_b64 s[20:21], s[20:21], 1
	s_lshl_b64 s[28:29], s[28:29], 1
	s_add_u32 s0, s0, s24
	s_addc_u32 s1, s1, s25
	s_add_u32 s0, s0, s28
	s_addc_u32 s1, s1, s29
	;; [unrolled: 2-line block ×3, first 2 shown]
	s_lshl_b64 s[8:9], s[8:9], 3
	s_add_u32 s2, s2, s30
	s_addc_u32 s3, s3, s31
	s_add_u32 s2, s2, s34
	s_addc_u32 s3, s3, s35
	v_add_co_u32 v3, s2, s2, v2
	v_add_co_ci_u32_e64 v4, null, s3, 0, s2
	v_add_co_u32 v1, s0, s0, v1
	v_add_co_ci_u32_e64 v2, null, s1, 0, s0
	;; [unrolled: 2-line block ×3, first 2 shown]
	v_mov_b32_e32 v6, 0
	s_inst_prefetch 0x1
	.p2align	6
.LBB309_10:                             ; =>This Inner Loop Header: Depth=1
	v_add_nc_u32_e32 v10, s16, v9
	v_add_co_u32 v12, s0, v3, s8
	global_load_dword v16, v[1:2], off
	v_add_co_ci_u32_e64 v13, null, s9, v4, s0
	v_ashrrev_i32_e32 v11, 31, v10
	v_add_nc_u32_e32 v9, 0xc0, v9
	v_lshlrev_b64 v[10:11], 3, v[10:11]
	v_add_co_u32 v10, s0, s14, v10
	v_add_co_ci_u32_e64 v11, null, s15, v11, s0
	s_clause 0x1
	global_load_dwordx2 v[14:15], v[3:4], off offset:-4
	global_load_dwordx2 v[12:13], v[12:13], off offset:-4
	global_load_dwordx2 v[10:11], v[10:11], off
	v_add_co_u32 v1, s0, 0x300, v1
	v_add_co_ci_u32_e64 v2, null, 0, v2, s0
	v_add_co_u32 v3, s0, 0x600, v3
	v_add_co_ci_u32_e64 v4, null, 0, v4, s0
	v_cmp_le_i32_e64 s0, s12, v9
	s_or_b32 s11, s0, s11
	s_waitcnt vmcnt(3)
	v_lshlrev_b32_e32 v17, 16, v16
	v_and_b32_e32 v16, 0xffff0000, v16
	s_waitcnt vmcnt(2)
	v_fmac_f32_e32 v8, v14, v17
	s_waitcnt vmcnt(1)
	v_fmac_f32_e32 v7, v12, v17
	;; [unrolled: 2-line block ×3, first 2 shown]
	v_fmac_f32_e32 v8, v15, v16
	v_fmac_f32_e32 v7, v13, v16
	v_fmac_f32_e32 v6, v11, v16
	s_andn2_b32 exec_lo, exec_lo, s11
	s_cbranch_execnz .LBB309_10
; %bb.11:
	s_inst_prefetch 0x2
	s_or_b32 exec_lo, exec_lo, s11
.LBB309_12:
	s_or_b32 exec_lo, exec_lo, s13
	v_mbcnt_lo_u32_b32 v2, -1, 0
	v_xor_b32_e32 v1, 16, v2
	v_xor_b32_e32 v3, 8, v2
	v_cmp_gt_i32_e64 s0, 32, v1
	v_cndmask_b32_e64 v1, v2, v1, s0
	v_cmp_gt_i32_e64 s0, 32, v3
	v_lshlrev_b32_e32 v1, 2, v1
	v_cndmask_b32_e64 v3, v2, v3, s0
	ds_bpermute_b32 v4, v1, v8
	v_lshlrev_b32_e32 v3, 2, v3
	s_waitcnt lgkmcnt(0)
	v_add_f32_e32 v8, v8, v4
	v_xor_b32_e32 v4, 4, v2
	ds_bpermute_b32 v9, v3, v8
	v_cmp_gt_i32_e64 s0, 32, v4
	v_cndmask_b32_e64 v4, v2, v4, s0
	v_lshlrev_b32_e32 v4, 2, v4
	s_waitcnt lgkmcnt(0)
	v_add_f32_e32 v9, v8, v9
	v_xor_b32_e32 v8, 2, v2
	ds_bpermute_b32 v10, v4, v9
	v_cmp_gt_i32_e64 s0, 32, v8
	v_cndmask_b32_e64 v8, v2, v8, s0
	;; [unrolled: 7-line block ×3, first 2 shown]
	v_lshlrev_b32_e32 v9, 2, v2
	s_waitcnt lgkmcnt(0)
	v_add_f32_e32 v2, v10, v11
	v_lshrrev_b32_e32 v10, 3, v0
	ds_bpermute_b32 v11, v9, v2
	v_and_b32_e32 v10, 0x7c, v10
	v_add_nc_u32_e32 v10, 0, v10
	s_waitcnt lgkmcnt(0)
	v_add_f32_e32 v2, v2, v11
	ds_write_b32 v10, v2
	s_waitcnt lgkmcnt(0)
	s_barrier
	buffer_gl0_inv
	s_and_saveexec_b32 s0, vcc_lo
	s_cbranch_execz .LBB309_14
; %bb.13:
	ds_read_b32 v2, v5
	s_waitcnt lgkmcnt(0)
	ds_bpermute_b32 v11, v1, v2
	s_waitcnt lgkmcnt(0)
	v_add_f32_e32 v2, v2, v11
	ds_bpermute_b32 v11, v3, v2
	s_waitcnt lgkmcnt(0)
	v_add_f32_e32 v2, v2, v11
	;; [unrolled: 3-line block ×5, first 2 shown]
.LBB309_14:
	s_or_b32 exec_lo, exec_lo, s0
	ds_bpermute_b32 v11, v1, v7
	s_waitcnt lgkmcnt(0)
	s_barrier
	buffer_gl0_inv
	v_add_f32_e32 v7, v7, v11
	ds_bpermute_b32 v11, v3, v7
	s_waitcnt lgkmcnt(0)
	v_add_f32_e32 v7, v7, v11
	ds_bpermute_b32 v11, v4, v7
	s_waitcnt lgkmcnt(0)
	;; [unrolled: 3-line block ×4, first 2 shown]
	v_add_f32_e32 v7, v7, v11
	ds_write_b32 v10, v7
	s_waitcnt lgkmcnt(0)
	s_barrier
	buffer_gl0_inv
	s_and_saveexec_b32 s0, vcc_lo
	s_cbranch_execz .LBB309_16
; %bb.15:
	ds_read_b32 v7, v5
	s_waitcnt lgkmcnt(0)
	ds_bpermute_b32 v11, v1, v7
	s_waitcnt lgkmcnt(0)
	v_add_f32_e32 v7, v7, v11
	ds_bpermute_b32 v11, v3, v7
	s_waitcnt lgkmcnt(0)
	v_add_f32_e32 v7, v7, v11
	;; [unrolled: 3-line block ×5, first 2 shown]
.LBB309_16:
	s_or_b32 exec_lo, exec_lo, s0
	ds_bpermute_b32 v11, v1, v6
	s_waitcnt lgkmcnt(0)
	s_barrier
	buffer_gl0_inv
	v_add_f32_e32 v6, v6, v11
	ds_bpermute_b32 v11, v3, v6
	s_waitcnt lgkmcnt(0)
	v_add_f32_e32 v6, v6, v11
	ds_bpermute_b32 v11, v4, v6
	s_waitcnt lgkmcnt(0)
	;; [unrolled: 3-line block ×4, first 2 shown]
	v_add_f32_e32 v6, v6, v11
	ds_write_b32 v10, v6
	s_waitcnt lgkmcnt(0)
	s_barrier
	buffer_gl0_inv
	s_and_saveexec_b32 s0, vcc_lo
	s_cbranch_execz .LBB309_18
; %bb.17:
	ds_read_b32 v5, v5
	s_waitcnt lgkmcnt(0)
	ds_bpermute_b32 v1, v1, v5
	s_waitcnt lgkmcnt(0)
	v_add_f32_e32 v1, v5, v1
	ds_bpermute_b32 v3, v3, v1
	s_waitcnt lgkmcnt(0)
	v_add_f32_e32 v1, v1, v3
	;; [unrolled: 3-line block ×5, first 2 shown]
.LBB309_18:
	s_or_b32 exec_lo, exec_lo, s0
	s_barrier
	buffer_gl0_inv
	s_mov_b32 s0, exec_lo
	v_cmpx_gt_u32_e32 3, v0
	s_cbranch_execz .LBB309_20
; %bb.19:
	s_load_dwordx2 s[0:1], s[4:5], 0x38
	v_mad_u64_u32 v[3:4], null, s18, v0, s[6:7]
	v_cmp_eq_u32_e32 vcc_lo, 1, v0
	s_mul_hi_i32 s3, s22, s10
	s_mul_i32 s2, s22, s10
	s_mul_i32 s4, s26, s7
	s_lshl_b64 s[2:3], s[2:3], 2
	v_cndmask_b32_e32 v5, v2, v7, vcc_lo
	v_ashrrev_i32_e32 v4, 31, v3
	s_ashr_i32 s5, s4, 31
	v_cmp_eq_u32_e32 vcc_lo, 2, v0
	v_lshlrev_b64 v[1:2], 2, v[3:4]
	v_cndmask_b32_e32 v3, v5, v6, vcc_lo
	s_waitcnt lgkmcnt(0)
	s_add_u32 s2, s0, s2
	s_addc_u32 s3, s1, s3
	s_lshl_b64 s[0:1], s[4:5], 2
	s_add_u32 s0, s2, s0
	s_addc_u32 s1, s3, s1
	v_add_co_u32 v0, vcc_lo, s0, v1
	v_add_co_ci_u32_e64 v1, null, s1, v2, vcc_lo
	global_store_dword v[0:1], v3, off
.LBB309_20:
	s_endpgm
	.section	.rodata,"a",@progbits
	.p2align	6, 0x0
	.amdhsa_kernel _ZL13mul_mat_vec_fI14__hip_bfloat16fLi3ELi192ELb0ELb0EEvPKT_PKfPKi31ggml_cuda_mm_fusion_args_devicePfi15HIP_vector_typeIjLj3EEiiiSB_iiiSB_iiii
		.amdhsa_group_segment_fixed_size 0
		.amdhsa_private_segment_fixed_size 0
		.amdhsa_kernarg_size 144
		.amdhsa_user_sgpr_count 6
		.amdhsa_user_sgpr_private_segment_buffer 1
		.amdhsa_user_sgpr_dispatch_ptr 0
		.amdhsa_user_sgpr_queue_ptr 0
		.amdhsa_user_sgpr_kernarg_segment_ptr 1
		.amdhsa_user_sgpr_dispatch_id 0
		.amdhsa_user_sgpr_flat_scratch_init 0
		.amdhsa_user_sgpr_private_segment_size 0
		.amdhsa_wavefront_size32 1
		.amdhsa_uses_dynamic_stack 0
		.amdhsa_system_sgpr_private_segment_wavefront_offset 0
		.amdhsa_system_sgpr_workgroup_id_x 1
		.amdhsa_system_sgpr_workgroup_id_y 1
		.amdhsa_system_sgpr_workgroup_id_z 1
		.amdhsa_system_sgpr_workgroup_info 0
		.amdhsa_system_vgpr_workitem_id 0
		.amdhsa_next_free_vgpr 18
		.amdhsa_next_free_sgpr 36
		.amdhsa_reserve_vcc 1
		.amdhsa_reserve_flat_scratch 0
		.amdhsa_float_round_mode_32 0
		.amdhsa_float_round_mode_16_64 0
		.amdhsa_float_denorm_mode_32 3
		.amdhsa_float_denorm_mode_16_64 3
		.amdhsa_dx10_clamp 1
		.amdhsa_ieee_mode 1
		.amdhsa_fp16_overflow 0
		.amdhsa_workgroup_processor_mode 1
		.amdhsa_memory_ordered 1
		.amdhsa_forward_progress 1
		.amdhsa_shared_vgpr_count 0
		.amdhsa_exception_fp_ieee_invalid_op 0
		.amdhsa_exception_fp_denorm_src 0
		.amdhsa_exception_fp_ieee_div_zero 0
		.amdhsa_exception_fp_ieee_overflow 0
		.amdhsa_exception_fp_ieee_underflow 0
		.amdhsa_exception_fp_ieee_inexact 0
		.amdhsa_exception_int_div_zero 0
	.end_amdhsa_kernel
	.section	.text._ZL13mul_mat_vec_fI14__hip_bfloat16fLi3ELi192ELb0ELb0EEvPKT_PKfPKi31ggml_cuda_mm_fusion_args_devicePfi15HIP_vector_typeIjLj3EEiiiSB_iiiSB_iiii,"axG",@progbits,_ZL13mul_mat_vec_fI14__hip_bfloat16fLi3ELi192ELb0ELb0EEvPKT_PKfPKi31ggml_cuda_mm_fusion_args_devicePfi15HIP_vector_typeIjLj3EEiiiSB_iiiSB_iiii,comdat
.Lfunc_end309:
	.size	_ZL13mul_mat_vec_fI14__hip_bfloat16fLi3ELi192ELb0ELb0EEvPKT_PKfPKi31ggml_cuda_mm_fusion_args_devicePfi15HIP_vector_typeIjLj3EEiiiSB_iiiSB_iiii, .Lfunc_end309-_ZL13mul_mat_vec_fI14__hip_bfloat16fLi3ELi192ELb0ELb0EEvPKT_PKfPKi31ggml_cuda_mm_fusion_args_devicePfi15HIP_vector_typeIjLj3EEiiiSB_iiiSB_iiii
                                        ; -- End function
	.set _ZL13mul_mat_vec_fI14__hip_bfloat16fLi3ELi192ELb0ELb0EEvPKT_PKfPKi31ggml_cuda_mm_fusion_args_devicePfi15HIP_vector_typeIjLj3EEiiiSB_iiiSB_iiii.num_vgpr, 18
	.set _ZL13mul_mat_vec_fI14__hip_bfloat16fLi3ELi192ELb0ELb0EEvPKT_PKfPKi31ggml_cuda_mm_fusion_args_devicePfi15HIP_vector_typeIjLj3EEiiiSB_iiiSB_iiii.num_agpr, 0
	.set _ZL13mul_mat_vec_fI14__hip_bfloat16fLi3ELi192ELb0ELb0EEvPKT_PKfPKi31ggml_cuda_mm_fusion_args_devicePfi15HIP_vector_typeIjLj3EEiiiSB_iiiSB_iiii.numbered_sgpr, 36
	.set _ZL13mul_mat_vec_fI14__hip_bfloat16fLi3ELi192ELb0ELb0EEvPKT_PKfPKi31ggml_cuda_mm_fusion_args_devicePfi15HIP_vector_typeIjLj3EEiiiSB_iiiSB_iiii.num_named_barrier, 0
	.set _ZL13mul_mat_vec_fI14__hip_bfloat16fLi3ELi192ELb0ELb0EEvPKT_PKfPKi31ggml_cuda_mm_fusion_args_devicePfi15HIP_vector_typeIjLj3EEiiiSB_iiiSB_iiii.private_seg_size, 0
	.set _ZL13mul_mat_vec_fI14__hip_bfloat16fLi3ELi192ELb0ELb0EEvPKT_PKfPKi31ggml_cuda_mm_fusion_args_devicePfi15HIP_vector_typeIjLj3EEiiiSB_iiiSB_iiii.uses_vcc, 1
	.set _ZL13mul_mat_vec_fI14__hip_bfloat16fLi3ELi192ELb0ELb0EEvPKT_PKfPKi31ggml_cuda_mm_fusion_args_devicePfi15HIP_vector_typeIjLj3EEiiiSB_iiiSB_iiii.uses_flat_scratch, 0
	.set _ZL13mul_mat_vec_fI14__hip_bfloat16fLi3ELi192ELb0ELb0EEvPKT_PKfPKi31ggml_cuda_mm_fusion_args_devicePfi15HIP_vector_typeIjLj3EEiiiSB_iiiSB_iiii.has_dyn_sized_stack, 0
	.set _ZL13mul_mat_vec_fI14__hip_bfloat16fLi3ELi192ELb0ELb0EEvPKT_PKfPKi31ggml_cuda_mm_fusion_args_devicePfi15HIP_vector_typeIjLj3EEiiiSB_iiiSB_iiii.has_recursion, 0
	.set _ZL13mul_mat_vec_fI14__hip_bfloat16fLi3ELi192ELb0ELb0EEvPKT_PKfPKi31ggml_cuda_mm_fusion_args_devicePfi15HIP_vector_typeIjLj3EEiiiSB_iiiSB_iiii.has_indirect_call, 0
	.section	.AMDGPU.csdata,"",@progbits
; Kernel info:
; codeLenInByte = 1660
; TotalNumSgprs: 38
; NumVgprs: 18
; ScratchSize: 0
; MemoryBound: 0
; FloatMode: 240
; IeeeMode: 1
; LDSByteSize: 0 bytes/workgroup (compile time only)
; SGPRBlocks: 0
; VGPRBlocks: 2
; NumSGPRsForWavesPerEU: 38
; NumVGPRsForWavesPerEU: 18
; Occupancy: 16
; WaveLimiterHint : 0
; COMPUTE_PGM_RSRC2:SCRATCH_EN: 0
; COMPUTE_PGM_RSRC2:USER_SGPR: 6
; COMPUTE_PGM_RSRC2:TRAP_HANDLER: 0
; COMPUTE_PGM_RSRC2:TGID_X_EN: 1
; COMPUTE_PGM_RSRC2:TGID_Y_EN: 1
; COMPUTE_PGM_RSRC2:TGID_Z_EN: 1
; COMPUTE_PGM_RSRC2:TIDIG_COMP_CNT: 0
	.section	.text._ZL13mul_mat_vec_fI14__hip_bfloat16fLi3ELi224ELb0ELb0EEvPKT_PKfPKi31ggml_cuda_mm_fusion_args_devicePfi15HIP_vector_typeIjLj3EEiiiSB_iiiSB_iiii,"axG",@progbits,_ZL13mul_mat_vec_fI14__hip_bfloat16fLi3ELi224ELb0ELb0EEvPKT_PKfPKi31ggml_cuda_mm_fusion_args_devicePfi15HIP_vector_typeIjLj3EEiiiSB_iiiSB_iiii,comdat
	.globl	_ZL13mul_mat_vec_fI14__hip_bfloat16fLi3ELi224ELb0ELb0EEvPKT_PKfPKi31ggml_cuda_mm_fusion_args_devicePfi15HIP_vector_typeIjLj3EEiiiSB_iiiSB_iiii ; -- Begin function _ZL13mul_mat_vec_fI14__hip_bfloat16fLi3ELi224ELb0ELb0EEvPKT_PKfPKi31ggml_cuda_mm_fusion_args_devicePfi15HIP_vector_typeIjLj3EEiiiSB_iiiSB_iiii
	.p2align	8
	.type	_ZL13mul_mat_vec_fI14__hip_bfloat16fLi3ELi224ELb0ELb0EEvPKT_PKfPKi31ggml_cuda_mm_fusion_args_devicePfi15HIP_vector_typeIjLj3EEiiiSB_iiiSB_iiii,@function
_ZL13mul_mat_vec_fI14__hip_bfloat16fLi3ELi224ELb0ELb0EEvPKT_PKfPKi31ggml_cuda_mm_fusion_args_devicePfi15HIP_vector_typeIjLj3EEiiiSB_iiiSB_iiii: ; @_ZL13mul_mat_vec_fI14__hip_bfloat16fLi3ELi224ELb0ELb0EEvPKT_PKfPKi31ggml_cuda_mm_fusion_args_devicePfi15HIP_vector_typeIjLj3EEiiiSB_iiiSB_iiii
; %bb.0:
	s_clause 0x2
	s_load_dwordx2 s[0:1], s[4:5], 0x10
	s_load_dwordx8 s[12:19], s[4:5], 0x40
	s_load_dwordx4 s[20:23], s[4:5], 0x80
	s_waitcnt lgkmcnt(0)
	s_cmp_eq_u64 s[0:1], 0
	s_cselect_b32 s10, -1, 0
	s_cmp_lg_u64 s[0:1], 0
	s_cselect_b32 s9, -1, 0
	s_and_b32 vcc_lo, exec_lo, s10
	s_cbranch_vccnz .LBB310_2
; %bb.1:
	s_mul_i32 s2, s23, s8
	s_mov_b32 s3, 0
	s_add_i32 s2, s2, s7
	s_lshl_b64 s[24:25], s[2:3], 2
	s_add_u32 s0, s0, s24
	s_addc_u32 s1, s1, s25
	s_load_dword s19, s[0:1], 0x0
	s_cbranch_execz .LBB310_3
	s_branch .LBB310_4
.LBB310_2:
                                        ; implicit-def: $sgpr19
.LBB310_3:
	s_load_dwordx2 s[0:1], s[4:5], 0x5c
	s_waitcnt lgkmcnt(0)
	s_mul_hi_u32 s0, s0, s7
	s_add_i32 s0, s7, s0
	s_lshr_b32 s19, s0, s1
.LBB310_4:
	s_load_dwordx4 s[24:27], s[4:5], 0x68
	s_andn2_b32 vcc_lo, exec_lo, s9
	s_mov_b32 s23, s7
	s_cbranch_vccnz .LBB310_6
; %bb.5:
	s_mul_hi_u32 s0, s13, s7
	s_add_i32 s0, s7, s0
	s_lshr_b32 s0, s0, s14
	s_mul_i32 s0, s0, s15
	s_sub_i32 s23, s7, s0
.LBB310_6:
	s_load_dword s9, s[4:5], 0x78
	v_cmp_gt_u32_e32 vcc_lo, 32, v0
	v_lshl_add_u32 v5, v0, 2, 0
	s_and_saveexec_b32 s0, vcc_lo
; %bb.7:
	v_mov_b32_e32 v1, 0
	ds_write_b32 v5, v1
; %bb.8:
	s_or_b32 exec_lo, exec_lo, s0
	v_mov_b32_e32 v6, 0
	v_mov_b32_e32 v7, 0
	v_mov_b32_e32 v8, 0
	s_and_b32 s0, exec_lo, s10
	s_mov_b32 s11, 0
	s_cselect_b32 s10, s8, 0
	s_mov_b32 s13, exec_lo
	s_waitcnt lgkmcnt(0)
	s_barrier
	buffer_gl0_inv
	v_cmpx_gt_i32_e64 s12, v0
	s_cbranch_execz .LBB310_12
; %bb.9:
	s_load_dwordx4 s[0:3], s[4:5], 0x0
	s_mul_hi_u32 s27, s27, s10
	s_mul_hi_i32 s15, s21, s10
	s_mul_i32 s14, s21, s10
	s_mul_i32 s24, s19, s24
	;; [unrolled: 1-line block ×4, first 2 shown]
	s_add_i32 s16, s10, s27
	s_lshl_b64 s[34:35], s[14:15], 2
	s_ashr_i32 s25, s24, 31
	s_ashr_i32 s29, s28, 31
	;; [unrolled: 1-line block ×3, first 2 shown]
	s_lshr_b32 s9, s16, s9
	s_mov_b32 s8, s17
	s_mul_hi_i32 s21, s9, s20
	s_mul_i32 s20, s9, s20
	v_lshlrev_b32_e32 v2, 3, v0
	v_lshlrev_b32_e32 v1, 2, v0
	v_mov_b32_e32 v8, 0
	v_mov_b32_e32 v9, v0
	s_waitcnt lgkmcnt(0)
	s_add_u32 s14, s2, s34
	s_addc_u32 s15, s3, s35
	s_lshl_b64 s[30:31], s[30:31], 2
	v_mov_b32_e32 v7, 0
	s_add_u32 s14, s14, s30
	s_addc_u32 s15, s15, s31
	s_lshl_b64 s[24:25], s[24:25], 1
	s_ashr_i32 s9, s17, 31
	s_add_i32 s16, s17, s17
	s_lshl_b64 s[20:21], s[20:21], 1
	s_lshl_b64 s[28:29], s[28:29], 1
	s_add_u32 s0, s0, s24
	s_addc_u32 s1, s1, s25
	s_add_u32 s0, s0, s28
	s_addc_u32 s1, s1, s29
	;; [unrolled: 2-line block ×3, first 2 shown]
	s_lshl_b64 s[8:9], s[8:9], 3
	s_add_u32 s2, s2, s30
	s_addc_u32 s3, s3, s31
	s_add_u32 s2, s2, s34
	s_addc_u32 s3, s3, s35
	v_add_co_u32 v3, s2, s2, v2
	v_add_co_ci_u32_e64 v4, null, s3, 0, s2
	v_add_co_u32 v1, s0, s0, v1
	v_add_co_ci_u32_e64 v2, null, s1, 0, s0
	;; [unrolled: 2-line block ×3, first 2 shown]
	v_mov_b32_e32 v6, 0
	s_inst_prefetch 0x1
	.p2align	6
.LBB310_10:                             ; =>This Inner Loop Header: Depth=1
	v_add_nc_u32_e32 v10, s16, v9
	v_add_co_u32 v12, s0, v3, s8
	global_load_dword v16, v[1:2], off
	v_add_co_ci_u32_e64 v13, null, s9, v4, s0
	v_ashrrev_i32_e32 v11, 31, v10
	v_add_nc_u32_e32 v9, 0xe0, v9
	v_lshlrev_b64 v[10:11], 3, v[10:11]
	v_add_co_u32 v10, s0, s14, v10
	v_add_co_ci_u32_e64 v11, null, s15, v11, s0
	s_clause 0x1
	global_load_dwordx2 v[14:15], v[3:4], off offset:-4
	global_load_dwordx2 v[12:13], v[12:13], off offset:-4
	global_load_dwordx2 v[10:11], v[10:11], off
	v_add_co_u32 v1, s0, 0x380, v1
	v_add_co_ci_u32_e64 v2, null, 0, v2, s0
	v_add_co_u32 v3, s0, 0x700, v3
	v_add_co_ci_u32_e64 v4, null, 0, v4, s0
	v_cmp_le_i32_e64 s0, s12, v9
	s_or_b32 s11, s0, s11
	s_waitcnt vmcnt(3)
	v_lshlrev_b32_e32 v17, 16, v16
	v_and_b32_e32 v16, 0xffff0000, v16
	s_waitcnt vmcnt(2)
	v_fmac_f32_e32 v8, v14, v17
	s_waitcnt vmcnt(1)
	v_fmac_f32_e32 v7, v12, v17
	;; [unrolled: 2-line block ×3, first 2 shown]
	v_fmac_f32_e32 v8, v15, v16
	v_fmac_f32_e32 v7, v13, v16
	;; [unrolled: 1-line block ×3, first 2 shown]
	s_andn2_b32 exec_lo, exec_lo, s11
	s_cbranch_execnz .LBB310_10
; %bb.11:
	s_inst_prefetch 0x2
	s_or_b32 exec_lo, exec_lo, s11
.LBB310_12:
	s_or_b32 exec_lo, exec_lo, s13
	v_mbcnt_lo_u32_b32 v2, -1, 0
	v_xor_b32_e32 v1, 16, v2
	v_xor_b32_e32 v3, 8, v2
	v_cmp_gt_i32_e64 s0, 32, v1
	v_cndmask_b32_e64 v1, v2, v1, s0
	v_cmp_gt_i32_e64 s0, 32, v3
	v_lshlrev_b32_e32 v1, 2, v1
	v_cndmask_b32_e64 v3, v2, v3, s0
	ds_bpermute_b32 v4, v1, v8
	v_lshlrev_b32_e32 v3, 2, v3
	s_waitcnt lgkmcnt(0)
	v_add_f32_e32 v8, v8, v4
	v_xor_b32_e32 v4, 4, v2
	ds_bpermute_b32 v9, v3, v8
	v_cmp_gt_i32_e64 s0, 32, v4
	v_cndmask_b32_e64 v4, v2, v4, s0
	v_lshlrev_b32_e32 v4, 2, v4
	s_waitcnt lgkmcnt(0)
	v_add_f32_e32 v9, v8, v9
	v_xor_b32_e32 v8, 2, v2
	ds_bpermute_b32 v10, v4, v9
	v_cmp_gt_i32_e64 s0, 32, v8
	v_cndmask_b32_e64 v8, v2, v8, s0
	;; [unrolled: 7-line block ×3, first 2 shown]
	v_lshlrev_b32_e32 v9, 2, v2
	s_waitcnt lgkmcnt(0)
	v_add_f32_e32 v2, v10, v11
	v_lshrrev_b32_e32 v10, 3, v0
	ds_bpermute_b32 v11, v9, v2
	v_and_b32_e32 v10, 0x7c, v10
	v_add_nc_u32_e32 v10, 0, v10
	s_waitcnt lgkmcnt(0)
	v_add_f32_e32 v2, v2, v11
	ds_write_b32 v10, v2
	s_waitcnt lgkmcnt(0)
	s_barrier
	buffer_gl0_inv
	s_and_saveexec_b32 s0, vcc_lo
	s_cbranch_execz .LBB310_14
; %bb.13:
	ds_read_b32 v2, v5
	s_waitcnt lgkmcnt(0)
	ds_bpermute_b32 v11, v1, v2
	s_waitcnt lgkmcnt(0)
	v_add_f32_e32 v2, v2, v11
	ds_bpermute_b32 v11, v3, v2
	s_waitcnt lgkmcnt(0)
	v_add_f32_e32 v2, v2, v11
	ds_bpermute_b32 v11, v4, v2
	s_waitcnt lgkmcnt(0)
	v_add_f32_e32 v2, v2, v11
	ds_bpermute_b32 v11, v8, v2
	s_waitcnt lgkmcnt(0)
	v_add_f32_e32 v2, v2, v11
	ds_bpermute_b32 v11, v9, v2
	s_waitcnt lgkmcnt(0)
	v_add_f32_e32 v2, v2, v11
.LBB310_14:
	s_or_b32 exec_lo, exec_lo, s0
	ds_bpermute_b32 v11, v1, v7
	s_waitcnt lgkmcnt(0)
	s_barrier
	buffer_gl0_inv
	v_add_f32_e32 v7, v7, v11
	ds_bpermute_b32 v11, v3, v7
	s_waitcnt lgkmcnt(0)
	v_add_f32_e32 v7, v7, v11
	ds_bpermute_b32 v11, v4, v7
	s_waitcnt lgkmcnt(0)
	;; [unrolled: 3-line block ×4, first 2 shown]
	v_add_f32_e32 v7, v7, v11
	ds_write_b32 v10, v7
	s_waitcnt lgkmcnt(0)
	s_barrier
	buffer_gl0_inv
	s_and_saveexec_b32 s0, vcc_lo
	s_cbranch_execz .LBB310_16
; %bb.15:
	ds_read_b32 v7, v5
	s_waitcnt lgkmcnt(0)
	ds_bpermute_b32 v11, v1, v7
	s_waitcnt lgkmcnt(0)
	v_add_f32_e32 v7, v7, v11
	ds_bpermute_b32 v11, v3, v7
	s_waitcnt lgkmcnt(0)
	v_add_f32_e32 v7, v7, v11
	ds_bpermute_b32 v11, v4, v7
	s_waitcnt lgkmcnt(0)
	v_add_f32_e32 v7, v7, v11
	ds_bpermute_b32 v11, v8, v7
	s_waitcnt lgkmcnt(0)
	v_add_f32_e32 v7, v7, v11
	ds_bpermute_b32 v11, v9, v7
	s_waitcnt lgkmcnt(0)
	v_add_f32_e32 v7, v7, v11
.LBB310_16:
	s_or_b32 exec_lo, exec_lo, s0
	ds_bpermute_b32 v11, v1, v6
	s_waitcnt lgkmcnt(0)
	s_barrier
	buffer_gl0_inv
	v_add_f32_e32 v6, v6, v11
	ds_bpermute_b32 v11, v3, v6
	s_waitcnt lgkmcnt(0)
	v_add_f32_e32 v6, v6, v11
	ds_bpermute_b32 v11, v4, v6
	s_waitcnt lgkmcnt(0)
	v_add_f32_e32 v6, v6, v11
	ds_bpermute_b32 v11, v8, v6
	s_waitcnt lgkmcnt(0)
	v_add_f32_e32 v6, v6, v11
	ds_bpermute_b32 v11, v9, v6
	s_waitcnt lgkmcnt(0)
	v_add_f32_e32 v6, v6, v11
	ds_write_b32 v10, v6
	s_waitcnt lgkmcnt(0)
	s_barrier
	buffer_gl0_inv
	s_and_saveexec_b32 s0, vcc_lo
	s_cbranch_execz .LBB310_18
; %bb.17:
	ds_read_b32 v5, v5
	s_waitcnt lgkmcnt(0)
	ds_bpermute_b32 v1, v1, v5
	s_waitcnt lgkmcnt(0)
	v_add_f32_e32 v1, v5, v1
	ds_bpermute_b32 v3, v3, v1
	s_waitcnt lgkmcnt(0)
	v_add_f32_e32 v1, v1, v3
	;; [unrolled: 3-line block ×5, first 2 shown]
.LBB310_18:
	s_or_b32 exec_lo, exec_lo, s0
	s_barrier
	buffer_gl0_inv
	s_mov_b32 s0, exec_lo
	v_cmpx_gt_u32_e32 3, v0
	s_cbranch_execz .LBB310_20
; %bb.19:
	s_load_dwordx2 s[0:1], s[4:5], 0x38
	v_mad_u64_u32 v[3:4], null, s18, v0, s[6:7]
	v_cmp_eq_u32_e32 vcc_lo, 1, v0
	s_mul_hi_i32 s3, s22, s10
	s_mul_i32 s2, s22, s10
	s_mul_i32 s4, s26, s7
	s_lshl_b64 s[2:3], s[2:3], 2
	v_cndmask_b32_e32 v5, v2, v7, vcc_lo
	v_ashrrev_i32_e32 v4, 31, v3
	s_ashr_i32 s5, s4, 31
	v_cmp_eq_u32_e32 vcc_lo, 2, v0
	v_lshlrev_b64 v[1:2], 2, v[3:4]
	v_cndmask_b32_e32 v3, v5, v6, vcc_lo
	s_waitcnt lgkmcnt(0)
	s_add_u32 s2, s0, s2
	s_addc_u32 s3, s1, s3
	s_lshl_b64 s[0:1], s[4:5], 2
	s_add_u32 s0, s2, s0
	s_addc_u32 s1, s3, s1
	v_add_co_u32 v0, vcc_lo, s0, v1
	v_add_co_ci_u32_e64 v1, null, s1, v2, vcc_lo
	global_store_dword v[0:1], v3, off
.LBB310_20:
	s_endpgm
	.section	.rodata,"a",@progbits
	.p2align	6, 0x0
	.amdhsa_kernel _ZL13mul_mat_vec_fI14__hip_bfloat16fLi3ELi224ELb0ELb0EEvPKT_PKfPKi31ggml_cuda_mm_fusion_args_devicePfi15HIP_vector_typeIjLj3EEiiiSB_iiiSB_iiii
		.amdhsa_group_segment_fixed_size 0
		.amdhsa_private_segment_fixed_size 0
		.amdhsa_kernarg_size 144
		.amdhsa_user_sgpr_count 6
		.amdhsa_user_sgpr_private_segment_buffer 1
		.amdhsa_user_sgpr_dispatch_ptr 0
		.amdhsa_user_sgpr_queue_ptr 0
		.amdhsa_user_sgpr_kernarg_segment_ptr 1
		.amdhsa_user_sgpr_dispatch_id 0
		.amdhsa_user_sgpr_flat_scratch_init 0
		.amdhsa_user_sgpr_private_segment_size 0
		.amdhsa_wavefront_size32 1
		.amdhsa_uses_dynamic_stack 0
		.amdhsa_system_sgpr_private_segment_wavefront_offset 0
		.amdhsa_system_sgpr_workgroup_id_x 1
		.amdhsa_system_sgpr_workgroup_id_y 1
		.amdhsa_system_sgpr_workgroup_id_z 1
		.amdhsa_system_sgpr_workgroup_info 0
		.amdhsa_system_vgpr_workitem_id 0
		.amdhsa_next_free_vgpr 18
		.amdhsa_next_free_sgpr 36
		.amdhsa_reserve_vcc 1
		.amdhsa_reserve_flat_scratch 0
		.amdhsa_float_round_mode_32 0
		.amdhsa_float_round_mode_16_64 0
		.amdhsa_float_denorm_mode_32 3
		.amdhsa_float_denorm_mode_16_64 3
		.amdhsa_dx10_clamp 1
		.amdhsa_ieee_mode 1
		.amdhsa_fp16_overflow 0
		.amdhsa_workgroup_processor_mode 1
		.amdhsa_memory_ordered 1
		.amdhsa_forward_progress 1
		.amdhsa_shared_vgpr_count 0
		.amdhsa_exception_fp_ieee_invalid_op 0
		.amdhsa_exception_fp_denorm_src 0
		.amdhsa_exception_fp_ieee_div_zero 0
		.amdhsa_exception_fp_ieee_overflow 0
		.amdhsa_exception_fp_ieee_underflow 0
		.amdhsa_exception_fp_ieee_inexact 0
		.amdhsa_exception_int_div_zero 0
	.end_amdhsa_kernel
	.section	.text._ZL13mul_mat_vec_fI14__hip_bfloat16fLi3ELi224ELb0ELb0EEvPKT_PKfPKi31ggml_cuda_mm_fusion_args_devicePfi15HIP_vector_typeIjLj3EEiiiSB_iiiSB_iiii,"axG",@progbits,_ZL13mul_mat_vec_fI14__hip_bfloat16fLi3ELi224ELb0ELb0EEvPKT_PKfPKi31ggml_cuda_mm_fusion_args_devicePfi15HIP_vector_typeIjLj3EEiiiSB_iiiSB_iiii,comdat
.Lfunc_end310:
	.size	_ZL13mul_mat_vec_fI14__hip_bfloat16fLi3ELi224ELb0ELb0EEvPKT_PKfPKi31ggml_cuda_mm_fusion_args_devicePfi15HIP_vector_typeIjLj3EEiiiSB_iiiSB_iiii, .Lfunc_end310-_ZL13mul_mat_vec_fI14__hip_bfloat16fLi3ELi224ELb0ELb0EEvPKT_PKfPKi31ggml_cuda_mm_fusion_args_devicePfi15HIP_vector_typeIjLj3EEiiiSB_iiiSB_iiii
                                        ; -- End function
	.set _ZL13mul_mat_vec_fI14__hip_bfloat16fLi3ELi224ELb0ELb0EEvPKT_PKfPKi31ggml_cuda_mm_fusion_args_devicePfi15HIP_vector_typeIjLj3EEiiiSB_iiiSB_iiii.num_vgpr, 18
	.set _ZL13mul_mat_vec_fI14__hip_bfloat16fLi3ELi224ELb0ELb0EEvPKT_PKfPKi31ggml_cuda_mm_fusion_args_devicePfi15HIP_vector_typeIjLj3EEiiiSB_iiiSB_iiii.num_agpr, 0
	.set _ZL13mul_mat_vec_fI14__hip_bfloat16fLi3ELi224ELb0ELb0EEvPKT_PKfPKi31ggml_cuda_mm_fusion_args_devicePfi15HIP_vector_typeIjLj3EEiiiSB_iiiSB_iiii.numbered_sgpr, 36
	.set _ZL13mul_mat_vec_fI14__hip_bfloat16fLi3ELi224ELb0ELb0EEvPKT_PKfPKi31ggml_cuda_mm_fusion_args_devicePfi15HIP_vector_typeIjLj3EEiiiSB_iiiSB_iiii.num_named_barrier, 0
	.set _ZL13mul_mat_vec_fI14__hip_bfloat16fLi3ELi224ELb0ELb0EEvPKT_PKfPKi31ggml_cuda_mm_fusion_args_devicePfi15HIP_vector_typeIjLj3EEiiiSB_iiiSB_iiii.private_seg_size, 0
	.set _ZL13mul_mat_vec_fI14__hip_bfloat16fLi3ELi224ELb0ELb0EEvPKT_PKfPKi31ggml_cuda_mm_fusion_args_devicePfi15HIP_vector_typeIjLj3EEiiiSB_iiiSB_iiii.uses_vcc, 1
	.set _ZL13mul_mat_vec_fI14__hip_bfloat16fLi3ELi224ELb0ELb0EEvPKT_PKfPKi31ggml_cuda_mm_fusion_args_devicePfi15HIP_vector_typeIjLj3EEiiiSB_iiiSB_iiii.uses_flat_scratch, 0
	.set _ZL13mul_mat_vec_fI14__hip_bfloat16fLi3ELi224ELb0ELb0EEvPKT_PKfPKi31ggml_cuda_mm_fusion_args_devicePfi15HIP_vector_typeIjLj3EEiiiSB_iiiSB_iiii.has_dyn_sized_stack, 0
	.set _ZL13mul_mat_vec_fI14__hip_bfloat16fLi3ELi224ELb0ELb0EEvPKT_PKfPKi31ggml_cuda_mm_fusion_args_devicePfi15HIP_vector_typeIjLj3EEiiiSB_iiiSB_iiii.has_recursion, 0
	.set _ZL13mul_mat_vec_fI14__hip_bfloat16fLi3ELi224ELb0ELb0EEvPKT_PKfPKi31ggml_cuda_mm_fusion_args_devicePfi15HIP_vector_typeIjLj3EEiiiSB_iiiSB_iiii.has_indirect_call, 0
	.section	.AMDGPU.csdata,"",@progbits
; Kernel info:
; codeLenInByte = 1660
; TotalNumSgprs: 38
; NumVgprs: 18
; ScratchSize: 0
; MemoryBound: 0
; FloatMode: 240
; IeeeMode: 1
; LDSByteSize: 0 bytes/workgroup (compile time only)
; SGPRBlocks: 0
; VGPRBlocks: 2
; NumSGPRsForWavesPerEU: 38
; NumVGPRsForWavesPerEU: 18
; Occupancy: 16
; WaveLimiterHint : 0
; COMPUTE_PGM_RSRC2:SCRATCH_EN: 0
; COMPUTE_PGM_RSRC2:USER_SGPR: 6
; COMPUTE_PGM_RSRC2:TRAP_HANDLER: 0
; COMPUTE_PGM_RSRC2:TGID_X_EN: 1
; COMPUTE_PGM_RSRC2:TGID_Y_EN: 1
; COMPUTE_PGM_RSRC2:TGID_Z_EN: 1
; COMPUTE_PGM_RSRC2:TIDIG_COMP_CNT: 0
	.section	.text._ZL13mul_mat_vec_fI14__hip_bfloat16fLi3ELi256ELb0ELb0EEvPKT_PKfPKi31ggml_cuda_mm_fusion_args_devicePfi15HIP_vector_typeIjLj3EEiiiSB_iiiSB_iiii,"axG",@progbits,_ZL13mul_mat_vec_fI14__hip_bfloat16fLi3ELi256ELb0ELb0EEvPKT_PKfPKi31ggml_cuda_mm_fusion_args_devicePfi15HIP_vector_typeIjLj3EEiiiSB_iiiSB_iiii,comdat
	.globl	_ZL13mul_mat_vec_fI14__hip_bfloat16fLi3ELi256ELb0ELb0EEvPKT_PKfPKi31ggml_cuda_mm_fusion_args_devicePfi15HIP_vector_typeIjLj3EEiiiSB_iiiSB_iiii ; -- Begin function _ZL13mul_mat_vec_fI14__hip_bfloat16fLi3ELi256ELb0ELb0EEvPKT_PKfPKi31ggml_cuda_mm_fusion_args_devicePfi15HIP_vector_typeIjLj3EEiiiSB_iiiSB_iiii
	.p2align	8
	.type	_ZL13mul_mat_vec_fI14__hip_bfloat16fLi3ELi256ELb0ELb0EEvPKT_PKfPKi31ggml_cuda_mm_fusion_args_devicePfi15HIP_vector_typeIjLj3EEiiiSB_iiiSB_iiii,@function
_ZL13mul_mat_vec_fI14__hip_bfloat16fLi3ELi256ELb0ELb0EEvPKT_PKfPKi31ggml_cuda_mm_fusion_args_devicePfi15HIP_vector_typeIjLj3EEiiiSB_iiiSB_iiii: ; @_ZL13mul_mat_vec_fI14__hip_bfloat16fLi3ELi256ELb0ELb0EEvPKT_PKfPKi31ggml_cuda_mm_fusion_args_devicePfi15HIP_vector_typeIjLj3EEiiiSB_iiiSB_iiii
; %bb.0:
	s_clause 0x2
	s_load_dwordx2 s[0:1], s[4:5], 0x10
	s_load_dwordx8 s[12:19], s[4:5], 0x40
	s_load_dwordx4 s[20:23], s[4:5], 0x80
	s_waitcnt lgkmcnt(0)
	s_cmp_eq_u64 s[0:1], 0
	s_cselect_b32 s10, -1, 0
	s_cmp_lg_u64 s[0:1], 0
	s_cselect_b32 s9, -1, 0
	s_and_b32 vcc_lo, exec_lo, s10
	s_cbranch_vccnz .LBB311_2
; %bb.1:
	s_mul_i32 s2, s23, s8
	s_mov_b32 s3, 0
	s_add_i32 s2, s2, s7
	s_lshl_b64 s[24:25], s[2:3], 2
	s_add_u32 s0, s0, s24
	s_addc_u32 s1, s1, s25
	s_load_dword s19, s[0:1], 0x0
	s_cbranch_execz .LBB311_3
	s_branch .LBB311_4
.LBB311_2:
                                        ; implicit-def: $sgpr19
.LBB311_3:
	s_load_dwordx2 s[0:1], s[4:5], 0x5c
	s_waitcnt lgkmcnt(0)
	s_mul_hi_u32 s0, s0, s7
	s_add_i32 s0, s7, s0
	s_lshr_b32 s19, s0, s1
.LBB311_4:
	s_load_dwordx4 s[24:27], s[4:5], 0x68
	s_andn2_b32 vcc_lo, exec_lo, s9
	s_mov_b32 s23, s7
	s_cbranch_vccnz .LBB311_6
; %bb.5:
	s_mul_hi_u32 s0, s13, s7
	s_add_i32 s0, s7, s0
	s_lshr_b32 s0, s0, s14
	s_mul_i32 s0, s0, s15
	s_sub_i32 s23, s7, s0
.LBB311_6:
	s_load_dword s9, s[4:5], 0x78
	v_cmp_gt_u32_e32 vcc_lo, 32, v0
	v_lshl_add_u32 v5, v0, 2, 0
	s_and_saveexec_b32 s0, vcc_lo
; %bb.7:
	v_mov_b32_e32 v1, 0
	ds_write_b32 v5, v1
; %bb.8:
	s_or_b32 exec_lo, exec_lo, s0
	v_mov_b32_e32 v6, 0
	v_mov_b32_e32 v7, 0
	;; [unrolled: 1-line block ×3, first 2 shown]
	s_and_b32 s0, exec_lo, s10
	s_mov_b32 s11, 0
	s_cselect_b32 s10, s8, 0
	s_mov_b32 s13, exec_lo
	s_waitcnt lgkmcnt(0)
	s_barrier
	buffer_gl0_inv
	v_cmpx_gt_i32_e64 s12, v0
	s_cbranch_execz .LBB311_12
; %bb.9:
	s_load_dwordx4 s[0:3], s[4:5], 0x0
	s_mul_hi_u32 s27, s27, s10
	s_mul_hi_i32 s15, s21, s10
	s_mul_i32 s14, s21, s10
	s_mul_i32 s24, s19, s24
	;; [unrolled: 1-line block ×4, first 2 shown]
	s_add_i32 s16, s10, s27
	s_lshl_b64 s[34:35], s[14:15], 2
	s_ashr_i32 s25, s24, 31
	s_ashr_i32 s29, s28, 31
	;; [unrolled: 1-line block ×3, first 2 shown]
	s_lshr_b32 s9, s16, s9
	s_mov_b32 s8, s17
	s_mul_hi_i32 s21, s9, s20
	s_mul_i32 s20, s9, s20
	v_lshlrev_b32_e32 v2, 3, v0
	v_lshlrev_b32_e32 v1, 2, v0
	v_mov_b32_e32 v8, 0
	v_mov_b32_e32 v9, v0
	s_waitcnt lgkmcnt(0)
	s_add_u32 s14, s2, s34
	s_addc_u32 s15, s3, s35
	s_lshl_b64 s[30:31], s[30:31], 2
	v_mov_b32_e32 v7, 0
	s_add_u32 s14, s14, s30
	s_addc_u32 s15, s15, s31
	s_lshl_b64 s[24:25], s[24:25], 1
	s_ashr_i32 s9, s17, 31
	s_add_i32 s16, s17, s17
	s_lshl_b64 s[20:21], s[20:21], 1
	s_lshl_b64 s[28:29], s[28:29], 1
	s_add_u32 s0, s0, s24
	s_addc_u32 s1, s1, s25
	s_add_u32 s0, s0, s28
	s_addc_u32 s1, s1, s29
	;; [unrolled: 2-line block ×3, first 2 shown]
	s_lshl_b64 s[8:9], s[8:9], 3
	s_add_u32 s2, s2, s30
	s_addc_u32 s3, s3, s31
	s_add_u32 s2, s2, s34
	s_addc_u32 s3, s3, s35
	v_add_co_u32 v3, s2, s2, v2
	v_add_co_ci_u32_e64 v4, null, s3, 0, s2
	v_add_co_u32 v1, s0, s0, v1
	v_add_co_ci_u32_e64 v2, null, s1, 0, s0
	;; [unrolled: 2-line block ×3, first 2 shown]
	v_mov_b32_e32 v6, 0
	s_inst_prefetch 0x1
	.p2align	6
.LBB311_10:                             ; =>This Inner Loop Header: Depth=1
	v_add_nc_u32_e32 v10, s16, v9
	v_add_co_u32 v12, s0, v3, s8
	global_load_dword v16, v[1:2], off
	v_add_co_ci_u32_e64 v13, null, s9, v4, s0
	v_ashrrev_i32_e32 v11, 31, v10
	v_add_nc_u32_e32 v9, 0x100, v9
	v_lshlrev_b64 v[10:11], 3, v[10:11]
	v_add_co_u32 v10, s0, s14, v10
	v_add_co_ci_u32_e64 v11, null, s15, v11, s0
	s_clause 0x1
	global_load_dwordx2 v[14:15], v[3:4], off offset:-4
	global_load_dwordx2 v[12:13], v[12:13], off offset:-4
	global_load_dwordx2 v[10:11], v[10:11], off
	v_add_co_u32 v1, s0, 0x400, v1
	v_add_co_ci_u32_e64 v2, null, 0, v2, s0
	v_add_co_u32 v3, s0, 0x800, v3
	v_add_co_ci_u32_e64 v4, null, 0, v4, s0
	v_cmp_le_i32_e64 s0, s12, v9
	s_or_b32 s11, s0, s11
	s_waitcnt vmcnt(3)
	v_lshlrev_b32_e32 v17, 16, v16
	v_and_b32_e32 v16, 0xffff0000, v16
	s_waitcnt vmcnt(2)
	v_fmac_f32_e32 v8, v14, v17
	s_waitcnt vmcnt(1)
	v_fmac_f32_e32 v7, v12, v17
	;; [unrolled: 2-line block ×3, first 2 shown]
	v_fmac_f32_e32 v8, v15, v16
	v_fmac_f32_e32 v7, v13, v16
	;; [unrolled: 1-line block ×3, first 2 shown]
	s_andn2_b32 exec_lo, exec_lo, s11
	s_cbranch_execnz .LBB311_10
; %bb.11:
	s_inst_prefetch 0x2
	s_or_b32 exec_lo, exec_lo, s11
.LBB311_12:
	s_or_b32 exec_lo, exec_lo, s13
	v_mbcnt_lo_u32_b32 v2, -1, 0
	v_xor_b32_e32 v1, 16, v2
	v_xor_b32_e32 v3, 8, v2
	v_cmp_gt_i32_e64 s0, 32, v1
	v_cndmask_b32_e64 v1, v2, v1, s0
	v_cmp_gt_i32_e64 s0, 32, v3
	v_lshlrev_b32_e32 v1, 2, v1
	v_cndmask_b32_e64 v3, v2, v3, s0
	ds_bpermute_b32 v4, v1, v8
	v_lshlrev_b32_e32 v3, 2, v3
	s_waitcnt lgkmcnt(0)
	v_add_f32_e32 v8, v8, v4
	v_xor_b32_e32 v4, 4, v2
	ds_bpermute_b32 v9, v3, v8
	v_cmp_gt_i32_e64 s0, 32, v4
	v_cndmask_b32_e64 v4, v2, v4, s0
	v_lshlrev_b32_e32 v4, 2, v4
	s_waitcnt lgkmcnt(0)
	v_add_f32_e32 v9, v8, v9
	v_xor_b32_e32 v8, 2, v2
	ds_bpermute_b32 v10, v4, v9
	v_cmp_gt_i32_e64 s0, 32, v8
	v_cndmask_b32_e64 v8, v2, v8, s0
	;; [unrolled: 7-line block ×3, first 2 shown]
	v_lshlrev_b32_e32 v9, 2, v2
	s_waitcnt lgkmcnt(0)
	v_add_f32_e32 v2, v10, v11
	v_lshrrev_b32_e32 v10, 3, v0
	ds_bpermute_b32 v11, v9, v2
	v_and_b32_e32 v10, 0x7c, v10
	v_add_nc_u32_e32 v10, 0, v10
	s_waitcnt lgkmcnt(0)
	v_add_f32_e32 v2, v2, v11
	ds_write_b32 v10, v2
	s_waitcnt lgkmcnt(0)
	s_barrier
	buffer_gl0_inv
	s_and_saveexec_b32 s0, vcc_lo
	s_cbranch_execz .LBB311_14
; %bb.13:
	ds_read_b32 v2, v5
	s_waitcnt lgkmcnt(0)
	ds_bpermute_b32 v11, v1, v2
	s_waitcnt lgkmcnt(0)
	v_add_f32_e32 v2, v2, v11
	ds_bpermute_b32 v11, v3, v2
	s_waitcnt lgkmcnt(0)
	v_add_f32_e32 v2, v2, v11
	;; [unrolled: 3-line block ×5, first 2 shown]
.LBB311_14:
	s_or_b32 exec_lo, exec_lo, s0
	ds_bpermute_b32 v11, v1, v7
	s_waitcnt lgkmcnt(0)
	s_barrier
	buffer_gl0_inv
	v_add_f32_e32 v7, v7, v11
	ds_bpermute_b32 v11, v3, v7
	s_waitcnt lgkmcnt(0)
	v_add_f32_e32 v7, v7, v11
	ds_bpermute_b32 v11, v4, v7
	s_waitcnt lgkmcnt(0)
	v_add_f32_e32 v7, v7, v11
	ds_bpermute_b32 v11, v8, v7
	s_waitcnt lgkmcnt(0)
	v_add_f32_e32 v7, v7, v11
	ds_bpermute_b32 v11, v9, v7
	s_waitcnt lgkmcnt(0)
	v_add_f32_e32 v7, v7, v11
	ds_write_b32 v10, v7
	s_waitcnt lgkmcnt(0)
	s_barrier
	buffer_gl0_inv
	s_and_saveexec_b32 s0, vcc_lo
	s_cbranch_execz .LBB311_16
; %bb.15:
	ds_read_b32 v7, v5
	s_waitcnt lgkmcnt(0)
	ds_bpermute_b32 v11, v1, v7
	s_waitcnt lgkmcnt(0)
	v_add_f32_e32 v7, v7, v11
	ds_bpermute_b32 v11, v3, v7
	s_waitcnt lgkmcnt(0)
	v_add_f32_e32 v7, v7, v11
	;; [unrolled: 3-line block ×5, first 2 shown]
.LBB311_16:
	s_or_b32 exec_lo, exec_lo, s0
	ds_bpermute_b32 v11, v1, v6
	s_waitcnt lgkmcnt(0)
	s_barrier
	buffer_gl0_inv
	v_add_f32_e32 v6, v6, v11
	ds_bpermute_b32 v11, v3, v6
	s_waitcnt lgkmcnt(0)
	v_add_f32_e32 v6, v6, v11
	ds_bpermute_b32 v11, v4, v6
	s_waitcnt lgkmcnt(0)
	;; [unrolled: 3-line block ×4, first 2 shown]
	v_add_f32_e32 v6, v6, v11
	ds_write_b32 v10, v6
	s_waitcnt lgkmcnt(0)
	s_barrier
	buffer_gl0_inv
	s_and_saveexec_b32 s0, vcc_lo
	s_cbranch_execz .LBB311_18
; %bb.17:
	ds_read_b32 v5, v5
	s_waitcnt lgkmcnt(0)
	ds_bpermute_b32 v1, v1, v5
	s_waitcnt lgkmcnt(0)
	v_add_f32_e32 v1, v5, v1
	ds_bpermute_b32 v3, v3, v1
	s_waitcnt lgkmcnt(0)
	v_add_f32_e32 v1, v1, v3
	;; [unrolled: 3-line block ×5, first 2 shown]
.LBB311_18:
	s_or_b32 exec_lo, exec_lo, s0
	s_barrier
	buffer_gl0_inv
	s_mov_b32 s0, exec_lo
	v_cmpx_gt_u32_e32 3, v0
	s_cbranch_execz .LBB311_20
; %bb.19:
	s_load_dwordx2 s[0:1], s[4:5], 0x38
	v_mad_u64_u32 v[3:4], null, s18, v0, s[6:7]
	v_cmp_eq_u32_e32 vcc_lo, 1, v0
	s_mul_hi_i32 s3, s22, s10
	s_mul_i32 s2, s22, s10
	s_mul_i32 s4, s26, s7
	s_lshl_b64 s[2:3], s[2:3], 2
	v_cndmask_b32_e32 v5, v2, v7, vcc_lo
	v_ashrrev_i32_e32 v4, 31, v3
	s_ashr_i32 s5, s4, 31
	v_cmp_eq_u32_e32 vcc_lo, 2, v0
	v_lshlrev_b64 v[1:2], 2, v[3:4]
	v_cndmask_b32_e32 v3, v5, v6, vcc_lo
	s_waitcnt lgkmcnt(0)
	s_add_u32 s2, s0, s2
	s_addc_u32 s3, s1, s3
	s_lshl_b64 s[0:1], s[4:5], 2
	s_add_u32 s0, s2, s0
	s_addc_u32 s1, s3, s1
	v_add_co_u32 v0, vcc_lo, s0, v1
	v_add_co_ci_u32_e64 v1, null, s1, v2, vcc_lo
	global_store_dword v[0:1], v3, off
.LBB311_20:
	s_endpgm
	.section	.rodata,"a",@progbits
	.p2align	6, 0x0
	.amdhsa_kernel _ZL13mul_mat_vec_fI14__hip_bfloat16fLi3ELi256ELb0ELb0EEvPKT_PKfPKi31ggml_cuda_mm_fusion_args_devicePfi15HIP_vector_typeIjLj3EEiiiSB_iiiSB_iiii
		.amdhsa_group_segment_fixed_size 0
		.amdhsa_private_segment_fixed_size 0
		.amdhsa_kernarg_size 144
		.amdhsa_user_sgpr_count 6
		.amdhsa_user_sgpr_private_segment_buffer 1
		.amdhsa_user_sgpr_dispatch_ptr 0
		.amdhsa_user_sgpr_queue_ptr 0
		.amdhsa_user_sgpr_kernarg_segment_ptr 1
		.amdhsa_user_sgpr_dispatch_id 0
		.amdhsa_user_sgpr_flat_scratch_init 0
		.amdhsa_user_sgpr_private_segment_size 0
		.amdhsa_wavefront_size32 1
		.amdhsa_uses_dynamic_stack 0
		.amdhsa_system_sgpr_private_segment_wavefront_offset 0
		.amdhsa_system_sgpr_workgroup_id_x 1
		.amdhsa_system_sgpr_workgroup_id_y 1
		.amdhsa_system_sgpr_workgroup_id_z 1
		.amdhsa_system_sgpr_workgroup_info 0
		.amdhsa_system_vgpr_workitem_id 0
		.amdhsa_next_free_vgpr 18
		.amdhsa_next_free_sgpr 36
		.amdhsa_reserve_vcc 1
		.amdhsa_reserve_flat_scratch 0
		.amdhsa_float_round_mode_32 0
		.amdhsa_float_round_mode_16_64 0
		.amdhsa_float_denorm_mode_32 3
		.amdhsa_float_denorm_mode_16_64 3
		.amdhsa_dx10_clamp 1
		.amdhsa_ieee_mode 1
		.amdhsa_fp16_overflow 0
		.amdhsa_workgroup_processor_mode 1
		.amdhsa_memory_ordered 1
		.amdhsa_forward_progress 1
		.amdhsa_shared_vgpr_count 0
		.amdhsa_exception_fp_ieee_invalid_op 0
		.amdhsa_exception_fp_denorm_src 0
		.amdhsa_exception_fp_ieee_div_zero 0
		.amdhsa_exception_fp_ieee_overflow 0
		.amdhsa_exception_fp_ieee_underflow 0
		.amdhsa_exception_fp_ieee_inexact 0
		.amdhsa_exception_int_div_zero 0
	.end_amdhsa_kernel
	.section	.text._ZL13mul_mat_vec_fI14__hip_bfloat16fLi3ELi256ELb0ELb0EEvPKT_PKfPKi31ggml_cuda_mm_fusion_args_devicePfi15HIP_vector_typeIjLj3EEiiiSB_iiiSB_iiii,"axG",@progbits,_ZL13mul_mat_vec_fI14__hip_bfloat16fLi3ELi256ELb0ELb0EEvPKT_PKfPKi31ggml_cuda_mm_fusion_args_devicePfi15HIP_vector_typeIjLj3EEiiiSB_iiiSB_iiii,comdat
.Lfunc_end311:
	.size	_ZL13mul_mat_vec_fI14__hip_bfloat16fLi3ELi256ELb0ELb0EEvPKT_PKfPKi31ggml_cuda_mm_fusion_args_devicePfi15HIP_vector_typeIjLj3EEiiiSB_iiiSB_iiii, .Lfunc_end311-_ZL13mul_mat_vec_fI14__hip_bfloat16fLi3ELi256ELb0ELb0EEvPKT_PKfPKi31ggml_cuda_mm_fusion_args_devicePfi15HIP_vector_typeIjLj3EEiiiSB_iiiSB_iiii
                                        ; -- End function
	.set _ZL13mul_mat_vec_fI14__hip_bfloat16fLi3ELi256ELb0ELb0EEvPKT_PKfPKi31ggml_cuda_mm_fusion_args_devicePfi15HIP_vector_typeIjLj3EEiiiSB_iiiSB_iiii.num_vgpr, 18
	.set _ZL13mul_mat_vec_fI14__hip_bfloat16fLi3ELi256ELb0ELb0EEvPKT_PKfPKi31ggml_cuda_mm_fusion_args_devicePfi15HIP_vector_typeIjLj3EEiiiSB_iiiSB_iiii.num_agpr, 0
	.set _ZL13mul_mat_vec_fI14__hip_bfloat16fLi3ELi256ELb0ELb0EEvPKT_PKfPKi31ggml_cuda_mm_fusion_args_devicePfi15HIP_vector_typeIjLj3EEiiiSB_iiiSB_iiii.numbered_sgpr, 36
	.set _ZL13mul_mat_vec_fI14__hip_bfloat16fLi3ELi256ELb0ELb0EEvPKT_PKfPKi31ggml_cuda_mm_fusion_args_devicePfi15HIP_vector_typeIjLj3EEiiiSB_iiiSB_iiii.num_named_barrier, 0
	.set _ZL13mul_mat_vec_fI14__hip_bfloat16fLi3ELi256ELb0ELb0EEvPKT_PKfPKi31ggml_cuda_mm_fusion_args_devicePfi15HIP_vector_typeIjLj3EEiiiSB_iiiSB_iiii.private_seg_size, 0
	.set _ZL13mul_mat_vec_fI14__hip_bfloat16fLi3ELi256ELb0ELb0EEvPKT_PKfPKi31ggml_cuda_mm_fusion_args_devicePfi15HIP_vector_typeIjLj3EEiiiSB_iiiSB_iiii.uses_vcc, 1
	.set _ZL13mul_mat_vec_fI14__hip_bfloat16fLi3ELi256ELb0ELb0EEvPKT_PKfPKi31ggml_cuda_mm_fusion_args_devicePfi15HIP_vector_typeIjLj3EEiiiSB_iiiSB_iiii.uses_flat_scratch, 0
	.set _ZL13mul_mat_vec_fI14__hip_bfloat16fLi3ELi256ELb0ELb0EEvPKT_PKfPKi31ggml_cuda_mm_fusion_args_devicePfi15HIP_vector_typeIjLj3EEiiiSB_iiiSB_iiii.has_dyn_sized_stack, 0
	.set _ZL13mul_mat_vec_fI14__hip_bfloat16fLi3ELi256ELb0ELb0EEvPKT_PKfPKi31ggml_cuda_mm_fusion_args_devicePfi15HIP_vector_typeIjLj3EEiiiSB_iiiSB_iiii.has_recursion, 0
	.set _ZL13mul_mat_vec_fI14__hip_bfloat16fLi3ELi256ELb0ELb0EEvPKT_PKfPKi31ggml_cuda_mm_fusion_args_devicePfi15HIP_vector_typeIjLj3EEiiiSB_iiiSB_iiii.has_indirect_call, 0
	.section	.AMDGPU.csdata,"",@progbits
; Kernel info:
; codeLenInByte = 1660
; TotalNumSgprs: 38
; NumVgprs: 18
; ScratchSize: 0
; MemoryBound: 0
; FloatMode: 240
; IeeeMode: 1
; LDSByteSize: 0 bytes/workgroup (compile time only)
; SGPRBlocks: 0
; VGPRBlocks: 2
; NumSGPRsForWavesPerEU: 38
; NumVGPRsForWavesPerEU: 18
; Occupancy: 16
; WaveLimiterHint : 0
; COMPUTE_PGM_RSRC2:SCRATCH_EN: 0
; COMPUTE_PGM_RSRC2:USER_SGPR: 6
; COMPUTE_PGM_RSRC2:TRAP_HANDLER: 0
; COMPUTE_PGM_RSRC2:TGID_X_EN: 1
; COMPUTE_PGM_RSRC2:TGID_Y_EN: 1
; COMPUTE_PGM_RSRC2:TGID_Z_EN: 1
; COMPUTE_PGM_RSRC2:TIDIG_COMP_CNT: 0
	.section	.text._ZL13mul_mat_vec_fI14__hip_bfloat16fLi4ELi32ELb0ELb0EEvPKT_PKfPKi31ggml_cuda_mm_fusion_args_devicePfi15HIP_vector_typeIjLj3EEiiiSB_iiiSB_iiii,"axG",@progbits,_ZL13mul_mat_vec_fI14__hip_bfloat16fLi4ELi32ELb0ELb0EEvPKT_PKfPKi31ggml_cuda_mm_fusion_args_devicePfi15HIP_vector_typeIjLj3EEiiiSB_iiiSB_iiii,comdat
	.globl	_ZL13mul_mat_vec_fI14__hip_bfloat16fLi4ELi32ELb0ELb0EEvPKT_PKfPKi31ggml_cuda_mm_fusion_args_devicePfi15HIP_vector_typeIjLj3EEiiiSB_iiiSB_iiii ; -- Begin function _ZL13mul_mat_vec_fI14__hip_bfloat16fLi4ELi32ELb0ELb0EEvPKT_PKfPKi31ggml_cuda_mm_fusion_args_devicePfi15HIP_vector_typeIjLj3EEiiiSB_iiiSB_iiii
	.p2align	8
	.type	_ZL13mul_mat_vec_fI14__hip_bfloat16fLi4ELi32ELb0ELb0EEvPKT_PKfPKi31ggml_cuda_mm_fusion_args_devicePfi15HIP_vector_typeIjLj3EEiiiSB_iiiSB_iiii,@function
_ZL13mul_mat_vec_fI14__hip_bfloat16fLi4ELi32ELb0ELb0EEvPKT_PKfPKi31ggml_cuda_mm_fusion_args_devicePfi15HIP_vector_typeIjLj3EEiiiSB_iiiSB_iiii: ; @_ZL13mul_mat_vec_fI14__hip_bfloat16fLi4ELi32ELb0ELb0EEvPKT_PKfPKi31ggml_cuda_mm_fusion_args_devicePfi15HIP_vector_typeIjLj3EEiiiSB_iiiSB_iiii
; %bb.0:
	s_clause 0x2
	s_load_dwordx2 s[20:21], s[4:5], 0x10
	s_load_dwordx8 s[12:19], s[4:5], 0x40
	s_load_dwordx4 s[0:3], s[4:5], 0x80
	s_waitcnt lgkmcnt(0)
	s_cmp_eq_u64 s[20:21], 0
	s_cselect_b32 s9, -1, 0
	s_cmp_lg_u64 s[20:21], 0
	s_cselect_b32 s25, -1, 0
	s_and_b32 vcc_lo, exec_lo, s9
	s_cbranch_vccnz .LBB312_2
; %bb.1:
	s_mul_i32 s3, s3, s8
	s_mov_b32 s11, 0
	s_add_i32 s10, s3, s7
	s_lshl_b64 s[22:23], s[10:11], 2
	s_add_u32 s20, s20, s22
	s_addc_u32 s21, s21, s23
	s_load_dword s24, s[20:21], 0x0
	s_load_dwordx4 s[20:23], s[4:5], 0x68
	s_cbranch_execz .LBB312_3
	s_branch .LBB312_4
.LBB312_2:
                                        ; implicit-def: $sgpr24
	s_load_dwordx4 s[20:23], s[4:5], 0x68
.LBB312_3:
	s_load_dwordx2 s[10:11], s[4:5], 0x5c
	s_waitcnt lgkmcnt(0)
	s_mul_hi_u32 s3, s10, s7
	s_add_i32 s3, s7, s3
	s_lshr_b32 s24, s3, s11
.LBB312_4:
	s_load_dword s19, s[4:5], 0x78
	s_andn2_b32 vcc_lo, exec_lo, s25
	s_mov_b32 s25, s7
	s_cbranch_vccnz .LBB312_6
; %bb.5:
	s_mul_hi_u32 s3, s13, s7
	s_add_i32 s3, s7, s3
	s_lshr_b32 s3, s3, s14
	s_mul_i32 s3, s3, s15
	s_sub_i32 s25, s7, s3
.LBB312_6:
	v_mov_b32_e32 v6, 0
	v_mov_b32_e32 v7, 0
	v_mov_b32_e32 v8, 0
	v_mov_b32_e32 v5, 0
	s_and_b32 s3, exec_lo, s9
	s_mov_b32 s14, 0
	s_cselect_b32 s3, s8, 0
	s_mov_b32 s13, exec_lo
	v_cmpx_gt_i32_e64 s12, v0
	s_cbranch_execz .LBB312_10
; %bb.7:
	s_load_dwordx4 s[8:11], s[4:5], 0x0
	s_waitcnt lgkmcnt(0)
	s_mul_hi_u32 s15, s23, s3
	s_mul_hi_i32 s27, s1, s3
	s_mul_i32 s26, s1, s3
	s_mul_i32 s20, s24, s20
	;; [unrolled: 1-line block ×4, first 2 shown]
	s_add_i32 s1, s3, s15
	s_lshl_b64 s[26:27], s[26:27], 2
	s_ashr_i32 s21, s20, 31
	s_ashr_i32 s25, s24, 31
	;; [unrolled: 1-line block ×3, first 2 shown]
	s_lshr_b32 s15, s1, s19
	s_mov_b32 s30, s17
	s_mul_hi_i32 s1, s15, s0
	s_mul_i32 s0, s15, s0
	v_lshlrev_b32_e32 v2, 3, v0
	v_lshlrev_b32_e32 v1, 2, v0
	v_mov_b32_e32 v5, 0
	v_mov_b32_e32 v9, v0
	s_add_u32 s16, s10, s26
	s_addc_u32 s19, s11, s27
	s_lshl_b64 s[28:29], s[28:29], 2
	v_mov_b32_e32 v8, 0
	s_add_u32 s15, s16, s28
	s_addc_u32 s16, s19, s29
	s_lshl_b64 s[20:21], s[20:21], 1
	s_ashr_i32 s31, s17, 31
	s_add_i32 s19, s17, s17
	s_lshl_b64 s[0:1], s[0:1], 1
	s_lshl_b64 s[24:25], s[24:25], 1
	s_add_u32 s8, s8, s20
	s_addc_u32 s9, s9, s21
	s_add_u32 s8, s8, s24
	s_addc_u32 s9, s9, s25
	;; [unrolled: 2-line block ×3, first 2 shown]
	s_lshl_b64 s[0:1], s[30:31], 3
	s_add_u32 s10, s10, s28
	s_addc_u32 s11, s11, s29
	s_add_u32 s10, s10, s26
	s_addc_u32 s11, s11, s27
	v_add_co_u32 v3, s10, s10, v2
	v_add_co_ci_u32_e64 v4, null, s11, 0, s10
	v_add_co_u32 v1, s8, s8, v1
	v_add_co_u32 v3, vcc_lo, v3, 4
	v_add_co_ci_u32_e64 v2, null, s9, 0, s8
	v_add_co_ci_u32_e64 v4, null, 0, v4, vcc_lo
	v_mov_b32_e32 v7, 0
	v_mov_b32_e32 v6, 0
	s_mul_i32 s8, s17, 3
.LBB312_8:                              ; =>This Inner Loop Header: Depth=1
	v_add_nc_u32_e32 v10, s19, v9
	v_add_nc_u32_e32 v14, s8, v9
	v_add_co_u32 v12, vcc_lo, v3, s0
	v_add_co_ci_u32_e64 v13, null, s1, v4, vcc_lo
	v_ashrrev_i32_e32 v11, 31, v10
	v_ashrrev_i32_e32 v15, 31, v14
	global_load_dword v18, v[1:2], off
	v_add_nc_u32_e32 v9, 32, v9
	v_lshlrev_b64 v[10:11], 3, v[10:11]
	v_lshlrev_b64 v[14:15], 3, v[14:15]
	v_add_co_u32 v10, vcc_lo, s15, v10
	v_add_co_ci_u32_e64 v11, null, s16, v11, vcc_lo
	v_add_co_u32 v14, vcc_lo, s15, v14
	v_add_co_ci_u32_e64 v15, null, s16, v15, vcc_lo
	s_clause 0x1
	global_load_dwordx2 v[16:17], v[3:4], off offset:-4
	global_load_dwordx2 v[12:13], v[12:13], off offset:-4
	s_clause 0x1
	global_load_dwordx2 v[10:11], v[10:11], off
	global_load_dwordx2 v[14:15], v[14:15], off
	v_add_co_u32 v1, vcc_lo, 0x80, v1
	v_add_co_ci_u32_e64 v2, null, 0, v2, vcc_lo
	v_add_co_u32 v3, vcc_lo, 0x100, v3
	v_add_co_ci_u32_e64 v4, null, 0, v4, vcc_lo
	v_cmp_le_i32_e32 vcc_lo, s12, v9
	s_or_b32 s14, vcc_lo, s14
	s_waitcnt vmcnt(4)
	v_lshlrev_b32_e32 v19, 16, v18
	v_and_b32_e32 v18, 0xffff0000, v18
	s_waitcnt vmcnt(3)
	v_fmac_f32_e32 v5, v16, v19
	s_waitcnt vmcnt(2)
	v_fmac_f32_e32 v8, v12, v19
	s_waitcnt vmcnt(1)
	v_fmac_f32_e32 v7, v10, v19
	s_waitcnt vmcnt(0)
	v_fmac_f32_e32 v6, v14, v19
	v_fmac_f32_e32 v5, v17, v18
	v_fmac_f32_e32 v8, v13, v18
	;; [unrolled: 1-line block ×4, first 2 shown]
	s_andn2_b32 exec_lo, exec_lo, s14
	s_cbranch_execnz .LBB312_8
; %bb.9:
	s_or_b32 exec_lo, exec_lo, s14
.LBB312_10:
	s_or_b32 exec_lo, exec_lo, s13
	v_mbcnt_lo_u32_b32 v1, -1, 0
	s_mov_b32 s0, exec_lo
	v_xor_b32_e32 v2, 16, v1
	v_xor_b32_e32 v10, 8, v1
	v_cmp_gt_i32_e32 vcc_lo, 32, v2
	v_cndmask_b32_e32 v2, v1, v2, vcc_lo
	v_cmp_gt_i32_e32 vcc_lo, 32, v10
	v_lshlrev_b32_e32 v2, 2, v2
	v_cndmask_b32_e32 v10, v1, v10, vcc_lo
	ds_bpermute_b32 v3, v2, v5
	ds_bpermute_b32 v4, v2, v8
	;; [unrolled: 1-line block ×4, first 2 shown]
	v_lshlrev_b32_e32 v10, 2, v10
	s_waitcnt lgkmcnt(0)
	v_add_f32_e32 v3, v5, v3
	v_add_f32_e32 v4, v8, v4
	;; [unrolled: 1-line block ×4, first 2 shown]
	ds_bpermute_b32 v6, v10, v3
	ds_bpermute_b32 v7, v10, v4
	ds_bpermute_b32 v8, v10, v5
	ds_bpermute_b32 v9, v10, v2
	v_xor_b32_e32 v10, 4, v1
	v_cmp_gt_i32_e32 vcc_lo, 32, v10
	v_cndmask_b32_e32 v10, v1, v10, vcc_lo
	v_lshlrev_b32_e32 v10, 2, v10
	s_waitcnt lgkmcnt(3)
	v_add_f32_e32 v3, v3, v6
	s_waitcnt lgkmcnt(2)
	v_add_f32_e32 v4, v4, v7
	s_waitcnt lgkmcnt(1)
	v_add_f32_e32 v5, v5, v8
	s_waitcnt lgkmcnt(0)
	v_add_f32_e32 v2, v2, v9
	ds_bpermute_b32 v6, v10, v3
	ds_bpermute_b32 v7, v10, v4
	ds_bpermute_b32 v8, v10, v5
	ds_bpermute_b32 v9, v10, v2
	v_xor_b32_e32 v10, 2, v1
	v_cmp_gt_i32_e32 vcc_lo, 32, v10
	v_cndmask_b32_e32 v10, v1, v10, vcc_lo
	v_lshlrev_b32_e32 v10, 2, v10
	s_waitcnt lgkmcnt(3)
	v_add_f32_e32 v3, v3, v6
	s_waitcnt lgkmcnt(2)
	v_add_f32_e32 v4, v4, v7
	s_waitcnt lgkmcnt(1)
	v_add_f32_e32 v5, v5, v8
	s_waitcnt lgkmcnt(0)
	v_add_f32_e32 v2, v2, v9
	;; [unrolled: 16-line block ×3, first 2 shown]
	ds_bpermute_b32 v7, v10, v3
	ds_bpermute_b32 v8, v10, v4
	;; [unrolled: 1-line block ×4, first 2 shown]
	v_cmpx_gt_u32_e32 4, v0
	s_cbranch_execz .LBB312_12
; %bb.11:
	s_load_dwordx2 s[0:1], s[4:5], 0x38
	v_mad_u64_u32 v[9:10], null, s18, v0, s[6:7]
	s_waitcnt lgkmcnt(0)
	v_add_f32_e32 v3, v3, v7
	v_add_f32_e32 v4, v4, v8
	v_cmp_eq_u32_e32 vcc_lo, 1, v0
	v_add_f32_e32 v1, v1, v5
	v_add_f32_e32 v5, v2, v6
	s_mul_hi_i32 s5, s2, s3
	v_ashrrev_i32_e32 v10, 31, v9
	v_cndmask_b32_e32 v2, v3, v4, vcc_lo
	v_cmp_eq_u32_e32 vcc_lo, 2, v0
	s_mul_i32 s4, s2, s3
	s_mul_i32 s2, s22, s7
	s_lshl_b64 s[4:5], s[4:5], 2
	s_ashr_i32 s3, s2, 31
	v_cndmask_b32_e32 v3, v2, v1, vcc_lo
	v_lshlrev_b64 v[1:2], 2, v[9:10]
	v_cmp_eq_u32_e32 vcc_lo, 3, v0
	s_add_u32 s4, s0, s4
	s_addc_u32 s5, s1, s5
	s_lshl_b64 s[0:1], s[2:3], 2
	v_cndmask_b32_e32 v3, v3, v5, vcc_lo
	s_add_u32 s0, s4, s0
	s_addc_u32 s1, s5, s1
	v_add_co_u32 v0, vcc_lo, s0, v1
	v_add_co_ci_u32_e64 v1, null, s1, v2, vcc_lo
	global_store_dword v[0:1], v3, off
.LBB312_12:
	s_endpgm
	.section	.rodata,"a",@progbits
	.p2align	6, 0x0
	.amdhsa_kernel _ZL13mul_mat_vec_fI14__hip_bfloat16fLi4ELi32ELb0ELb0EEvPKT_PKfPKi31ggml_cuda_mm_fusion_args_devicePfi15HIP_vector_typeIjLj3EEiiiSB_iiiSB_iiii
		.amdhsa_group_segment_fixed_size 0
		.amdhsa_private_segment_fixed_size 0
		.amdhsa_kernarg_size 144
		.amdhsa_user_sgpr_count 6
		.amdhsa_user_sgpr_private_segment_buffer 1
		.amdhsa_user_sgpr_dispatch_ptr 0
		.amdhsa_user_sgpr_queue_ptr 0
		.amdhsa_user_sgpr_kernarg_segment_ptr 1
		.amdhsa_user_sgpr_dispatch_id 0
		.amdhsa_user_sgpr_flat_scratch_init 0
		.amdhsa_user_sgpr_private_segment_size 0
		.amdhsa_wavefront_size32 1
		.amdhsa_uses_dynamic_stack 0
		.amdhsa_system_sgpr_private_segment_wavefront_offset 0
		.amdhsa_system_sgpr_workgroup_id_x 1
		.amdhsa_system_sgpr_workgroup_id_y 1
		.amdhsa_system_sgpr_workgroup_id_z 1
		.amdhsa_system_sgpr_workgroup_info 0
		.amdhsa_system_vgpr_workitem_id 0
		.amdhsa_next_free_vgpr 20
		.amdhsa_next_free_sgpr 32
		.amdhsa_reserve_vcc 1
		.amdhsa_reserve_flat_scratch 0
		.amdhsa_float_round_mode_32 0
		.amdhsa_float_round_mode_16_64 0
		.amdhsa_float_denorm_mode_32 3
		.amdhsa_float_denorm_mode_16_64 3
		.amdhsa_dx10_clamp 1
		.amdhsa_ieee_mode 1
		.amdhsa_fp16_overflow 0
		.amdhsa_workgroup_processor_mode 1
		.amdhsa_memory_ordered 1
		.amdhsa_forward_progress 1
		.amdhsa_shared_vgpr_count 0
		.amdhsa_exception_fp_ieee_invalid_op 0
		.amdhsa_exception_fp_denorm_src 0
		.amdhsa_exception_fp_ieee_div_zero 0
		.amdhsa_exception_fp_ieee_overflow 0
		.amdhsa_exception_fp_ieee_underflow 0
		.amdhsa_exception_fp_ieee_inexact 0
		.amdhsa_exception_int_div_zero 0
	.end_amdhsa_kernel
	.section	.text._ZL13mul_mat_vec_fI14__hip_bfloat16fLi4ELi32ELb0ELb0EEvPKT_PKfPKi31ggml_cuda_mm_fusion_args_devicePfi15HIP_vector_typeIjLj3EEiiiSB_iiiSB_iiii,"axG",@progbits,_ZL13mul_mat_vec_fI14__hip_bfloat16fLi4ELi32ELb0ELb0EEvPKT_PKfPKi31ggml_cuda_mm_fusion_args_devicePfi15HIP_vector_typeIjLj3EEiiiSB_iiiSB_iiii,comdat
.Lfunc_end312:
	.size	_ZL13mul_mat_vec_fI14__hip_bfloat16fLi4ELi32ELb0ELb0EEvPKT_PKfPKi31ggml_cuda_mm_fusion_args_devicePfi15HIP_vector_typeIjLj3EEiiiSB_iiiSB_iiii, .Lfunc_end312-_ZL13mul_mat_vec_fI14__hip_bfloat16fLi4ELi32ELb0ELb0EEvPKT_PKfPKi31ggml_cuda_mm_fusion_args_devicePfi15HIP_vector_typeIjLj3EEiiiSB_iiiSB_iiii
                                        ; -- End function
	.set _ZL13mul_mat_vec_fI14__hip_bfloat16fLi4ELi32ELb0ELb0EEvPKT_PKfPKi31ggml_cuda_mm_fusion_args_devicePfi15HIP_vector_typeIjLj3EEiiiSB_iiiSB_iiii.num_vgpr, 20
	.set _ZL13mul_mat_vec_fI14__hip_bfloat16fLi4ELi32ELb0ELb0EEvPKT_PKfPKi31ggml_cuda_mm_fusion_args_devicePfi15HIP_vector_typeIjLj3EEiiiSB_iiiSB_iiii.num_agpr, 0
	.set _ZL13mul_mat_vec_fI14__hip_bfloat16fLi4ELi32ELb0ELb0EEvPKT_PKfPKi31ggml_cuda_mm_fusion_args_devicePfi15HIP_vector_typeIjLj3EEiiiSB_iiiSB_iiii.numbered_sgpr, 32
	.set _ZL13mul_mat_vec_fI14__hip_bfloat16fLi4ELi32ELb0ELb0EEvPKT_PKfPKi31ggml_cuda_mm_fusion_args_devicePfi15HIP_vector_typeIjLj3EEiiiSB_iiiSB_iiii.num_named_barrier, 0
	.set _ZL13mul_mat_vec_fI14__hip_bfloat16fLi4ELi32ELb0ELb0EEvPKT_PKfPKi31ggml_cuda_mm_fusion_args_devicePfi15HIP_vector_typeIjLj3EEiiiSB_iiiSB_iiii.private_seg_size, 0
	.set _ZL13mul_mat_vec_fI14__hip_bfloat16fLi4ELi32ELb0ELb0EEvPKT_PKfPKi31ggml_cuda_mm_fusion_args_devicePfi15HIP_vector_typeIjLj3EEiiiSB_iiiSB_iiii.uses_vcc, 1
	.set _ZL13mul_mat_vec_fI14__hip_bfloat16fLi4ELi32ELb0ELb0EEvPKT_PKfPKi31ggml_cuda_mm_fusion_args_devicePfi15HIP_vector_typeIjLj3EEiiiSB_iiiSB_iiii.uses_flat_scratch, 0
	.set _ZL13mul_mat_vec_fI14__hip_bfloat16fLi4ELi32ELb0ELb0EEvPKT_PKfPKi31ggml_cuda_mm_fusion_args_devicePfi15HIP_vector_typeIjLj3EEiiiSB_iiiSB_iiii.has_dyn_sized_stack, 0
	.set _ZL13mul_mat_vec_fI14__hip_bfloat16fLi4ELi32ELb0ELb0EEvPKT_PKfPKi31ggml_cuda_mm_fusion_args_devicePfi15HIP_vector_typeIjLj3EEiiiSB_iiiSB_iiii.has_recursion, 0
	.set _ZL13mul_mat_vec_fI14__hip_bfloat16fLi4ELi32ELb0ELb0EEvPKT_PKfPKi31ggml_cuda_mm_fusion_args_devicePfi15HIP_vector_typeIjLj3EEiiiSB_iiiSB_iiii.has_indirect_call, 0
	.section	.AMDGPU.csdata,"",@progbits
; Kernel info:
; codeLenInByte = 1232
; TotalNumSgprs: 34
; NumVgprs: 20
; ScratchSize: 0
; MemoryBound: 0
; FloatMode: 240
; IeeeMode: 1
; LDSByteSize: 0 bytes/workgroup (compile time only)
; SGPRBlocks: 0
; VGPRBlocks: 2
; NumSGPRsForWavesPerEU: 34
; NumVGPRsForWavesPerEU: 20
; Occupancy: 16
; WaveLimiterHint : 0
; COMPUTE_PGM_RSRC2:SCRATCH_EN: 0
; COMPUTE_PGM_RSRC2:USER_SGPR: 6
; COMPUTE_PGM_RSRC2:TRAP_HANDLER: 0
; COMPUTE_PGM_RSRC2:TGID_X_EN: 1
; COMPUTE_PGM_RSRC2:TGID_Y_EN: 1
; COMPUTE_PGM_RSRC2:TGID_Z_EN: 1
; COMPUTE_PGM_RSRC2:TIDIG_COMP_CNT: 0
	.section	.text._ZL13mul_mat_vec_fI14__hip_bfloat16fLi4ELi64ELb0ELb0EEvPKT_PKfPKi31ggml_cuda_mm_fusion_args_devicePfi15HIP_vector_typeIjLj3EEiiiSB_iiiSB_iiii,"axG",@progbits,_ZL13mul_mat_vec_fI14__hip_bfloat16fLi4ELi64ELb0ELb0EEvPKT_PKfPKi31ggml_cuda_mm_fusion_args_devicePfi15HIP_vector_typeIjLj3EEiiiSB_iiiSB_iiii,comdat
	.globl	_ZL13mul_mat_vec_fI14__hip_bfloat16fLi4ELi64ELb0ELb0EEvPKT_PKfPKi31ggml_cuda_mm_fusion_args_devicePfi15HIP_vector_typeIjLj3EEiiiSB_iiiSB_iiii ; -- Begin function _ZL13mul_mat_vec_fI14__hip_bfloat16fLi4ELi64ELb0ELb0EEvPKT_PKfPKi31ggml_cuda_mm_fusion_args_devicePfi15HIP_vector_typeIjLj3EEiiiSB_iiiSB_iiii
	.p2align	8
	.type	_ZL13mul_mat_vec_fI14__hip_bfloat16fLi4ELi64ELb0ELb0EEvPKT_PKfPKi31ggml_cuda_mm_fusion_args_devicePfi15HIP_vector_typeIjLj3EEiiiSB_iiiSB_iiii,@function
_ZL13mul_mat_vec_fI14__hip_bfloat16fLi4ELi64ELb0ELb0EEvPKT_PKfPKi31ggml_cuda_mm_fusion_args_devicePfi15HIP_vector_typeIjLj3EEiiiSB_iiiSB_iiii: ; @_ZL13mul_mat_vec_fI14__hip_bfloat16fLi4ELi64ELb0ELb0EEvPKT_PKfPKi31ggml_cuda_mm_fusion_args_devicePfi15HIP_vector_typeIjLj3EEiiiSB_iiiSB_iiii
; %bb.0:
	s_clause 0x2
	s_load_dwordx2 s[0:1], s[4:5], 0x10
	s_load_dwordx8 s[12:19], s[4:5], 0x40
	s_load_dwordx4 s[20:23], s[4:5], 0x80
	s_waitcnt lgkmcnt(0)
	s_cmp_eq_u64 s[0:1], 0
	s_cselect_b32 s10, -1, 0
	s_cmp_lg_u64 s[0:1], 0
	s_cselect_b32 s9, -1, 0
	s_and_b32 vcc_lo, exec_lo, s10
	s_cbranch_vccnz .LBB313_2
; %bb.1:
	s_mul_i32 s2, s23, s8
	s_mov_b32 s3, 0
	s_add_i32 s2, s2, s7
	s_lshl_b64 s[24:25], s[2:3], 2
	s_add_u32 s0, s0, s24
	s_addc_u32 s1, s1, s25
	s_load_dword s19, s[0:1], 0x0
	s_cbranch_execz .LBB313_3
	s_branch .LBB313_4
.LBB313_2:
                                        ; implicit-def: $sgpr19
.LBB313_3:
	s_load_dwordx2 s[0:1], s[4:5], 0x5c
	s_waitcnt lgkmcnt(0)
	s_mul_hi_u32 s0, s0, s7
	s_add_i32 s0, s7, s0
	s_lshr_b32 s19, s0, s1
.LBB313_4:
	s_load_dwordx4 s[24:27], s[4:5], 0x68
	s_andn2_b32 vcc_lo, exec_lo, s9
	s_mov_b32 s23, s7
	s_cbranch_vccnz .LBB313_6
; %bb.5:
	s_mul_hi_u32 s0, s13, s7
	s_add_i32 s0, s7, s0
	s_lshr_b32 s0, s0, s14
	s_mul_i32 s0, s0, s15
	s_sub_i32 s23, s7, s0
.LBB313_6:
	s_load_dword s9, s[4:5], 0x78
	v_cmp_gt_u32_e32 vcc_lo, 32, v0
	v_lshl_add_u32 v5, v0, 2, 0
	s_and_saveexec_b32 s0, vcc_lo
; %bb.7:
	v_mov_b32_e32 v1, 0
	ds_write_b32 v5, v1
; %bb.8:
	s_or_b32 exec_lo, exec_lo, s0
	v_mov_b32_e32 v6, 0
	v_mov_b32_e32 v7, 0
	;; [unrolled: 1-line block ×4, first 2 shown]
	s_and_b32 s0, exec_lo, s10
	s_mov_b32 s11, 0
	s_cselect_b32 s10, s8, 0
	s_mov_b32 s13, exec_lo
	s_waitcnt lgkmcnt(0)
	s_barrier
	buffer_gl0_inv
	v_cmpx_gt_i32_e64 s12, v0
	s_cbranch_execz .LBB313_12
; %bb.9:
	s_load_dwordx4 s[0:3], s[4:5], 0x0
	s_mul_hi_u32 s27, s27, s10
	s_mul_hi_i32 s15, s21, s10
	s_mul_i32 s14, s21, s10
	s_mul_i32 s24, s19, s24
	;; [unrolled: 1-line block ×4, first 2 shown]
	s_add_i32 s16, s10, s27
	s_lshl_b64 s[34:35], s[14:15], 2
	s_ashr_i32 s25, s24, 31
	s_ashr_i32 s29, s28, 31
	;; [unrolled: 1-line block ×3, first 2 shown]
	s_lshr_b32 s9, s16, s9
	s_mov_b32 s8, s17
	s_mul_hi_i32 s21, s9, s20
	s_mul_i32 s20, s9, s20
	v_lshlrev_b32_e32 v2, 3, v0
	v_lshlrev_b32_e32 v1, 2, v0
	v_mov_b32_e32 v9, 0
	v_mov_b32_e32 v10, v0
	s_waitcnt lgkmcnt(0)
	s_add_u32 s14, s2, s34
	s_addc_u32 s15, s3, s35
	s_lshl_b64 s[30:31], s[30:31], 2
	v_mov_b32_e32 v8, 0
	s_add_u32 s14, s14, s30
	s_addc_u32 s15, s15, s31
	s_lshl_b64 s[24:25], s[24:25], 1
	s_ashr_i32 s9, s17, 31
	s_add_i32 s16, s17, s17
	s_lshl_b64 s[20:21], s[20:21], 1
	s_lshl_b64 s[28:29], s[28:29], 1
	s_add_u32 s0, s0, s24
	s_addc_u32 s1, s1, s25
	s_add_u32 s0, s0, s28
	s_addc_u32 s1, s1, s29
	;; [unrolled: 2-line block ×3, first 2 shown]
	s_lshl_b64 s[8:9], s[8:9], 3
	s_add_u32 s2, s2, s30
	s_addc_u32 s3, s3, s31
	s_add_u32 s2, s2, s34
	s_addc_u32 s3, s3, s35
	v_add_co_u32 v3, s2, s2, v2
	v_add_co_ci_u32_e64 v4, null, s3, 0, s2
	v_add_co_u32 v1, s0, s0, v1
	v_add_co_ci_u32_e64 v2, null, s1, 0, s0
	;; [unrolled: 2-line block ×3, first 2 shown]
	v_mov_b32_e32 v7, 0
	v_mov_b32_e32 v6, 0
	s_mul_i32 s1, s17, 3
.LBB313_10:                             ; =>This Inner Loop Header: Depth=1
	v_add_nc_u32_e32 v11, s16, v10
	v_add_nc_u32_e32 v15, s1, v10
	v_add_co_u32 v13, s0, v3, s8
	v_add_co_ci_u32_e64 v14, null, s9, v4, s0
	v_ashrrev_i32_e32 v12, 31, v11
	v_ashrrev_i32_e32 v16, 31, v15
	global_load_dword v19, v[1:2], off
	v_add_nc_u32_e32 v10, 64, v10
	v_lshlrev_b64 v[11:12], 3, v[11:12]
	v_lshlrev_b64 v[15:16], 3, v[15:16]
	v_add_co_u32 v11, s0, s14, v11
	v_add_co_ci_u32_e64 v12, null, s15, v12, s0
	v_add_co_u32 v15, s0, s14, v15
	v_add_co_ci_u32_e64 v16, null, s15, v16, s0
	s_clause 0x1
	global_load_dwordx2 v[17:18], v[3:4], off offset:-4
	global_load_dwordx2 v[13:14], v[13:14], off offset:-4
	s_clause 0x1
	global_load_dwordx2 v[11:12], v[11:12], off
	global_load_dwordx2 v[15:16], v[15:16], off
	v_add_co_u32 v1, s0, 0x100, v1
	v_add_co_ci_u32_e64 v2, null, 0, v2, s0
	v_add_co_u32 v3, s0, 0x200, v3
	v_add_co_ci_u32_e64 v4, null, 0, v4, s0
	v_cmp_le_i32_e64 s0, s12, v10
	s_or_b32 s11, s0, s11
	s_waitcnt vmcnt(4)
	v_lshlrev_b32_e32 v20, 16, v19
	v_and_b32_e32 v19, 0xffff0000, v19
	s_waitcnt vmcnt(3)
	v_fmac_f32_e32 v9, v17, v20
	s_waitcnt vmcnt(2)
	v_fmac_f32_e32 v8, v13, v20
	;; [unrolled: 2-line block ×4, first 2 shown]
	v_fmac_f32_e32 v9, v18, v19
	v_fmac_f32_e32 v8, v14, v19
	;; [unrolled: 1-line block ×4, first 2 shown]
	s_andn2_b32 exec_lo, exec_lo, s11
	s_cbranch_execnz .LBB313_10
; %bb.11:
	s_or_b32 exec_lo, exec_lo, s11
.LBB313_12:
	s_or_b32 exec_lo, exec_lo, s13
	v_mbcnt_lo_u32_b32 v2, -1, 0
	v_xor_b32_e32 v1, 16, v2
	v_xor_b32_e32 v3, 8, v2
	v_cmp_gt_i32_e64 s0, 32, v1
	v_cndmask_b32_e64 v1, v2, v1, s0
	v_cmp_gt_i32_e64 s0, 32, v3
	v_lshlrev_b32_e32 v1, 2, v1
	v_cndmask_b32_e64 v3, v2, v3, s0
	ds_bpermute_b32 v4, v1, v9
	v_lshlrev_b32_e32 v3, 2, v3
	s_waitcnt lgkmcnt(0)
	v_add_f32_e32 v9, v9, v4
	v_xor_b32_e32 v4, 4, v2
	ds_bpermute_b32 v10, v3, v9
	v_cmp_gt_i32_e64 s0, 32, v4
	v_cndmask_b32_e64 v4, v2, v4, s0
	v_lshlrev_b32_e32 v4, 2, v4
	s_waitcnt lgkmcnt(0)
	v_add_f32_e32 v10, v9, v10
	v_xor_b32_e32 v9, 2, v2
	ds_bpermute_b32 v11, v4, v10
	v_cmp_gt_i32_e64 s0, 32, v9
	v_cndmask_b32_e64 v9, v2, v9, s0
	;; [unrolled: 7-line block ×3, first 2 shown]
	v_lshlrev_b32_e32 v10, 2, v2
	s_waitcnt lgkmcnt(0)
	v_add_f32_e32 v2, v11, v12
	v_lshrrev_b32_e32 v11, 3, v0
	ds_bpermute_b32 v12, v10, v2
	v_and_b32_e32 v11, 0x7c, v11
	v_add_nc_u32_e32 v11, 0, v11
	s_waitcnt lgkmcnt(0)
	v_add_f32_e32 v2, v2, v12
	ds_write_b32 v11, v2
	s_waitcnt lgkmcnt(0)
	s_barrier
	buffer_gl0_inv
	s_and_saveexec_b32 s0, vcc_lo
	s_cbranch_execz .LBB313_14
; %bb.13:
	ds_read_b32 v2, v5
	s_waitcnt lgkmcnt(0)
	ds_bpermute_b32 v12, v1, v2
	s_waitcnt lgkmcnt(0)
	v_add_f32_e32 v2, v2, v12
	ds_bpermute_b32 v12, v3, v2
	s_waitcnt lgkmcnt(0)
	v_add_f32_e32 v2, v2, v12
	ds_bpermute_b32 v12, v4, v2
	s_waitcnt lgkmcnt(0)
	v_add_f32_e32 v2, v2, v12
	ds_bpermute_b32 v12, v9, v2
	s_waitcnt lgkmcnt(0)
	v_add_f32_e32 v2, v2, v12
	ds_bpermute_b32 v12, v10, v2
	s_waitcnt lgkmcnt(0)
	v_add_f32_e32 v2, v2, v12
.LBB313_14:
	s_or_b32 exec_lo, exec_lo, s0
	ds_bpermute_b32 v12, v1, v8
	s_waitcnt lgkmcnt(0)
	s_barrier
	buffer_gl0_inv
	v_add_f32_e32 v8, v8, v12
	ds_bpermute_b32 v12, v3, v8
	s_waitcnt lgkmcnt(0)
	v_add_f32_e32 v8, v8, v12
	ds_bpermute_b32 v12, v4, v8
	s_waitcnt lgkmcnt(0)
	v_add_f32_e32 v8, v8, v12
	ds_bpermute_b32 v12, v9, v8
	s_waitcnt lgkmcnt(0)
	v_add_f32_e32 v8, v8, v12
	ds_bpermute_b32 v12, v10, v8
	s_waitcnt lgkmcnt(0)
	v_add_f32_e32 v8, v8, v12
	ds_write_b32 v11, v8
	s_waitcnt lgkmcnt(0)
	s_barrier
	buffer_gl0_inv
	s_and_saveexec_b32 s0, vcc_lo
	s_cbranch_execz .LBB313_16
; %bb.15:
	ds_read_b32 v8, v5
	s_waitcnt lgkmcnt(0)
	ds_bpermute_b32 v12, v1, v8
	s_waitcnt lgkmcnt(0)
	v_add_f32_e32 v8, v8, v12
	ds_bpermute_b32 v12, v3, v8
	s_waitcnt lgkmcnt(0)
	v_add_f32_e32 v8, v8, v12
	ds_bpermute_b32 v12, v4, v8
	s_waitcnt lgkmcnt(0)
	v_add_f32_e32 v8, v8, v12
	ds_bpermute_b32 v12, v9, v8
	s_waitcnt lgkmcnt(0)
	v_add_f32_e32 v8, v8, v12
	ds_bpermute_b32 v12, v10, v8
	s_waitcnt lgkmcnt(0)
	v_add_f32_e32 v8, v8, v12
.LBB313_16:
	s_or_b32 exec_lo, exec_lo, s0
	ds_bpermute_b32 v12, v1, v7
	s_waitcnt lgkmcnt(0)
	s_barrier
	buffer_gl0_inv
	v_add_f32_e32 v7, v7, v12
	ds_bpermute_b32 v12, v3, v7
	s_waitcnt lgkmcnt(0)
	v_add_f32_e32 v7, v7, v12
	ds_bpermute_b32 v12, v4, v7
	s_waitcnt lgkmcnt(0)
	v_add_f32_e32 v7, v7, v12
	ds_bpermute_b32 v12, v9, v7
	s_waitcnt lgkmcnt(0)
	v_add_f32_e32 v7, v7, v12
	ds_bpermute_b32 v12, v10, v7
	s_waitcnt lgkmcnt(0)
	v_add_f32_e32 v7, v7, v12
	ds_write_b32 v11, v7
	s_waitcnt lgkmcnt(0)
	s_barrier
	buffer_gl0_inv
	s_and_saveexec_b32 s0, vcc_lo
	s_cbranch_execz .LBB313_18
; %bb.17:
	ds_read_b32 v7, v5
	s_waitcnt lgkmcnt(0)
	ds_bpermute_b32 v12, v1, v7
	s_waitcnt lgkmcnt(0)
	v_add_f32_e32 v7, v7, v12
	ds_bpermute_b32 v12, v3, v7
	s_waitcnt lgkmcnt(0)
	v_add_f32_e32 v7, v7, v12
	ds_bpermute_b32 v12, v4, v7
	s_waitcnt lgkmcnt(0)
	v_add_f32_e32 v7, v7, v12
	ds_bpermute_b32 v12, v9, v7
	s_waitcnt lgkmcnt(0)
	v_add_f32_e32 v7, v7, v12
	ds_bpermute_b32 v12, v10, v7
	s_waitcnt lgkmcnt(0)
	v_add_f32_e32 v7, v7, v12
.LBB313_18:
	s_or_b32 exec_lo, exec_lo, s0
	ds_bpermute_b32 v12, v1, v6
	s_waitcnt lgkmcnt(0)
	s_barrier
	buffer_gl0_inv
	v_add_f32_e32 v6, v6, v12
	ds_bpermute_b32 v12, v3, v6
	s_waitcnt lgkmcnt(0)
	v_add_f32_e32 v6, v6, v12
	ds_bpermute_b32 v12, v4, v6
	s_waitcnt lgkmcnt(0)
	v_add_f32_e32 v6, v6, v12
	ds_bpermute_b32 v12, v9, v6
	s_waitcnt lgkmcnt(0)
	v_add_f32_e32 v6, v6, v12
	ds_bpermute_b32 v12, v10, v6
	s_waitcnt lgkmcnt(0)
	v_add_f32_e32 v6, v6, v12
	ds_write_b32 v11, v6
	s_waitcnt lgkmcnt(0)
	s_barrier
	buffer_gl0_inv
	s_and_saveexec_b32 s0, vcc_lo
	s_cbranch_execz .LBB313_20
; %bb.19:
	ds_read_b32 v5, v5
	s_waitcnt lgkmcnt(0)
	ds_bpermute_b32 v1, v1, v5
	s_waitcnt lgkmcnt(0)
	v_add_f32_e32 v1, v5, v1
	ds_bpermute_b32 v3, v3, v1
	s_waitcnt lgkmcnt(0)
	v_add_f32_e32 v1, v1, v3
	;; [unrolled: 3-line block ×5, first 2 shown]
.LBB313_20:
	s_or_b32 exec_lo, exec_lo, s0
	s_barrier
	buffer_gl0_inv
	s_mov_b32 s0, exec_lo
	v_cmpx_gt_u32_e32 4, v0
	s_cbranch_execz .LBB313_22
; %bb.21:
	s_load_dwordx2 s[0:1], s[4:5], 0x38
	v_mad_u64_u32 v[3:4], null, s18, v0, s[6:7]
	v_cmp_eq_u32_e32 vcc_lo, 1, v0
	s_mul_hi_i32 s3, s22, s10
	s_mul_i32 s2, s22, s10
	s_mul_i32 s4, s26, s7
	s_lshl_b64 s[2:3], s[2:3], 2
	v_cndmask_b32_e32 v1, v2, v8, vcc_lo
	v_ashrrev_i32_e32 v4, 31, v3
	v_cmp_eq_u32_e32 vcc_lo, 2, v0
	s_ashr_i32 s5, s4, 31
	v_cndmask_b32_e32 v5, v1, v7, vcc_lo
	v_lshlrev_b64 v[1:2], 2, v[3:4]
	v_cmp_eq_u32_e32 vcc_lo, 3, v0
	s_waitcnt lgkmcnt(0)
	s_add_u32 s2, s0, s2
	s_addc_u32 s3, s1, s3
	s_lshl_b64 s[0:1], s[4:5], 2
	v_cndmask_b32_e32 v3, v5, v6, vcc_lo
	s_add_u32 s0, s2, s0
	s_addc_u32 s1, s3, s1
	v_add_co_u32 v0, vcc_lo, s0, v1
	v_add_co_ci_u32_e64 v1, null, s1, v2, vcc_lo
	global_store_dword v[0:1], v3, off
.LBB313_22:
	s_endpgm
	.section	.rodata,"a",@progbits
	.p2align	6, 0x0
	.amdhsa_kernel _ZL13mul_mat_vec_fI14__hip_bfloat16fLi4ELi64ELb0ELb0EEvPKT_PKfPKi31ggml_cuda_mm_fusion_args_devicePfi15HIP_vector_typeIjLj3EEiiiSB_iiiSB_iiii
		.amdhsa_group_segment_fixed_size 0
		.amdhsa_private_segment_fixed_size 0
		.amdhsa_kernarg_size 144
		.amdhsa_user_sgpr_count 6
		.amdhsa_user_sgpr_private_segment_buffer 1
		.amdhsa_user_sgpr_dispatch_ptr 0
		.amdhsa_user_sgpr_queue_ptr 0
		.amdhsa_user_sgpr_kernarg_segment_ptr 1
		.amdhsa_user_sgpr_dispatch_id 0
		.amdhsa_user_sgpr_flat_scratch_init 0
		.amdhsa_user_sgpr_private_segment_size 0
		.amdhsa_wavefront_size32 1
		.amdhsa_uses_dynamic_stack 0
		.amdhsa_system_sgpr_private_segment_wavefront_offset 0
		.amdhsa_system_sgpr_workgroup_id_x 1
		.amdhsa_system_sgpr_workgroup_id_y 1
		.amdhsa_system_sgpr_workgroup_id_z 1
		.amdhsa_system_sgpr_workgroup_info 0
		.amdhsa_system_vgpr_workitem_id 0
		.amdhsa_next_free_vgpr 21
		.amdhsa_next_free_sgpr 36
		.amdhsa_reserve_vcc 1
		.amdhsa_reserve_flat_scratch 0
		.amdhsa_float_round_mode_32 0
		.amdhsa_float_round_mode_16_64 0
		.amdhsa_float_denorm_mode_32 3
		.amdhsa_float_denorm_mode_16_64 3
		.amdhsa_dx10_clamp 1
		.amdhsa_ieee_mode 1
		.amdhsa_fp16_overflow 0
		.amdhsa_workgroup_processor_mode 1
		.amdhsa_memory_ordered 1
		.amdhsa_forward_progress 1
		.amdhsa_shared_vgpr_count 0
		.amdhsa_exception_fp_ieee_invalid_op 0
		.amdhsa_exception_fp_denorm_src 0
		.amdhsa_exception_fp_ieee_div_zero 0
		.amdhsa_exception_fp_ieee_overflow 0
		.amdhsa_exception_fp_ieee_underflow 0
		.amdhsa_exception_fp_ieee_inexact 0
		.amdhsa_exception_int_div_zero 0
	.end_amdhsa_kernel
	.section	.text._ZL13mul_mat_vec_fI14__hip_bfloat16fLi4ELi64ELb0ELb0EEvPKT_PKfPKi31ggml_cuda_mm_fusion_args_devicePfi15HIP_vector_typeIjLj3EEiiiSB_iiiSB_iiii,"axG",@progbits,_ZL13mul_mat_vec_fI14__hip_bfloat16fLi4ELi64ELb0ELb0EEvPKT_PKfPKi31ggml_cuda_mm_fusion_args_devicePfi15HIP_vector_typeIjLj3EEiiiSB_iiiSB_iiii,comdat
.Lfunc_end313:
	.size	_ZL13mul_mat_vec_fI14__hip_bfloat16fLi4ELi64ELb0ELb0EEvPKT_PKfPKi31ggml_cuda_mm_fusion_args_devicePfi15HIP_vector_typeIjLj3EEiiiSB_iiiSB_iiii, .Lfunc_end313-_ZL13mul_mat_vec_fI14__hip_bfloat16fLi4ELi64ELb0ELb0EEvPKT_PKfPKi31ggml_cuda_mm_fusion_args_devicePfi15HIP_vector_typeIjLj3EEiiiSB_iiiSB_iiii
                                        ; -- End function
	.set _ZL13mul_mat_vec_fI14__hip_bfloat16fLi4ELi64ELb0ELb0EEvPKT_PKfPKi31ggml_cuda_mm_fusion_args_devicePfi15HIP_vector_typeIjLj3EEiiiSB_iiiSB_iiii.num_vgpr, 21
	.set _ZL13mul_mat_vec_fI14__hip_bfloat16fLi4ELi64ELb0ELb0EEvPKT_PKfPKi31ggml_cuda_mm_fusion_args_devicePfi15HIP_vector_typeIjLj3EEiiiSB_iiiSB_iiii.num_agpr, 0
	.set _ZL13mul_mat_vec_fI14__hip_bfloat16fLi4ELi64ELb0ELb0EEvPKT_PKfPKi31ggml_cuda_mm_fusion_args_devicePfi15HIP_vector_typeIjLj3EEiiiSB_iiiSB_iiii.numbered_sgpr, 36
	.set _ZL13mul_mat_vec_fI14__hip_bfloat16fLi4ELi64ELb0ELb0EEvPKT_PKfPKi31ggml_cuda_mm_fusion_args_devicePfi15HIP_vector_typeIjLj3EEiiiSB_iiiSB_iiii.num_named_barrier, 0
	.set _ZL13mul_mat_vec_fI14__hip_bfloat16fLi4ELi64ELb0ELb0EEvPKT_PKfPKi31ggml_cuda_mm_fusion_args_devicePfi15HIP_vector_typeIjLj3EEiiiSB_iiiSB_iiii.private_seg_size, 0
	.set _ZL13mul_mat_vec_fI14__hip_bfloat16fLi4ELi64ELb0ELb0EEvPKT_PKfPKi31ggml_cuda_mm_fusion_args_devicePfi15HIP_vector_typeIjLj3EEiiiSB_iiiSB_iiii.uses_vcc, 1
	.set _ZL13mul_mat_vec_fI14__hip_bfloat16fLi4ELi64ELb0ELb0EEvPKT_PKfPKi31ggml_cuda_mm_fusion_args_devicePfi15HIP_vector_typeIjLj3EEiiiSB_iiiSB_iiii.uses_flat_scratch, 0
	.set _ZL13mul_mat_vec_fI14__hip_bfloat16fLi4ELi64ELb0ELb0EEvPKT_PKfPKi31ggml_cuda_mm_fusion_args_devicePfi15HIP_vector_typeIjLj3EEiiiSB_iiiSB_iiii.has_dyn_sized_stack, 0
	.set _ZL13mul_mat_vec_fI14__hip_bfloat16fLi4ELi64ELb0ELb0EEvPKT_PKfPKi31ggml_cuda_mm_fusion_args_devicePfi15HIP_vector_typeIjLj3EEiiiSB_iiiSB_iiii.has_recursion, 0
	.set _ZL13mul_mat_vec_fI14__hip_bfloat16fLi4ELi64ELb0ELb0EEvPKT_PKfPKi31ggml_cuda_mm_fusion_args_devicePfi15HIP_vector_typeIjLj3EEiiiSB_iiiSB_iiii.has_indirect_call, 0
	.section	.AMDGPU.csdata,"",@progbits
; Kernel info:
; codeLenInByte = 1920
; TotalNumSgprs: 38
; NumVgprs: 21
; ScratchSize: 0
; MemoryBound: 0
; FloatMode: 240
; IeeeMode: 1
; LDSByteSize: 0 bytes/workgroup (compile time only)
; SGPRBlocks: 0
; VGPRBlocks: 2
; NumSGPRsForWavesPerEU: 38
; NumVGPRsForWavesPerEU: 21
; Occupancy: 16
; WaveLimiterHint : 0
; COMPUTE_PGM_RSRC2:SCRATCH_EN: 0
; COMPUTE_PGM_RSRC2:USER_SGPR: 6
; COMPUTE_PGM_RSRC2:TRAP_HANDLER: 0
; COMPUTE_PGM_RSRC2:TGID_X_EN: 1
; COMPUTE_PGM_RSRC2:TGID_Y_EN: 1
; COMPUTE_PGM_RSRC2:TGID_Z_EN: 1
; COMPUTE_PGM_RSRC2:TIDIG_COMP_CNT: 0
	.section	.text._ZL13mul_mat_vec_fI14__hip_bfloat16fLi4ELi96ELb0ELb0EEvPKT_PKfPKi31ggml_cuda_mm_fusion_args_devicePfi15HIP_vector_typeIjLj3EEiiiSB_iiiSB_iiii,"axG",@progbits,_ZL13mul_mat_vec_fI14__hip_bfloat16fLi4ELi96ELb0ELb0EEvPKT_PKfPKi31ggml_cuda_mm_fusion_args_devicePfi15HIP_vector_typeIjLj3EEiiiSB_iiiSB_iiii,comdat
	.globl	_ZL13mul_mat_vec_fI14__hip_bfloat16fLi4ELi96ELb0ELb0EEvPKT_PKfPKi31ggml_cuda_mm_fusion_args_devicePfi15HIP_vector_typeIjLj3EEiiiSB_iiiSB_iiii ; -- Begin function _ZL13mul_mat_vec_fI14__hip_bfloat16fLi4ELi96ELb0ELb0EEvPKT_PKfPKi31ggml_cuda_mm_fusion_args_devicePfi15HIP_vector_typeIjLj3EEiiiSB_iiiSB_iiii
	.p2align	8
	.type	_ZL13mul_mat_vec_fI14__hip_bfloat16fLi4ELi96ELb0ELb0EEvPKT_PKfPKi31ggml_cuda_mm_fusion_args_devicePfi15HIP_vector_typeIjLj3EEiiiSB_iiiSB_iiii,@function
_ZL13mul_mat_vec_fI14__hip_bfloat16fLi4ELi96ELb0ELb0EEvPKT_PKfPKi31ggml_cuda_mm_fusion_args_devicePfi15HIP_vector_typeIjLj3EEiiiSB_iiiSB_iiii: ; @_ZL13mul_mat_vec_fI14__hip_bfloat16fLi4ELi96ELb0ELb0EEvPKT_PKfPKi31ggml_cuda_mm_fusion_args_devicePfi15HIP_vector_typeIjLj3EEiiiSB_iiiSB_iiii
; %bb.0:
	s_clause 0x2
	s_load_dwordx2 s[0:1], s[4:5], 0x10
	s_load_dwordx8 s[12:19], s[4:5], 0x40
	s_load_dwordx4 s[20:23], s[4:5], 0x80
	s_waitcnt lgkmcnt(0)
	s_cmp_eq_u64 s[0:1], 0
	s_cselect_b32 s10, -1, 0
	s_cmp_lg_u64 s[0:1], 0
	s_cselect_b32 s9, -1, 0
	s_and_b32 vcc_lo, exec_lo, s10
	s_cbranch_vccnz .LBB314_2
; %bb.1:
	s_mul_i32 s2, s23, s8
	s_mov_b32 s3, 0
	s_add_i32 s2, s2, s7
	s_lshl_b64 s[24:25], s[2:3], 2
	s_add_u32 s0, s0, s24
	s_addc_u32 s1, s1, s25
	s_load_dword s19, s[0:1], 0x0
	s_cbranch_execz .LBB314_3
	s_branch .LBB314_4
.LBB314_2:
                                        ; implicit-def: $sgpr19
.LBB314_3:
	s_load_dwordx2 s[0:1], s[4:5], 0x5c
	s_waitcnt lgkmcnt(0)
	s_mul_hi_u32 s0, s0, s7
	s_add_i32 s0, s7, s0
	s_lshr_b32 s19, s0, s1
.LBB314_4:
	s_load_dwordx4 s[24:27], s[4:5], 0x68
	s_andn2_b32 vcc_lo, exec_lo, s9
	s_mov_b32 s23, s7
	s_cbranch_vccnz .LBB314_6
; %bb.5:
	s_mul_hi_u32 s0, s13, s7
	s_add_i32 s0, s7, s0
	s_lshr_b32 s0, s0, s14
	s_mul_i32 s0, s0, s15
	s_sub_i32 s23, s7, s0
.LBB314_6:
	s_load_dword s9, s[4:5], 0x78
	v_cmp_gt_u32_e32 vcc_lo, 32, v0
	v_lshl_add_u32 v5, v0, 2, 0
	s_and_saveexec_b32 s0, vcc_lo
; %bb.7:
	v_mov_b32_e32 v1, 0
	ds_write_b32 v5, v1
; %bb.8:
	s_or_b32 exec_lo, exec_lo, s0
	v_mov_b32_e32 v6, 0
	v_mov_b32_e32 v7, 0
	;; [unrolled: 1-line block ×4, first 2 shown]
	s_and_b32 s0, exec_lo, s10
	s_mov_b32 s11, 0
	s_cselect_b32 s10, s8, 0
	s_mov_b32 s13, exec_lo
	s_waitcnt lgkmcnt(0)
	s_barrier
	buffer_gl0_inv
	v_cmpx_gt_i32_e64 s12, v0
	s_cbranch_execz .LBB314_12
; %bb.9:
	s_load_dwordx4 s[0:3], s[4:5], 0x0
	s_mul_hi_u32 s27, s27, s10
	s_mul_hi_i32 s15, s21, s10
	s_mul_i32 s14, s21, s10
	s_mul_i32 s24, s19, s24
	s_mul_i32 s28, s16, s6
	s_mul_i32 s30, s23, s25
	s_add_i32 s16, s10, s27
	s_lshl_b64 s[34:35], s[14:15], 2
	s_ashr_i32 s25, s24, 31
	s_ashr_i32 s29, s28, 31
	;; [unrolled: 1-line block ×3, first 2 shown]
	s_lshr_b32 s9, s16, s9
	s_mov_b32 s8, s17
	s_mul_hi_i32 s21, s9, s20
	s_mul_i32 s20, s9, s20
	v_lshlrev_b32_e32 v2, 3, v0
	v_lshlrev_b32_e32 v1, 2, v0
	v_mov_b32_e32 v9, 0
	v_mov_b32_e32 v10, v0
	s_waitcnt lgkmcnt(0)
	s_add_u32 s14, s2, s34
	s_addc_u32 s15, s3, s35
	s_lshl_b64 s[30:31], s[30:31], 2
	v_mov_b32_e32 v8, 0
	s_add_u32 s14, s14, s30
	s_addc_u32 s15, s15, s31
	s_lshl_b64 s[24:25], s[24:25], 1
	s_ashr_i32 s9, s17, 31
	s_add_i32 s16, s17, s17
	s_lshl_b64 s[20:21], s[20:21], 1
	s_lshl_b64 s[28:29], s[28:29], 1
	s_add_u32 s0, s0, s24
	s_addc_u32 s1, s1, s25
	s_add_u32 s0, s0, s28
	s_addc_u32 s1, s1, s29
	s_add_u32 s0, s0, s20
	s_addc_u32 s1, s1, s21
	s_lshl_b64 s[8:9], s[8:9], 3
	s_add_u32 s2, s2, s30
	s_addc_u32 s3, s3, s31
	s_add_u32 s2, s2, s34
	s_addc_u32 s3, s3, s35
	v_add_co_u32 v3, s2, s2, v2
	v_add_co_ci_u32_e64 v4, null, s3, 0, s2
	v_add_co_u32 v1, s0, s0, v1
	v_add_co_ci_u32_e64 v2, null, s1, 0, s0
	;; [unrolled: 2-line block ×3, first 2 shown]
	v_mov_b32_e32 v7, 0
	v_mov_b32_e32 v6, 0
	s_mul_i32 s1, s17, 3
.LBB314_10:                             ; =>This Inner Loop Header: Depth=1
	v_add_nc_u32_e32 v11, s16, v10
	v_add_nc_u32_e32 v15, s1, v10
	v_add_co_u32 v13, s0, v3, s8
	v_add_co_ci_u32_e64 v14, null, s9, v4, s0
	v_ashrrev_i32_e32 v12, 31, v11
	v_ashrrev_i32_e32 v16, 31, v15
	global_load_dword v19, v[1:2], off
	v_add_nc_u32_e32 v10, 0x60, v10
	v_lshlrev_b64 v[11:12], 3, v[11:12]
	v_lshlrev_b64 v[15:16], 3, v[15:16]
	v_add_co_u32 v11, s0, s14, v11
	v_add_co_ci_u32_e64 v12, null, s15, v12, s0
	v_add_co_u32 v15, s0, s14, v15
	v_add_co_ci_u32_e64 v16, null, s15, v16, s0
	s_clause 0x1
	global_load_dwordx2 v[17:18], v[3:4], off offset:-4
	global_load_dwordx2 v[13:14], v[13:14], off offset:-4
	s_clause 0x1
	global_load_dwordx2 v[11:12], v[11:12], off
	global_load_dwordx2 v[15:16], v[15:16], off
	v_add_co_u32 v1, s0, 0x180, v1
	v_add_co_ci_u32_e64 v2, null, 0, v2, s0
	v_add_co_u32 v3, s0, 0x300, v3
	v_add_co_ci_u32_e64 v4, null, 0, v4, s0
	v_cmp_le_i32_e64 s0, s12, v10
	s_or_b32 s11, s0, s11
	s_waitcnt vmcnt(4)
	v_lshlrev_b32_e32 v20, 16, v19
	v_and_b32_e32 v19, 0xffff0000, v19
	s_waitcnt vmcnt(3)
	v_fmac_f32_e32 v9, v17, v20
	s_waitcnt vmcnt(2)
	v_fmac_f32_e32 v8, v13, v20
	;; [unrolled: 2-line block ×4, first 2 shown]
	v_fmac_f32_e32 v9, v18, v19
	v_fmac_f32_e32 v8, v14, v19
	;; [unrolled: 1-line block ×4, first 2 shown]
	s_andn2_b32 exec_lo, exec_lo, s11
	s_cbranch_execnz .LBB314_10
; %bb.11:
	s_or_b32 exec_lo, exec_lo, s11
.LBB314_12:
	s_or_b32 exec_lo, exec_lo, s13
	v_mbcnt_lo_u32_b32 v2, -1, 0
	v_xor_b32_e32 v1, 16, v2
	v_xor_b32_e32 v3, 8, v2
	v_cmp_gt_i32_e64 s0, 32, v1
	v_cndmask_b32_e64 v1, v2, v1, s0
	v_cmp_gt_i32_e64 s0, 32, v3
	v_lshlrev_b32_e32 v1, 2, v1
	v_cndmask_b32_e64 v3, v2, v3, s0
	ds_bpermute_b32 v4, v1, v9
	v_lshlrev_b32_e32 v3, 2, v3
	s_waitcnt lgkmcnt(0)
	v_add_f32_e32 v9, v9, v4
	v_xor_b32_e32 v4, 4, v2
	ds_bpermute_b32 v10, v3, v9
	v_cmp_gt_i32_e64 s0, 32, v4
	v_cndmask_b32_e64 v4, v2, v4, s0
	v_lshlrev_b32_e32 v4, 2, v4
	s_waitcnt lgkmcnt(0)
	v_add_f32_e32 v10, v9, v10
	v_xor_b32_e32 v9, 2, v2
	ds_bpermute_b32 v11, v4, v10
	v_cmp_gt_i32_e64 s0, 32, v9
	v_cndmask_b32_e64 v9, v2, v9, s0
	;; [unrolled: 7-line block ×3, first 2 shown]
	v_lshlrev_b32_e32 v10, 2, v2
	s_waitcnt lgkmcnt(0)
	v_add_f32_e32 v2, v11, v12
	v_lshrrev_b32_e32 v11, 3, v0
	ds_bpermute_b32 v12, v10, v2
	v_and_b32_e32 v11, 0x7c, v11
	v_add_nc_u32_e32 v11, 0, v11
	s_waitcnt lgkmcnt(0)
	v_add_f32_e32 v2, v2, v12
	ds_write_b32 v11, v2
	s_waitcnt lgkmcnt(0)
	s_barrier
	buffer_gl0_inv
	s_and_saveexec_b32 s0, vcc_lo
	s_cbranch_execz .LBB314_14
; %bb.13:
	ds_read_b32 v2, v5
	s_waitcnt lgkmcnt(0)
	ds_bpermute_b32 v12, v1, v2
	s_waitcnt lgkmcnt(0)
	v_add_f32_e32 v2, v2, v12
	ds_bpermute_b32 v12, v3, v2
	s_waitcnt lgkmcnt(0)
	v_add_f32_e32 v2, v2, v12
	ds_bpermute_b32 v12, v4, v2
	s_waitcnt lgkmcnt(0)
	v_add_f32_e32 v2, v2, v12
	ds_bpermute_b32 v12, v9, v2
	s_waitcnt lgkmcnt(0)
	v_add_f32_e32 v2, v2, v12
	ds_bpermute_b32 v12, v10, v2
	s_waitcnt lgkmcnt(0)
	v_add_f32_e32 v2, v2, v12
.LBB314_14:
	s_or_b32 exec_lo, exec_lo, s0
	ds_bpermute_b32 v12, v1, v8
	s_waitcnt lgkmcnt(0)
	s_barrier
	buffer_gl0_inv
	v_add_f32_e32 v8, v8, v12
	ds_bpermute_b32 v12, v3, v8
	s_waitcnt lgkmcnt(0)
	v_add_f32_e32 v8, v8, v12
	ds_bpermute_b32 v12, v4, v8
	s_waitcnt lgkmcnt(0)
	v_add_f32_e32 v8, v8, v12
	ds_bpermute_b32 v12, v9, v8
	s_waitcnt lgkmcnt(0)
	v_add_f32_e32 v8, v8, v12
	ds_bpermute_b32 v12, v10, v8
	s_waitcnt lgkmcnt(0)
	v_add_f32_e32 v8, v8, v12
	ds_write_b32 v11, v8
	s_waitcnt lgkmcnt(0)
	s_barrier
	buffer_gl0_inv
	s_and_saveexec_b32 s0, vcc_lo
	s_cbranch_execz .LBB314_16
; %bb.15:
	ds_read_b32 v8, v5
	s_waitcnt lgkmcnt(0)
	ds_bpermute_b32 v12, v1, v8
	s_waitcnt lgkmcnt(0)
	v_add_f32_e32 v8, v8, v12
	ds_bpermute_b32 v12, v3, v8
	s_waitcnt lgkmcnt(0)
	v_add_f32_e32 v8, v8, v12
	ds_bpermute_b32 v12, v4, v8
	s_waitcnt lgkmcnt(0)
	v_add_f32_e32 v8, v8, v12
	ds_bpermute_b32 v12, v9, v8
	s_waitcnt lgkmcnt(0)
	v_add_f32_e32 v8, v8, v12
	ds_bpermute_b32 v12, v10, v8
	s_waitcnt lgkmcnt(0)
	v_add_f32_e32 v8, v8, v12
.LBB314_16:
	s_or_b32 exec_lo, exec_lo, s0
	ds_bpermute_b32 v12, v1, v7
	s_waitcnt lgkmcnt(0)
	s_barrier
	buffer_gl0_inv
	v_add_f32_e32 v7, v7, v12
	ds_bpermute_b32 v12, v3, v7
	s_waitcnt lgkmcnt(0)
	v_add_f32_e32 v7, v7, v12
	ds_bpermute_b32 v12, v4, v7
	s_waitcnt lgkmcnt(0)
	v_add_f32_e32 v7, v7, v12
	ds_bpermute_b32 v12, v9, v7
	s_waitcnt lgkmcnt(0)
	v_add_f32_e32 v7, v7, v12
	ds_bpermute_b32 v12, v10, v7
	;; [unrolled: 43-line block ×3, first 2 shown]
	s_waitcnt lgkmcnt(0)
	v_add_f32_e32 v6, v6, v12
	ds_write_b32 v11, v6
	s_waitcnt lgkmcnt(0)
	s_barrier
	buffer_gl0_inv
	s_and_saveexec_b32 s0, vcc_lo
	s_cbranch_execz .LBB314_20
; %bb.19:
	ds_read_b32 v5, v5
	s_waitcnt lgkmcnt(0)
	ds_bpermute_b32 v1, v1, v5
	s_waitcnt lgkmcnt(0)
	v_add_f32_e32 v1, v5, v1
	ds_bpermute_b32 v3, v3, v1
	s_waitcnt lgkmcnt(0)
	v_add_f32_e32 v1, v1, v3
	;; [unrolled: 3-line block ×5, first 2 shown]
.LBB314_20:
	s_or_b32 exec_lo, exec_lo, s0
	s_barrier
	buffer_gl0_inv
	s_mov_b32 s0, exec_lo
	v_cmpx_gt_u32_e32 4, v0
	s_cbranch_execz .LBB314_22
; %bb.21:
	s_load_dwordx2 s[0:1], s[4:5], 0x38
	v_mad_u64_u32 v[3:4], null, s18, v0, s[6:7]
	v_cmp_eq_u32_e32 vcc_lo, 1, v0
	s_mul_hi_i32 s3, s22, s10
	s_mul_i32 s2, s22, s10
	s_mul_i32 s4, s26, s7
	s_lshl_b64 s[2:3], s[2:3], 2
	v_cndmask_b32_e32 v1, v2, v8, vcc_lo
	v_ashrrev_i32_e32 v4, 31, v3
	v_cmp_eq_u32_e32 vcc_lo, 2, v0
	s_ashr_i32 s5, s4, 31
	v_cndmask_b32_e32 v5, v1, v7, vcc_lo
	v_lshlrev_b64 v[1:2], 2, v[3:4]
	v_cmp_eq_u32_e32 vcc_lo, 3, v0
	s_waitcnt lgkmcnt(0)
	s_add_u32 s2, s0, s2
	s_addc_u32 s3, s1, s3
	s_lshl_b64 s[0:1], s[4:5], 2
	v_cndmask_b32_e32 v3, v5, v6, vcc_lo
	s_add_u32 s0, s2, s0
	s_addc_u32 s1, s3, s1
	v_add_co_u32 v0, vcc_lo, s0, v1
	v_add_co_ci_u32_e64 v1, null, s1, v2, vcc_lo
	global_store_dword v[0:1], v3, off
.LBB314_22:
	s_endpgm
	.section	.rodata,"a",@progbits
	.p2align	6, 0x0
	.amdhsa_kernel _ZL13mul_mat_vec_fI14__hip_bfloat16fLi4ELi96ELb0ELb0EEvPKT_PKfPKi31ggml_cuda_mm_fusion_args_devicePfi15HIP_vector_typeIjLj3EEiiiSB_iiiSB_iiii
		.amdhsa_group_segment_fixed_size 0
		.amdhsa_private_segment_fixed_size 0
		.amdhsa_kernarg_size 144
		.amdhsa_user_sgpr_count 6
		.amdhsa_user_sgpr_private_segment_buffer 1
		.amdhsa_user_sgpr_dispatch_ptr 0
		.amdhsa_user_sgpr_queue_ptr 0
		.amdhsa_user_sgpr_kernarg_segment_ptr 1
		.amdhsa_user_sgpr_dispatch_id 0
		.amdhsa_user_sgpr_flat_scratch_init 0
		.amdhsa_user_sgpr_private_segment_size 0
		.amdhsa_wavefront_size32 1
		.amdhsa_uses_dynamic_stack 0
		.amdhsa_system_sgpr_private_segment_wavefront_offset 0
		.amdhsa_system_sgpr_workgroup_id_x 1
		.amdhsa_system_sgpr_workgroup_id_y 1
		.amdhsa_system_sgpr_workgroup_id_z 1
		.amdhsa_system_sgpr_workgroup_info 0
		.amdhsa_system_vgpr_workitem_id 0
		.amdhsa_next_free_vgpr 21
		.amdhsa_next_free_sgpr 36
		.amdhsa_reserve_vcc 1
		.amdhsa_reserve_flat_scratch 0
		.amdhsa_float_round_mode_32 0
		.amdhsa_float_round_mode_16_64 0
		.amdhsa_float_denorm_mode_32 3
		.amdhsa_float_denorm_mode_16_64 3
		.amdhsa_dx10_clamp 1
		.amdhsa_ieee_mode 1
		.amdhsa_fp16_overflow 0
		.amdhsa_workgroup_processor_mode 1
		.amdhsa_memory_ordered 1
		.amdhsa_forward_progress 1
		.amdhsa_shared_vgpr_count 0
		.amdhsa_exception_fp_ieee_invalid_op 0
		.amdhsa_exception_fp_denorm_src 0
		.amdhsa_exception_fp_ieee_div_zero 0
		.amdhsa_exception_fp_ieee_overflow 0
		.amdhsa_exception_fp_ieee_underflow 0
		.amdhsa_exception_fp_ieee_inexact 0
		.amdhsa_exception_int_div_zero 0
	.end_amdhsa_kernel
	.section	.text._ZL13mul_mat_vec_fI14__hip_bfloat16fLi4ELi96ELb0ELb0EEvPKT_PKfPKi31ggml_cuda_mm_fusion_args_devicePfi15HIP_vector_typeIjLj3EEiiiSB_iiiSB_iiii,"axG",@progbits,_ZL13mul_mat_vec_fI14__hip_bfloat16fLi4ELi96ELb0ELb0EEvPKT_PKfPKi31ggml_cuda_mm_fusion_args_devicePfi15HIP_vector_typeIjLj3EEiiiSB_iiiSB_iiii,comdat
.Lfunc_end314:
	.size	_ZL13mul_mat_vec_fI14__hip_bfloat16fLi4ELi96ELb0ELb0EEvPKT_PKfPKi31ggml_cuda_mm_fusion_args_devicePfi15HIP_vector_typeIjLj3EEiiiSB_iiiSB_iiii, .Lfunc_end314-_ZL13mul_mat_vec_fI14__hip_bfloat16fLi4ELi96ELb0ELb0EEvPKT_PKfPKi31ggml_cuda_mm_fusion_args_devicePfi15HIP_vector_typeIjLj3EEiiiSB_iiiSB_iiii
                                        ; -- End function
	.set _ZL13mul_mat_vec_fI14__hip_bfloat16fLi4ELi96ELb0ELb0EEvPKT_PKfPKi31ggml_cuda_mm_fusion_args_devicePfi15HIP_vector_typeIjLj3EEiiiSB_iiiSB_iiii.num_vgpr, 21
	.set _ZL13mul_mat_vec_fI14__hip_bfloat16fLi4ELi96ELb0ELb0EEvPKT_PKfPKi31ggml_cuda_mm_fusion_args_devicePfi15HIP_vector_typeIjLj3EEiiiSB_iiiSB_iiii.num_agpr, 0
	.set _ZL13mul_mat_vec_fI14__hip_bfloat16fLi4ELi96ELb0ELb0EEvPKT_PKfPKi31ggml_cuda_mm_fusion_args_devicePfi15HIP_vector_typeIjLj3EEiiiSB_iiiSB_iiii.numbered_sgpr, 36
	.set _ZL13mul_mat_vec_fI14__hip_bfloat16fLi4ELi96ELb0ELb0EEvPKT_PKfPKi31ggml_cuda_mm_fusion_args_devicePfi15HIP_vector_typeIjLj3EEiiiSB_iiiSB_iiii.num_named_barrier, 0
	.set _ZL13mul_mat_vec_fI14__hip_bfloat16fLi4ELi96ELb0ELb0EEvPKT_PKfPKi31ggml_cuda_mm_fusion_args_devicePfi15HIP_vector_typeIjLj3EEiiiSB_iiiSB_iiii.private_seg_size, 0
	.set _ZL13mul_mat_vec_fI14__hip_bfloat16fLi4ELi96ELb0ELb0EEvPKT_PKfPKi31ggml_cuda_mm_fusion_args_devicePfi15HIP_vector_typeIjLj3EEiiiSB_iiiSB_iiii.uses_vcc, 1
	.set _ZL13mul_mat_vec_fI14__hip_bfloat16fLi4ELi96ELb0ELb0EEvPKT_PKfPKi31ggml_cuda_mm_fusion_args_devicePfi15HIP_vector_typeIjLj3EEiiiSB_iiiSB_iiii.uses_flat_scratch, 0
	.set _ZL13mul_mat_vec_fI14__hip_bfloat16fLi4ELi96ELb0ELb0EEvPKT_PKfPKi31ggml_cuda_mm_fusion_args_devicePfi15HIP_vector_typeIjLj3EEiiiSB_iiiSB_iiii.has_dyn_sized_stack, 0
	.set _ZL13mul_mat_vec_fI14__hip_bfloat16fLi4ELi96ELb0ELb0EEvPKT_PKfPKi31ggml_cuda_mm_fusion_args_devicePfi15HIP_vector_typeIjLj3EEiiiSB_iiiSB_iiii.has_recursion, 0
	.set _ZL13mul_mat_vec_fI14__hip_bfloat16fLi4ELi96ELb0ELb0EEvPKT_PKfPKi31ggml_cuda_mm_fusion_args_devicePfi15HIP_vector_typeIjLj3EEiiiSB_iiiSB_iiii.has_indirect_call, 0
	.section	.AMDGPU.csdata,"",@progbits
; Kernel info:
; codeLenInByte = 1924
; TotalNumSgprs: 38
; NumVgprs: 21
; ScratchSize: 0
; MemoryBound: 0
; FloatMode: 240
; IeeeMode: 1
; LDSByteSize: 0 bytes/workgroup (compile time only)
; SGPRBlocks: 0
; VGPRBlocks: 2
; NumSGPRsForWavesPerEU: 38
; NumVGPRsForWavesPerEU: 21
; Occupancy: 16
; WaveLimiterHint : 0
; COMPUTE_PGM_RSRC2:SCRATCH_EN: 0
; COMPUTE_PGM_RSRC2:USER_SGPR: 6
; COMPUTE_PGM_RSRC2:TRAP_HANDLER: 0
; COMPUTE_PGM_RSRC2:TGID_X_EN: 1
; COMPUTE_PGM_RSRC2:TGID_Y_EN: 1
; COMPUTE_PGM_RSRC2:TGID_Z_EN: 1
; COMPUTE_PGM_RSRC2:TIDIG_COMP_CNT: 0
	.section	.text._ZL13mul_mat_vec_fI14__hip_bfloat16fLi4ELi128ELb0ELb0EEvPKT_PKfPKi31ggml_cuda_mm_fusion_args_devicePfi15HIP_vector_typeIjLj3EEiiiSB_iiiSB_iiii,"axG",@progbits,_ZL13mul_mat_vec_fI14__hip_bfloat16fLi4ELi128ELb0ELb0EEvPKT_PKfPKi31ggml_cuda_mm_fusion_args_devicePfi15HIP_vector_typeIjLj3EEiiiSB_iiiSB_iiii,comdat
	.globl	_ZL13mul_mat_vec_fI14__hip_bfloat16fLi4ELi128ELb0ELb0EEvPKT_PKfPKi31ggml_cuda_mm_fusion_args_devicePfi15HIP_vector_typeIjLj3EEiiiSB_iiiSB_iiii ; -- Begin function _ZL13mul_mat_vec_fI14__hip_bfloat16fLi4ELi128ELb0ELb0EEvPKT_PKfPKi31ggml_cuda_mm_fusion_args_devicePfi15HIP_vector_typeIjLj3EEiiiSB_iiiSB_iiii
	.p2align	8
	.type	_ZL13mul_mat_vec_fI14__hip_bfloat16fLi4ELi128ELb0ELb0EEvPKT_PKfPKi31ggml_cuda_mm_fusion_args_devicePfi15HIP_vector_typeIjLj3EEiiiSB_iiiSB_iiii,@function
_ZL13mul_mat_vec_fI14__hip_bfloat16fLi4ELi128ELb0ELb0EEvPKT_PKfPKi31ggml_cuda_mm_fusion_args_devicePfi15HIP_vector_typeIjLj3EEiiiSB_iiiSB_iiii: ; @_ZL13mul_mat_vec_fI14__hip_bfloat16fLi4ELi128ELb0ELb0EEvPKT_PKfPKi31ggml_cuda_mm_fusion_args_devicePfi15HIP_vector_typeIjLj3EEiiiSB_iiiSB_iiii
; %bb.0:
	s_clause 0x2
	s_load_dwordx2 s[0:1], s[4:5], 0x10
	s_load_dwordx8 s[12:19], s[4:5], 0x40
	s_load_dwordx4 s[20:23], s[4:5], 0x80
	s_waitcnt lgkmcnt(0)
	s_cmp_eq_u64 s[0:1], 0
	s_cselect_b32 s10, -1, 0
	s_cmp_lg_u64 s[0:1], 0
	s_cselect_b32 s9, -1, 0
	s_and_b32 vcc_lo, exec_lo, s10
	s_cbranch_vccnz .LBB315_2
; %bb.1:
	s_mul_i32 s2, s23, s8
	s_mov_b32 s3, 0
	s_add_i32 s2, s2, s7
	s_lshl_b64 s[24:25], s[2:3], 2
	s_add_u32 s0, s0, s24
	s_addc_u32 s1, s1, s25
	s_load_dword s19, s[0:1], 0x0
	s_cbranch_execz .LBB315_3
	s_branch .LBB315_4
.LBB315_2:
                                        ; implicit-def: $sgpr19
.LBB315_3:
	s_load_dwordx2 s[0:1], s[4:5], 0x5c
	s_waitcnt lgkmcnt(0)
	s_mul_hi_u32 s0, s0, s7
	s_add_i32 s0, s7, s0
	s_lshr_b32 s19, s0, s1
.LBB315_4:
	s_load_dwordx4 s[24:27], s[4:5], 0x68
	s_andn2_b32 vcc_lo, exec_lo, s9
	s_mov_b32 s23, s7
	s_cbranch_vccnz .LBB315_6
; %bb.5:
	s_mul_hi_u32 s0, s13, s7
	s_add_i32 s0, s7, s0
	s_lshr_b32 s0, s0, s14
	s_mul_i32 s0, s0, s15
	s_sub_i32 s23, s7, s0
.LBB315_6:
	s_load_dword s9, s[4:5], 0x78
	v_cmp_gt_u32_e32 vcc_lo, 32, v0
	v_lshl_add_u32 v5, v0, 2, 0
	s_and_saveexec_b32 s0, vcc_lo
; %bb.7:
	v_mov_b32_e32 v1, 0
	ds_write_b32 v5, v1
; %bb.8:
	s_or_b32 exec_lo, exec_lo, s0
	v_mov_b32_e32 v6, 0
	v_mov_b32_e32 v7, 0
	;; [unrolled: 1-line block ×4, first 2 shown]
	s_and_b32 s0, exec_lo, s10
	s_mov_b32 s11, 0
	s_cselect_b32 s10, s8, 0
	s_mov_b32 s13, exec_lo
	s_waitcnt lgkmcnt(0)
	s_barrier
	buffer_gl0_inv
	v_cmpx_gt_i32_e64 s12, v0
	s_cbranch_execz .LBB315_12
; %bb.9:
	s_load_dwordx4 s[0:3], s[4:5], 0x0
	s_mul_hi_u32 s27, s27, s10
	s_mul_hi_i32 s15, s21, s10
	s_mul_i32 s14, s21, s10
	s_mul_i32 s24, s19, s24
	;; [unrolled: 1-line block ×4, first 2 shown]
	s_add_i32 s16, s10, s27
	s_lshl_b64 s[34:35], s[14:15], 2
	s_ashr_i32 s25, s24, 31
	s_ashr_i32 s29, s28, 31
	;; [unrolled: 1-line block ×3, first 2 shown]
	s_lshr_b32 s9, s16, s9
	s_mov_b32 s8, s17
	s_mul_hi_i32 s21, s9, s20
	s_mul_i32 s20, s9, s20
	v_lshlrev_b32_e32 v2, 3, v0
	v_lshlrev_b32_e32 v1, 2, v0
	v_mov_b32_e32 v9, 0
	v_mov_b32_e32 v10, v0
	s_waitcnt lgkmcnt(0)
	s_add_u32 s14, s2, s34
	s_addc_u32 s15, s3, s35
	s_lshl_b64 s[30:31], s[30:31], 2
	v_mov_b32_e32 v8, 0
	s_add_u32 s14, s14, s30
	s_addc_u32 s15, s15, s31
	s_lshl_b64 s[24:25], s[24:25], 1
	s_ashr_i32 s9, s17, 31
	s_add_i32 s16, s17, s17
	s_lshl_b64 s[20:21], s[20:21], 1
	s_lshl_b64 s[28:29], s[28:29], 1
	s_add_u32 s0, s0, s24
	s_addc_u32 s1, s1, s25
	s_add_u32 s0, s0, s28
	s_addc_u32 s1, s1, s29
	;; [unrolled: 2-line block ×3, first 2 shown]
	s_lshl_b64 s[8:9], s[8:9], 3
	s_add_u32 s2, s2, s30
	s_addc_u32 s3, s3, s31
	s_add_u32 s2, s2, s34
	s_addc_u32 s3, s3, s35
	v_add_co_u32 v3, s2, s2, v2
	v_add_co_ci_u32_e64 v4, null, s3, 0, s2
	v_add_co_u32 v1, s0, s0, v1
	v_add_co_ci_u32_e64 v2, null, s1, 0, s0
	;; [unrolled: 2-line block ×3, first 2 shown]
	v_mov_b32_e32 v7, 0
	v_mov_b32_e32 v6, 0
	s_mul_i32 s1, s17, 3
.LBB315_10:                             ; =>This Inner Loop Header: Depth=1
	v_add_nc_u32_e32 v11, s16, v10
	v_add_nc_u32_e32 v15, s1, v10
	v_add_co_u32 v13, s0, v3, s8
	v_add_co_ci_u32_e64 v14, null, s9, v4, s0
	v_ashrrev_i32_e32 v12, 31, v11
	v_ashrrev_i32_e32 v16, 31, v15
	global_load_dword v19, v[1:2], off
	v_add_nc_u32_e32 v10, 0x80, v10
	v_lshlrev_b64 v[11:12], 3, v[11:12]
	v_lshlrev_b64 v[15:16], 3, v[15:16]
	v_add_co_u32 v11, s0, s14, v11
	v_add_co_ci_u32_e64 v12, null, s15, v12, s0
	v_add_co_u32 v15, s0, s14, v15
	v_add_co_ci_u32_e64 v16, null, s15, v16, s0
	s_clause 0x1
	global_load_dwordx2 v[17:18], v[3:4], off offset:-4
	global_load_dwordx2 v[13:14], v[13:14], off offset:-4
	s_clause 0x1
	global_load_dwordx2 v[11:12], v[11:12], off
	global_load_dwordx2 v[15:16], v[15:16], off
	v_add_co_u32 v1, s0, 0x200, v1
	v_add_co_ci_u32_e64 v2, null, 0, v2, s0
	v_add_co_u32 v3, s0, 0x400, v3
	v_add_co_ci_u32_e64 v4, null, 0, v4, s0
	v_cmp_le_i32_e64 s0, s12, v10
	s_or_b32 s11, s0, s11
	s_waitcnt vmcnt(4)
	v_lshlrev_b32_e32 v20, 16, v19
	v_and_b32_e32 v19, 0xffff0000, v19
	s_waitcnt vmcnt(3)
	v_fmac_f32_e32 v9, v17, v20
	s_waitcnt vmcnt(2)
	v_fmac_f32_e32 v8, v13, v20
	;; [unrolled: 2-line block ×4, first 2 shown]
	v_fmac_f32_e32 v9, v18, v19
	v_fmac_f32_e32 v8, v14, v19
	;; [unrolled: 1-line block ×4, first 2 shown]
	s_andn2_b32 exec_lo, exec_lo, s11
	s_cbranch_execnz .LBB315_10
; %bb.11:
	s_or_b32 exec_lo, exec_lo, s11
.LBB315_12:
	s_or_b32 exec_lo, exec_lo, s13
	v_mbcnt_lo_u32_b32 v2, -1, 0
	v_xor_b32_e32 v1, 16, v2
	v_xor_b32_e32 v3, 8, v2
	v_cmp_gt_i32_e64 s0, 32, v1
	v_cndmask_b32_e64 v1, v2, v1, s0
	v_cmp_gt_i32_e64 s0, 32, v3
	v_lshlrev_b32_e32 v1, 2, v1
	v_cndmask_b32_e64 v3, v2, v3, s0
	ds_bpermute_b32 v4, v1, v9
	v_lshlrev_b32_e32 v3, 2, v3
	s_waitcnt lgkmcnt(0)
	v_add_f32_e32 v9, v9, v4
	v_xor_b32_e32 v4, 4, v2
	ds_bpermute_b32 v10, v3, v9
	v_cmp_gt_i32_e64 s0, 32, v4
	v_cndmask_b32_e64 v4, v2, v4, s0
	v_lshlrev_b32_e32 v4, 2, v4
	s_waitcnt lgkmcnt(0)
	v_add_f32_e32 v10, v9, v10
	v_xor_b32_e32 v9, 2, v2
	ds_bpermute_b32 v11, v4, v10
	v_cmp_gt_i32_e64 s0, 32, v9
	v_cndmask_b32_e64 v9, v2, v9, s0
	;; [unrolled: 7-line block ×3, first 2 shown]
	v_lshlrev_b32_e32 v10, 2, v2
	s_waitcnt lgkmcnt(0)
	v_add_f32_e32 v2, v11, v12
	v_lshrrev_b32_e32 v11, 3, v0
	ds_bpermute_b32 v12, v10, v2
	v_and_b32_e32 v11, 0x7c, v11
	v_add_nc_u32_e32 v11, 0, v11
	s_waitcnt lgkmcnt(0)
	v_add_f32_e32 v2, v2, v12
	ds_write_b32 v11, v2
	s_waitcnt lgkmcnt(0)
	s_barrier
	buffer_gl0_inv
	s_and_saveexec_b32 s0, vcc_lo
	s_cbranch_execz .LBB315_14
; %bb.13:
	ds_read_b32 v2, v5
	s_waitcnt lgkmcnt(0)
	ds_bpermute_b32 v12, v1, v2
	s_waitcnt lgkmcnt(0)
	v_add_f32_e32 v2, v2, v12
	ds_bpermute_b32 v12, v3, v2
	s_waitcnt lgkmcnt(0)
	v_add_f32_e32 v2, v2, v12
	ds_bpermute_b32 v12, v4, v2
	s_waitcnt lgkmcnt(0)
	v_add_f32_e32 v2, v2, v12
	ds_bpermute_b32 v12, v9, v2
	s_waitcnt lgkmcnt(0)
	v_add_f32_e32 v2, v2, v12
	ds_bpermute_b32 v12, v10, v2
	s_waitcnt lgkmcnt(0)
	v_add_f32_e32 v2, v2, v12
.LBB315_14:
	s_or_b32 exec_lo, exec_lo, s0
	ds_bpermute_b32 v12, v1, v8
	s_waitcnt lgkmcnt(0)
	s_barrier
	buffer_gl0_inv
	v_add_f32_e32 v8, v8, v12
	ds_bpermute_b32 v12, v3, v8
	s_waitcnt lgkmcnt(0)
	v_add_f32_e32 v8, v8, v12
	ds_bpermute_b32 v12, v4, v8
	s_waitcnt lgkmcnt(0)
	v_add_f32_e32 v8, v8, v12
	ds_bpermute_b32 v12, v9, v8
	s_waitcnt lgkmcnt(0)
	v_add_f32_e32 v8, v8, v12
	ds_bpermute_b32 v12, v10, v8
	s_waitcnt lgkmcnt(0)
	v_add_f32_e32 v8, v8, v12
	ds_write_b32 v11, v8
	s_waitcnt lgkmcnt(0)
	s_barrier
	buffer_gl0_inv
	s_and_saveexec_b32 s0, vcc_lo
	s_cbranch_execz .LBB315_16
; %bb.15:
	ds_read_b32 v8, v5
	s_waitcnt lgkmcnt(0)
	ds_bpermute_b32 v12, v1, v8
	s_waitcnt lgkmcnt(0)
	v_add_f32_e32 v8, v8, v12
	ds_bpermute_b32 v12, v3, v8
	s_waitcnt lgkmcnt(0)
	v_add_f32_e32 v8, v8, v12
	ds_bpermute_b32 v12, v4, v8
	s_waitcnt lgkmcnt(0)
	v_add_f32_e32 v8, v8, v12
	ds_bpermute_b32 v12, v9, v8
	s_waitcnt lgkmcnt(0)
	v_add_f32_e32 v8, v8, v12
	ds_bpermute_b32 v12, v10, v8
	s_waitcnt lgkmcnt(0)
	v_add_f32_e32 v8, v8, v12
.LBB315_16:
	s_or_b32 exec_lo, exec_lo, s0
	ds_bpermute_b32 v12, v1, v7
	s_waitcnt lgkmcnt(0)
	s_barrier
	buffer_gl0_inv
	v_add_f32_e32 v7, v7, v12
	ds_bpermute_b32 v12, v3, v7
	s_waitcnt lgkmcnt(0)
	v_add_f32_e32 v7, v7, v12
	ds_bpermute_b32 v12, v4, v7
	s_waitcnt lgkmcnt(0)
	v_add_f32_e32 v7, v7, v12
	ds_bpermute_b32 v12, v9, v7
	s_waitcnt lgkmcnt(0)
	v_add_f32_e32 v7, v7, v12
	ds_bpermute_b32 v12, v10, v7
	;; [unrolled: 43-line block ×3, first 2 shown]
	s_waitcnt lgkmcnt(0)
	v_add_f32_e32 v6, v6, v12
	ds_write_b32 v11, v6
	s_waitcnt lgkmcnt(0)
	s_barrier
	buffer_gl0_inv
	s_and_saveexec_b32 s0, vcc_lo
	s_cbranch_execz .LBB315_20
; %bb.19:
	ds_read_b32 v5, v5
	s_waitcnt lgkmcnt(0)
	ds_bpermute_b32 v1, v1, v5
	s_waitcnt lgkmcnt(0)
	v_add_f32_e32 v1, v5, v1
	ds_bpermute_b32 v3, v3, v1
	s_waitcnt lgkmcnt(0)
	v_add_f32_e32 v1, v1, v3
	;; [unrolled: 3-line block ×5, first 2 shown]
.LBB315_20:
	s_or_b32 exec_lo, exec_lo, s0
	s_barrier
	buffer_gl0_inv
	s_mov_b32 s0, exec_lo
	v_cmpx_gt_u32_e32 4, v0
	s_cbranch_execz .LBB315_22
; %bb.21:
	s_load_dwordx2 s[0:1], s[4:5], 0x38
	v_mad_u64_u32 v[3:4], null, s18, v0, s[6:7]
	v_cmp_eq_u32_e32 vcc_lo, 1, v0
	s_mul_hi_i32 s3, s22, s10
	s_mul_i32 s2, s22, s10
	s_mul_i32 s4, s26, s7
	s_lshl_b64 s[2:3], s[2:3], 2
	v_cndmask_b32_e32 v1, v2, v8, vcc_lo
	v_ashrrev_i32_e32 v4, 31, v3
	v_cmp_eq_u32_e32 vcc_lo, 2, v0
	s_ashr_i32 s5, s4, 31
	v_cndmask_b32_e32 v5, v1, v7, vcc_lo
	v_lshlrev_b64 v[1:2], 2, v[3:4]
	v_cmp_eq_u32_e32 vcc_lo, 3, v0
	s_waitcnt lgkmcnt(0)
	s_add_u32 s2, s0, s2
	s_addc_u32 s3, s1, s3
	s_lshl_b64 s[0:1], s[4:5], 2
	v_cndmask_b32_e32 v3, v5, v6, vcc_lo
	s_add_u32 s0, s2, s0
	s_addc_u32 s1, s3, s1
	v_add_co_u32 v0, vcc_lo, s0, v1
	v_add_co_ci_u32_e64 v1, null, s1, v2, vcc_lo
	global_store_dword v[0:1], v3, off
.LBB315_22:
	s_endpgm
	.section	.rodata,"a",@progbits
	.p2align	6, 0x0
	.amdhsa_kernel _ZL13mul_mat_vec_fI14__hip_bfloat16fLi4ELi128ELb0ELb0EEvPKT_PKfPKi31ggml_cuda_mm_fusion_args_devicePfi15HIP_vector_typeIjLj3EEiiiSB_iiiSB_iiii
		.amdhsa_group_segment_fixed_size 0
		.amdhsa_private_segment_fixed_size 0
		.amdhsa_kernarg_size 144
		.amdhsa_user_sgpr_count 6
		.amdhsa_user_sgpr_private_segment_buffer 1
		.amdhsa_user_sgpr_dispatch_ptr 0
		.amdhsa_user_sgpr_queue_ptr 0
		.amdhsa_user_sgpr_kernarg_segment_ptr 1
		.amdhsa_user_sgpr_dispatch_id 0
		.amdhsa_user_sgpr_flat_scratch_init 0
		.amdhsa_user_sgpr_private_segment_size 0
		.amdhsa_wavefront_size32 1
		.amdhsa_uses_dynamic_stack 0
		.amdhsa_system_sgpr_private_segment_wavefront_offset 0
		.amdhsa_system_sgpr_workgroup_id_x 1
		.amdhsa_system_sgpr_workgroup_id_y 1
		.amdhsa_system_sgpr_workgroup_id_z 1
		.amdhsa_system_sgpr_workgroup_info 0
		.amdhsa_system_vgpr_workitem_id 0
		.amdhsa_next_free_vgpr 21
		.amdhsa_next_free_sgpr 36
		.amdhsa_reserve_vcc 1
		.amdhsa_reserve_flat_scratch 0
		.amdhsa_float_round_mode_32 0
		.amdhsa_float_round_mode_16_64 0
		.amdhsa_float_denorm_mode_32 3
		.amdhsa_float_denorm_mode_16_64 3
		.amdhsa_dx10_clamp 1
		.amdhsa_ieee_mode 1
		.amdhsa_fp16_overflow 0
		.amdhsa_workgroup_processor_mode 1
		.amdhsa_memory_ordered 1
		.amdhsa_forward_progress 1
		.amdhsa_shared_vgpr_count 0
		.amdhsa_exception_fp_ieee_invalid_op 0
		.amdhsa_exception_fp_denorm_src 0
		.amdhsa_exception_fp_ieee_div_zero 0
		.amdhsa_exception_fp_ieee_overflow 0
		.amdhsa_exception_fp_ieee_underflow 0
		.amdhsa_exception_fp_ieee_inexact 0
		.amdhsa_exception_int_div_zero 0
	.end_amdhsa_kernel
	.section	.text._ZL13mul_mat_vec_fI14__hip_bfloat16fLi4ELi128ELb0ELb0EEvPKT_PKfPKi31ggml_cuda_mm_fusion_args_devicePfi15HIP_vector_typeIjLj3EEiiiSB_iiiSB_iiii,"axG",@progbits,_ZL13mul_mat_vec_fI14__hip_bfloat16fLi4ELi128ELb0ELb0EEvPKT_PKfPKi31ggml_cuda_mm_fusion_args_devicePfi15HIP_vector_typeIjLj3EEiiiSB_iiiSB_iiii,comdat
.Lfunc_end315:
	.size	_ZL13mul_mat_vec_fI14__hip_bfloat16fLi4ELi128ELb0ELb0EEvPKT_PKfPKi31ggml_cuda_mm_fusion_args_devicePfi15HIP_vector_typeIjLj3EEiiiSB_iiiSB_iiii, .Lfunc_end315-_ZL13mul_mat_vec_fI14__hip_bfloat16fLi4ELi128ELb0ELb0EEvPKT_PKfPKi31ggml_cuda_mm_fusion_args_devicePfi15HIP_vector_typeIjLj3EEiiiSB_iiiSB_iiii
                                        ; -- End function
	.set _ZL13mul_mat_vec_fI14__hip_bfloat16fLi4ELi128ELb0ELb0EEvPKT_PKfPKi31ggml_cuda_mm_fusion_args_devicePfi15HIP_vector_typeIjLj3EEiiiSB_iiiSB_iiii.num_vgpr, 21
	.set _ZL13mul_mat_vec_fI14__hip_bfloat16fLi4ELi128ELb0ELb0EEvPKT_PKfPKi31ggml_cuda_mm_fusion_args_devicePfi15HIP_vector_typeIjLj3EEiiiSB_iiiSB_iiii.num_agpr, 0
	.set _ZL13mul_mat_vec_fI14__hip_bfloat16fLi4ELi128ELb0ELb0EEvPKT_PKfPKi31ggml_cuda_mm_fusion_args_devicePfi15HIP_vector_typeIjLj3EEiiiSB_iiiSB_iiii.numbered_sgpr, 36
	.set _ZL13mul_mat_vec_fI14__hip_bfloat16fLi4ELi128ELb0ELb0EEvPKT_PKfPKi31ggml_cuda_mm_fusion_args_devicePfi15HIP_vector_typeIjLj3EEiiiSB_iiiSB_iiii.num_named_barrier, 0
	.set _ZL13mul_mat_vec_fI14__hip_bfloat16fLi4ELi128ELb0ELb0EEvPKT_PKfPKi31ggml_cuda_mm_fusion_args_devicePfi15HIP_vector_typeIjLj3EEiiiSB_iiiSB_iiii.private_seg_size, 0
	.set _ZL13mul_mat_vec_fI14__hip_bfloat16fLi4ELi128ELb0ELb0EEvPKT_PKfPKi31ggml_cuda_mm_fusion_args_devicePfi15HIP_vector_typeIjLj3EEiiiSB_iiiSB_iiii.uses_vcc, 1
	.set _ZL13mul_mat_vec_fI14__hip_bfloat16fLi4ELi128ELb0ELb0EEvPKT_PKfPKi31ggml_cuda_mm_fusion_args_devicePfi15HIP_vector_typeIjLj3EEiiiSB_iiiSB_iiii.uses_flat_scratch, 0
	.set _ZL13mul_mat_vec_fI14__hip_bfloat16fLi4ELi128ELb0ELb0EEvPKT_PKfPKi31ggml_cuda_mm_fusion_args_devicePfi15HIP_vector_typeIjLj3EEiiiSB_iiiSB_iiii.has_dyn_sized_stack, 0
	.set _ZL13mul_mat_vec_fI14__hip_bfloat16fLi4ELi128ELb0ELb0EEvPKT_PKfPKi31ggml_cuda_mm_fusion_args_devicePfi15HIP_vector_typeIjLj3EEiiiSB_iiiSB_iiii.has_recursion, 0
	.set _ZL13mul_mat_vec_fI14__hip_bfloat16fLi4ELi128ELb0ELb0EEvPKT_PKfPKi31ggml_cuda_mm_fusion_args_devicePfi15HIP_vector_typeIjLj3EEiiiSB_iiiSB_iiii.has_indirect_call, 0
	.section	.AMDGPU.csdata,"",@progbits
; Kernel info:
; codeLenInByte = 1924
; TotalNumSgprs: 38
; NumVgprs: 21
; ScratchSize: 0
; MemoryBound: 0
; FloatMode: 240
; IeeeMode: 1
; LDSByteSize: 0 bytes/workgroup (compile time only)
; SGPRBlocks: 0
; VGPRBlocks: 2
; NumSGPRsForWavesPerEU: 38
; NumVGPRsForWavesPerEU: 21
; Occupancy: 16
; WaveLimiterHint : 0
; COMPUTE_PGM_RSRC2:SCRATCH_EN: 0
; COMPUTE_PGM_RSRC2:USER_SGPR: 6
; COMPUTE_PGM_RSRC2:TRAP_HANDLER: 0
; COMPUTE_PGM_RSRC2:TGID_X_EN: 1
; COMPUTE_PGM_RSRC2:TGID_Y_EN: 1
; COMPUTE_PGM_RSRC2:TGID_Z_EN: 1
; COMPUTE_PGM_RSRC2:TIDIG_COMP_CNT: 0
	.section	.text._ZL13mul_mat_vec_fI14__hip_bfloat16fLi4ELi160ELb0ELb0EEvPKT_PKfPKi31ggml_cuda_mm_fusion_args_devicePfi15HIP_vector_typeIjLj3EEiiiSB_iiiSB_iiii,"axG",@progbits,_ZL13mul_mat_vec_fI14__hip_bfloat16fLi4ELi160ELb0ELb0EEvPKT_PKfPKi31ggml_cuda_mm_fusion_args_devicePfi15HIP_vector_typeIjLj3EEiiiSB_iiiSB_iiii,comdat
	.globl	_ZL13mul_mat_vec_fI14__hip_bfloat16fLi4ELi160ELb0ELb0EEvPKT_PKfPKi31ggml_cuda_mm_fusion_args_devicePfi15HIP_vector_typeIjLj3EEiiiSB_iiiSB_iiii ; -- Begin function _ZL13mul_mat_vec_fI14__hip_bfloat16fLi4ELi160ELb0ELb0EEvPKT_PKfPKi31ggml_cuda_mm_fusion_args_devicePfi15HIP_vector_typeIjLj3EEiiiSB_iiiSB_iiii
	.p2align	8
	.type	_ZL13mul_mat_vec_fI14__hip_bfloat16fLi4ELi160ELb0ELb0EEvPKT_PKfPKi31ggml_cuda_mm_fusion_args_devicePfi15HIP_vector_typeIjLj3EEiiiSB_iiiSB_iiii,@function
_ZL13mul_mat_vec_fI14__hip_bfloat16fLi4ELi160ELb0ELb0EEvPKT_PKfPKi31ggml_cuda_mm_fusion_args_devicePfi15HIP_vector_typeIjLj3EEiiiSB_iiiSB_iiii: ; @_ZL13mul_mat_vec_fI14__hip_bfloat16fLi4ELi160ELb0ELb0EEvPKT_PKfPKi31ggml_cuda_mm_fusion_args_devicePfi15HIP_vector_typeIjLj3EEiiiSB_iiiSB_iiii
; %bb.0:
	s_clause 0x2
	s_load_dwordx2 s[0:1], s[4:5], 0x10
	s_load_dwordx8 s[12:19], s[4:5], 0x40
	s_load_dwordx4 s[20:23], s[4:5], 0x80
	s_waitcnt lgkmcnt(0)
	s_cmp_eq_u64 s[0:1], 0
	s_cselect_b32 s10, -1, 0
	s_cmp_lg_u64 s[0:1], 0
	s_cselect_b32 s9, -1, 0
	s_and_b32 vcc_lo, exec_lo, s10
	s_cbranch_vccnz .LBB316_2
; %bb.1:
	s_mul_i32 s2, s23, s8
	s_mov_b32 s3, 0
	s_add_i32 s2, s2, s7
	s_lshl_b64 s[24:25], s[2:3], 2
	s_add_u32 s0, s0, s24
	s_addc_u32 s1, s1, s25
	s_load_dword s19, s[0:1], 0x0
	s_cbranch_execz .LBB316_3
	s_branch .LBB316_4
.LBB316_2:
                                        ; implicit-def: $sgpr19
.LBB316_3:
	s_load_dwordx2 s[0:1], s[4:5], 0x5c
	s_waitcnt lgkmcnt(0)
	s_mul_hi_u32 s0, s0, s7
	s_add_i32 s0, s7, s0
	s_lshr_b32 s19, s0, s1
.LBB316_4:
	s_load_dwordx4 s[24:27], s[4:5], 0x68
	s_andn2_b32 vcc_lo, exec_lo, s9
	s_mov_b32 s23, s7
	s_cbranch_vccnz .LBB316_6
; %bb.5:
	s_mul_hi_u32 s0, s13, s7
	s_add_i32 s0, s7, s0
	s_lshr_b32 s0, s0, s14
	s_mul_i32 s0, s0, s15
	s_sub_i32 s23, s7, s0
.LBB316_6:
	s_load_dword s9, s[4:5], 0x78
	v_cmp_gt_u32_e32 vcc_lo, 32, v0
	v_lshl_add_u32 v5, v0, 2, 0
	s_and_saveexec_b32 s0, vcc_lo
; %bb.7:
	v_mov_b32_e32 v1, 0
	ds_write_b32 v5, v1
; %bb.8:
	s_or_b32 exec_lo, exec_lo, s0
	v_mov_b32_e32 v6, 0
	v_mov_b32_e32 v7, 0
	;; [unrolled: 1-line block ×4, first 2 shown]
	s_and_b32 s0, exec_lo, s10
	s_mov_b32 s11, 0
	s_cselect_b32 s10, s8, 0
	s_mov_b32 s13, exec_lo
	s_waitcnt lgkmcnt(0)
	s_barrier
	buffer_gl0_inv
	v_cmpx_gt_i32_e64 s12, v0
	s_cbranch_execz .LBB316_12
; %bb.9:
	s_load_dwordx4 s[0:3], s[4:5], 0x0
	s_mul_hi_u32 s27, s27, s10
	s_mul_hi_i32 s15, s21, s10
	s_mul_i32 s14, s21, s10
	s_mul_i32 s24, s19, s24
	s_mul_i32 s28, s16, s6
	s_mul_i32 s30, s23, s25
	s_add_i32 s16, s10, s27
	s_lshl_b64 s[34:35], s[14:15], 2
	s_ashr_i32 s25, s24, 31
	s_ashr_i32 s29, s28, 31
	;; [unrolled: 1-line block ×3, first 2 shown]
	s_lshr_b32 s9, s16, s9
	s_mov_b32 s8, s17
	s_mul_hi_i32 s21, s9, s20
	s_mul_i32 s20, s9, s20
	v_lshlrev_b32_e32 v2, 3, v0
	v_lshlrev_b32_e32 v1, 2, v0
	v_mov_b32_e32 v9, 0
	v_mov_b32_e32 v10, v0
	s_waitcnt lgkmcnt(0)
	s_add_u32 s14, s2, s34
	s_addc_u32 s15, s3, s35
	s_lshl_b64 s[30:31], s[30:31], 2
	v_mov_b32_e32 v8, 0
	s_add_u32 s14, s14, s30
	s_addc_u32 s15, s15, s31
	s_lshl_b64 s[24:25], s[24:25], 1
	s_ashr_i32 s9, s17, 31
	s_add_i32 s16, s17, s17
	s_lshl_b64 s[20:21], s[20:21], 1
	s_lshl_b64 s[28:29], s[28:29], 1
	s_add_u32 s0, s0, s24
	s_addc_u32 s1, s1, s25
	s_add_u32 s0, s0, s28
	s_addc_u32 s1, s1, s29
	;; [unrolled: 2-line block ×3, first 2 shown]
	s_lshl_b64 s[8:9], s[8:9], 3
	s_add_u32 s2, s2, s30
	s_addc_u32 s3, s3, s31
	s_add_u32 s2, s2, s34
	s_addc_u32 s3, s3, s35
	v_add_co_u32 v3, s2, s2, v2
	v_add_co_ci_u32_e64 v4, null, s3, 0, s2
	v_add_co_u32 v1, s0, s0, v1
	v_add_co_ci_u32_e64 v2, null, s1, 0, s0
	v_add_co_u32 v3, s0, v3, 4
	v_add_co_ci_u32_e64 v4, null, 0, v4, s0
	v_mov_b32_e32 v7, 0
	v_mov_b32_e32 v6, 0
	s_mul_i32 s1, s17, 3
.LBB316_10:                             ; =>This Inner Loop Header: Depth=1
	v_add_nc_u32_e32 v11, s16, v10
	v_add_nc_u32_e32 v15, s1, v10
	v_add_co_u32 v13, s0, v3, s8
	v_add_co_ci_u32_e64 v14, null, s9, v4, s0
	v_ashrrev_i32_e32 v12, 31, v11
	v_ashrrev_i32_e32 v16, 31, v15
	global_load_dword v19, v[1:2], off
	v_add_nc_u32_e32 v10, 0xa0, v10
	v_lshlrev_b64 v[11:12], 3, v[11:12]
	v_lshlrev_b64 v[15:16], 3, v[15:16]
	v_add_co_u32 v11, s0, s14, v11
	v_add_co_ci_u32_e64 v12, null, s15, v12, s0
	v_add_co_u32 v15, s0, s14, v15
	v_add_co_ci_u32_e64 v16, null, s15, v16, s0
	s_clause 0x1
	global_load_dwordx2 v[17:18], v[3:4], off offset:-4
	global_load_dwordx2 v[13:14], v[13:14], off offset:-4
	s_clause 0x1
	global_load_dwordx2 v[11:12], v[11:12], off
	global_load_dwordx2 v[15:16], v[15:16], off
	v_add_co_u32 v1, s0, 0x280, v1
	v_add_co_ci_u32_e64 v2, null, 0, v2, s0
	v_add_co_u32 v3, s0, 0x500, v3
	v_add_co_ci_u32_e64 v4, null, 0, v4, s0
	v_cmp_le_i32_e64 s0, s12, v10
	s_or_b32 s11, s0, s11
	s_waitcnt vmcnt(4)
	v_lshlrev_b32_e32 v20, 16, v19
	v_and_b32_e32 v19, 0xffff0000, v19
	s_waitcnt vmcnt(3)
	v_fmac_f32_e32 v9, v17, v20
	s_waitcnt vmcnt(2)
	v_fmac_f32_e32 v8, v13, v20
	;; [unrolled: 2-line block ×4, first 2 shown]
	v_fmac_f32_e32 v9, v18, v19
	v_fmac_f32_e32 v8, v14, v19
	;; [unrolled: 1-line block ×4, first 2 shown]
	s_andn2_b32 exec_lo, exec_lo, s11
	s_cbranch_execnz .LBB316_10
; %bb.11:
	s_or_b32 exec_lo, exec_lo, s11
.LBB316_12:
	s_or_b32 exec_lo, exec_lo, s13
	v_mbcnt_lo_u32_b32 v2, -1, 0
	v_xor_b32_e32 v1, 16, v2
	v_xor_b32_e32 v3, 8, v2
	v_cmp_gt_i32_e64 s0, 32, v1
	v_cndmask_b32_e64 v1, v2, v1, s0
	v_cmp_gt_i32_e64 s0, 32, v3
	v_lshlrev_b32_e32 v1, 2, v1
	v_cndmask_b32_e64 v3, v2, v3, s0
	ds_bpermute_b32 v4, v1, v9
	v_lshlrev_b32_e32 v3, 2, v3
	s_waitcnt lgkmcnt(0)
	v_add_f32_e32 v9, v9, v4
	v_xor_b32_e32 v4, 4, v2
	ds_bpermute_b32 v10, v3, v9
	v_cmp_gt_i32_e64 s0, 32, v4
	v_cndmask_b32_e64 v4, v2, v4, s0
	v_lshlrev_b32_e32 v4, 2, v4
	s_waitcnt lgkmcnt(0)
	v_add_f32_e32 v10, v9, v10
	v_xor_b32_e32 v9, 2, v2
	ds_bpermute_b32 v11, v4, v10
	v_cmp_gt_i32_e64 s0, 32, v9
	v_cndmask_b32_e64 v9, v2, v9, s0
	;; [unrolled: 7-line block ×3, first 2 shown]
	v_lshlrev_b32_e32 v10, 2, v2
	s_waitcnt lgkmcnt(0)
	v_add_f32_e32 v2, v11, v12
	v_lshrrev_b32_e32 v11, 3, v0
	ds_bpermute_b32 v12, v10, v2
	v_and_b32_e32 v11, 0x7c, v11
	v_add_nc_u32_e32 v11, 0, v11
	s_waitcnt lgkmcnt(0)
	v_add_f32_e32 v2, v2, v12
	ds_write_b32 v11, v2
	s_waitcnt lgkmcnt(0)
	s_barrier
	buffer_gl0_inv
	s_and_saveexec_b32 s0, vcc_lo
	s_cbranch_execz .LBB316_14
; %bb.13:
	ds_read_b32 v2, v5
	s_waitcnt lgkmcnt(0)
	ds_bpermute_b32 v12, v1, v2
	s_waitcnt lgkmcnt(0)
	v_add_f32_e32 v2, v2, v12
	ds_bpermute_b32 v12, v3, v2
	s_waitcnt lgkmcnt(0)
	v_add_f32_e32 v2, v2, v12
	ds_bpermute_b32 v12, v4, v2
	s_waitcnt lgkmcnt(0)
	v_add_f32_e32 v2, v2, v12
	ds_bpermute_b32 v12, v9, v2
	s_waitcnt lgkmcnt(0)
	v_add_f32_e32 v2, v2, v12
	ds_bpermute_b32 v12, v10, v2
	s_waitcnt lgkmcnt(0)
	v_add_f32_e32 v2, v2, v12
.LBB316_14:
	s_or_b32 exec_lo, exec_lo, s0
	ds_bpermute_b32 v12, v1, v8
	s_waitcnt lgkmcnt(0)
	s_barrier
	buffer_gl0_inv
	v_add_f32_e32 v8, v8, v12
	ds_bpermute_b32 v12, v3, v8
	s_waitcnt lgkmcnt(0)
	v_add_f32_e32 v8, v8, v12
	ds_bpermute_b32 v12, v4, v8
	s_waitcnt lgkmcnt(0)
	v_add_f32_e32 v8, v8, v12
	ds_bpermute_b32 v12, v9, v8
	s_waitcnt lgkmcnt(0)
	v_add_f32_e32 v8, v8, v12
	ds_bpermute_b32 v12, v10, v8
	s_waitcnt lgkmcnt(0)
	v_add_f32_e32 v8, v8, v12
	ds_write_b32 v11, v8
	s_waitcnt lgkmcnt(0)
	s_barrier
	buffer_gl0_inv
	s_and_saveexec_b32 s0, vcc_lo
	s_cbranch_execz .LBB316_16
; %bb.15:
	ds_read_b32 v8, v5
	s_waitcnt lgkmcnt(0)
	ds_bpermute_b32 v12, v1, v8
	s_waitcnt lgkmcnt(0)
	v_add_f32_e32 v8, v8, v12
	ds_bpermute_b32 v12, v3, v8
	s_waitcnt lgkmcnt(0)
	v_add_f32_e32 v8, v8, v12
	ds_bpermute_b32 v12, v4, v8
	s_waitcnt lgkmcnt(0)
	v_add_f32_e32 v8, v8, v12
	ds_bpermute_b32 v12, v9, v8
	s_waitcnt lgkmcnt(0)
	v_add_f32_e32 v8, v8, v12
	ds_bpermute_b32 v12, v10, v8
	s_waitcnt lgkmcnt(0)
	v_add_f32_e32 v8, v8, v12
.LBB316_16:
	s_or_b32 exec_lo, exec_lo, s0
	ds_bpermute_b32 v12, v1, v7
	s_waitcnt lgkmcnt(0)
	s_barrier
	buffer_gl0_inv
	v_add_f32_e32 v7, v7, v12
	ds_bpermute_b32 v12, v3, v7
	s_waitcnt lgkmcnt(0)
	v_add_f32_e32 v7, v7, v12
	ds_bpermute_b32 v12, v4, v7
	s_waitcnt lgkmcnt(0)
	v_add_f32_e32 v7, v7, v12
	ds_bpermute_b32 v12, v9, v7
	s_waitcnt lgkmcnt(0)
	v_add_f32_e32 v7, v7, v12
	ds_bpermute_b32 v12, v10, v7
	;; [unrolled: 43-line block ×3, first 2 shown]
	s_waitcnt lgkmcnt(0)
	v_add_f32_e32 v6, v6, v12
	ds_write_b32 v11, v6
	s_waitcnt lgkmcnt(0)
	s_barrier
	buffer_gl0_inv
	s_and_saveexec_b32 s0, vcc_lo
	s_cbranch_execz .LBB316_20
; %bb.19:
	ds_read_b32 v5, v5
	s_waitcnt lgkmcnt(0)
	ds_bpermute_b32 v1, v1, v5
	s_waitcnt lgkmcnt(0)
	v_add_f32_e32 v1, v5, v1
	ds_bpermute_b32 v3, v3, v1
	s_waitcnt lgkmcnt(0)
	v_add_f32_e32 v1, v1, v3
	;; [unrolled: 3-line block ×5, first 2 shown]
.LBB316_20:
	s_or_b32 exec_lo, exec_lo, s0
	s_barrier
	buffer_gl0_inv
	s_mov_b32 s0, exec_lo
	v_cmpx_gt_u32_e32 4, v0
	s_cbranch_execz .LBB316_22
; %bb.21:
	s_load_dwordx2 s[0:1], s[4:5], 0x38
	v_mad_u64_u32 v[3:4], null, s18, v0, s[6:7]
	v_cmp_eq_u32_e32 vcc_lo, 1, v0
	s_mul_hi_i32 s3, s22, s10
	s_mul_i32 s2, s22, s10
	s_mul_i32 s4, s26, s7
	s_lshl_b64 s[2:3], s[2:3], 2
	v_cndmask_b32_e32 v1, v2, v8, vcc_lo
	v_ashrrev_i32_e32 v4, 31, v3
	v_cmp_eq_u32_e32 vcc_lo, 2, v0
	s_ashr_i32 s5, s4, 31
	v_cndmask_b32_e32 v5, v1, v7, vcc_lo
	v_lshlrev_b64 v[1:2], 2, v[3:4]
	v_cmp_eq_u32_e32 vcc_lo, 3, v0
	s_waitcnt lgkmcnt(0)
	s_add_u32 s2, s0, s2
	s_addc_u32 s3, s1, s3
	s_lshl_b64 s[0:1], s[4:5], 2
	v_cndmask_b32_e32 v3, v5, v6, vcc_lo
	s_add_u32 s0, s2, s0
	s_addc_u32 s1, s3, s1
	v_add_co_u32 v0, vcc_lo, s0, v1
	v_add_co_ci_u32_e64 v1, null, s1, v2, vcc_lo
	global_store_dword v[0:1], v3, off
.LBB316_22:
	s_endpgm
	.section	.rodata,"a",@progbits
	.p2align	6, 0x0
	.amdhsa_kernel _ZL13mul_mat_vec_fI14__hip_bfloat16fLi4ELi160ELb0ELb0EEvPKT_PKfPKi31ggml_cuda_mm_fusion_args_devicePfi15HIP_vector_typeIjLj3EEiiiSB_iiiSB_iiii
		.amdhsa_group_segment_fixed_size 0
		.amdhsa_private_segment_fixed_size 0
		.amdhsa_kernarg_size 144
		.amdhsa_user_sgpr_count 6
		.amdhsa_user_sgpr_private_segment_buffer 1
		.amdhsa_user_sgpr_dispatch_ptr 0
		.amdhsa_user_sgpr_queue_ptr 0
		.amdhsa_user_sgpr_kernarg_segment_ptr 1
		.amdhsa_user_sgpr_dispatch_id 0
		.amdhsa_user_sgpr_flat_scratch_init 0
		.amdhsa_user_sgpr_private_segment_size 0
		.amdhsa_wavefront_size32 1
		.amdhsa_uses_dynamic_stack 0
		.amdhsa_system_sgpr_private_segment_wavefront_offset 0
		.amdhsa_system_sgpr_workgroup_id_x 1
		.amdhsa_system_sgpr_workgroup_id_y 1
		.amdhsa_system_sgpr_workgroup_id_z 1
		.amdhsa_system_sgpr_workgroup_info 0
		.amdhsa_system_vgpr_workitem_id 0
		.amdhsa_next_free_vgpr 21
		.amdhsa_next_free_sgpr 36
		.amdhsa_reserve_vcc 1
		.amdhsa_reserve_flat_scratch 0
		.amdhsa_float_round_mode_32 0
		.amdhsa_float_round_mode_16_64 0
		.amdhsa_float_denorm_mode_32 3
		.amdhsa_float_denorm_mode_16_64 3
		.amdhsa_dx10_clamp 1
		.amdhsa_ieee_mode 1
		.amdhsa_fp16_overflow 0
		.amdhsa_workgroup_processor_mode 1
		.amdhsa_memory_ordered 1
		.amdhsa_forward_progress 1
		.amdhsa_shared_vgpr_count 0
		.amdhsa_exception_fp_ieee_invalid_op 0
		.amdhsa_exception_fp_denorm_src 0
		.amdhsa_exception_fp_ieee_div_zero 0
		.amdhsa_exception_fp_ieee_overflow 0
		.amdhsa_exception_fp_ieee_underflow 0
		.amdhsa_exception_fp_ieee_inexact 0
		.amdhsa_exception_int_div_zero 0
	.end_amdhsa_kernel
	.section	.text._ZL13mul_mat_vec_fI14__hip_bfloat16fLi4ELi160ELb0ELb0EEvPKT_PKfPKi31ggml_cuda_mm_fusion_args_devicePfi15HIP_vector_typeIjLj3EEiiiSB_iiiSB_iiii,"axG",@progbits,_ZL13mul_mat_vec_fI14__hip_bfloat16fLi4ELi160ELb0ELb0EEvPKT_PKfPKi31ggml_cuda_mm_fusion_args_devicePfi15HIP_vector_typeIjLj3EEiiiSB_iiiSB_iiii,comdat
.Lfunc_end316:
	.size	_ZL13mul_mat_vec_fI14__hip_bfloat16fLi4ELi160ELb0ELb0EEvPKT_PKfPKi31ggml_cuda_mm_fusion_args_devicePfi15HIP_vector_typeIjLj3EEiiiSB_iiiSB_iiii, .Lfunc_end316-_ZL13mul_mat_vec_fI14__hip_bfloat16fLi4ELi160ELb0ELb0EEvPKT_PKfPKi31ggml_cuda_mm_fusion_args_devicePfi15HIP_vector_typeIjLj3EEiiiSB_iiiSB_iiii
                                        ; -- End function
	.set _ZL13mul_mat_vec_fI14__hip_bfloat16fLi4ELi160ELb0ELb0EEvPKT_PKfPKi31ggml_cuda_mm_fusion_args_devicePfi15HIP_vector_typeIjLj3EEiiiSB_iiiSB_iiii.num_vgpr, 21
	.set _ZL13mul_mat_vec_fI14__hip_bfloat16fLi4ELi160ELb0ELb0EEvPKT_PKfPKi31ggml_cuda_mm_fusion_args_devicePfi15HIP_vector_typeIjLj3EEiiiSB_iiiSB_iiii.num_agpr, 0
	.set _ZL13mul_mat_vec_fI14__hip_bfloat16fLi4ELi160ELb0ELb0EEvPKT_PKfPKi31ggml_cuda_mm_fusion_args_devicePfi15HIP_vector_typeIjLj3EEiiiSB_iiiSB_iiii.numbered_sgpr, 36
	.set _ZL13mul_mat_vec_fI14__hip_bfloat16fLi4ELi160ELb0ELb0EEvPKT_PKfPKi31ggml_cuda_mm_fusion_args_devicePfi15HIP_vector_typeIjLj3EEiiiSB_iiiSB_iiii.num_named_barrier, 0
	.set _ZL13mul_mat_vec_fI14__hip_bfloat16fLi4ELi160ELb0ELb0EEvPKT_PKfPKi31ggml_cuda_mm_fusion_args_devicePfi15HIP_vector_typeIjLj3EEiiiSB_iiiSB_iiii.private_seg_size, 0
	.set _ZL13mul_mat_vec_fI14__hip_bfloat16fLi4ELi160ELb0ELb0EEvPKT_PKfPKi31ggml_cuda_mm_fusion_args_devicePfi15HIP_vector_typeIjLj3EEiiiSB_iiiSB_iiii.uses_vcc, 1
	.set _ZL13mul_mat_vec_fI14__hip_bfloat16fLi4ELi160ELb0ELb0EEvPKT_PKfPKi31ggml_cuda_mm_fusion_args_devicePfi15HIP_vector_typeIjLj3EEiiiSB_iiiSB_iiii.uses_flat_scratch, 0
	.set _ZL13mul_mat_vec_fI14__hip_bfloat16fLi4ELi160ELb0ELb0EEvPKT_PKfPKi31ggml_cuda_mm_fusion_args_devicePfi15HIP_vector_typeIjLj3EEiiiSB_iiiSB_iiii.has_dyn_sized_stack, 0
	.set _ZL13mul_mat_vec_fI14__hip_bfloat16fLi4ELi160ELb0ELb0EEvPKT_PKfPKi31ggml_cuda_mm_fusion_args_devicePfi15HIP_vector_typeIjLj3EEiiiSB_iiiSB_iiii.has_recursion, 0
	.set _ZL13mul_mat_vec_fI14__hip_bfloat16fLi4ELi160ELb0ELb0EEvPKT_PKfPKi31ggml_cuda_mm_fusion_args_devicePfi15HIP_vector_typeIjLj3EEiiiSB_iiiSB_iiii.has_indirect_call, 0
	.section	.AMDGPU.csdata,"",@progbits
; Kernel info:
; codeLenInByte = 1924
; TotalNumSgprs: 38
; NumVgprs: 21
; ScratchSize: 0
; MemoryBound: 0
; FloatMode: 240
; IeeeMode: 1
; LDSByteSize: 0 bytes/workgroup (compile time only)
; SGPRBlocks: 0
; VGPRBlocks: 2
; NumSGPRsForWavesPerEU: 38
; NumVGPRsForWavesPerEU: 21
; Occupancy: 16
; WaveLimiterHint : 0
; COMPUTE_PGM_RSRC2:SCRATCH_EN: 0
; COMPUTE_PGM_RSRC2:USER_SGPR: 6
; COMPUTE_PGM_RSRC2:TRAP_HANDLER: 0
; COMPUTE_PGM_RSRC2:TGID_X_EN: 1
; COMPUTE_PGM_RSRC2:TGID_Y_EN: 1
; COMPUTE_PGM_RSRC2:TGID_Z_EN: 1
; COMPUTE_PGM_RSRC2:TIDIG_COMP_CNT: 0
	.section	.text._ZL13mul_mat_vec_fI14__hip_bfloat16fLi4ELi192ELb0ELb0EEvPKT_PKfPKi31ggml_cuda_mm_fusion_args_devicePfi15HIP_vector_typeIjLj3EEiiiSB_iiiSB_iiii,"axG",@progbits,_ZL13mul_mat_vec_fI14__hip_bfloat16fLi4ELi192ELb0ELb0EEvPKT_PKfPKi31ggml_cuda_mm_fusion_args_devicePfi15HIP_vector_typeIjLj3EEiiiSB_iiiSB_iiii,comdat
	.globl	_ZL13mul_mat_vec_fI14__hip_bfloat16fLi4ELi192ELb0ELb0EEvPKT_PKfPKi31ggml_cuda_mm_fusion_args_devicePfi15HIP_vector_typeIjLj3EEiiiSB_iiiSB_iiii ; -- Begin function _ZL13mul_mat_vec_fI14__hip_bfloat16fLi4ELi192ELb0ELb0EEvPKT_PKfPKi31ggml_cuda_mm_fusion_args_devicePfi15HIP_vector_typeIjLj3EEiiiSB_iiiSB_iiii
	.p2align	8
	.type	_ZL13mul_mat_vec_fI14__hip_bfloat16fLi4ELi192ELb0ELb0EEvPKT_PKfPKi31ggml_cuda_mm_fusion_args_devicePfi15HIP_vector_typeIjLj3EEiiiSB_iiiSB_iiii,@function
_ZL13mul_mat_vec_fI14__hip_bfloat16fLi4ELi192ELb0ELb0EEvPKT_PKfPKi31ggml_cuda_mm_fusion_args_devicePfi15HIP_vector_typeIjLj3EEiiiSB_iiiSB_iiii: ; @_ZL13mul_mat_vec_fI14__hip_bfloat16fLi4ELi192ELb0ELb0EEvPKT_PKfPKi31ggml_cuda_mm_fusion_args_devicePfi15HIP_vector_typeIjLj3EEiiiSB_iiiSB_iiii
; %bb.0:
	s_clause 0x2
	s_load_dwordx2 s[0:1], s[4:5], 0x10
	s_load_dwordx8 s[12:19], s[4:5], 0x40
	s_load_dwordx4 s[20:23], s[4:5], 0x80
	s_waitcnt lgkmcnt(0)
	s_cmp_eq_u64 s[0:1], 0
	s_cselect_b32 s10, -1, 0
	s_cmp_lg_u64 s[0:1], 0
	s_cselect_b32 s9, -1, 0
	s_and_b32 vcc_lo, exec_lo, s10
	s_cbranch_vccnz .LBB317_2
; %bb.1:
	s_mul_i32 s2, s23, s8
	s_mov_b32 s3, 0
	s_add_i32 s2, s2, s7
	s_lshl_b64 s[24:25], s[2:3], 2
	s_add_u32 s0, s0, s24
	s_addc_u32 s1, s1, s25
	s_load_dword s19, s[0:1], 0x0
	s_cbranch_execz .LBB317_3
	s_branch .LBB317_4
.LBB317_2:
                                        ; implicit-def: $sgpr19
.LBB317_3:
	s_load_dwordx2 s[0:1], s[4:5], 0x5c
	s_waitcnt lgkmcnt(0)
	s_mul_hi_u32 s0, s0, s7
	s_add_i32 s0, s7, s0
	s_lshr_b32 s19, s0, s1
.LBB317_4:
	s_load_dwordx4 s[24:27], s[4:5], 0x68
	s_andn2_b32 vcc_lo, exec_lo, s9
	s_mov_b32 s23, s7
	s_cbranch_vccnz .LBB317_6
; %bb.5:
	s_mul_hi_u32 s0, s13, s7
	s_add_i32 s0, s7, s0
	s_lshr_b32 s0, s0, s14
	s_mul_i32 s0, s0, s15
	s_sub_i32 s23, s7, s0
.LBB317_6:
	s_load_dword s9, s[4:5], 0x78
	v_cmp_gt_u32_e32 vcc_lo, 32, v0
	v_lshl_add_u32 v5, v0, 2, 0
	s_and_saveexec_b32 s0, vcc_lo
; %bb.7:
	v_mov_b32_e32 v1, 0
	ds_write_b32 v5, v1
; %bb.8:
	s_or_b32 exec_lo, exec_lo, s0
	v_mov_b32_e32 v6, 0
	v_mov_b32_e32 v7, 0
	;; [unrolled: 1-line block ×4, first 2 shown]
	s_and_b32 s0, exec_lo, s10
	s_mov_b32 s11, 0
	s_cselect_b32 s10, s8, 0
	s_mov_b32 s13, exec_lo
	s_waitcnt lgkmcnt(0)
	s_barrier
	buffer_gl0_inv
	v_cmpx_gt_i32_e64 s12, v0
	s_cbranch_execz .LBB317_12
; %bb.9:
	s_load_dwordx4 s[0:3], s[4:5], 0x0
	s_mul_hi_u32 s27, s27, s10
	s_mul_hi_i32 s15, s21, s10
	s_mul_i32 s14, s21, s10
	s_mul_i32 s24, s19, s24
	;; [unrolled: 1-line block ×4, first 2 shown]
	s_add_i32 s16, s10, s27
	s_lshl_b64 s[34:35], s[14:15], 2
	s_ashr_i32 s25, s24, 31
	s_ashr_i32 s29, s28, 31
	;; [unrolled: 1-line block ×3, first 2 shown]
	s_lshr_b32 s9, s16, s9
	s_mov_b32 s8, s17
	s_mul_hi_i32 s21, s9, s20
	s_mul_i32 s20, s9, s20
	v_lshlrev_b32_e32 v2, 3, v0
	v_lshlrev_b32_e32 v1, 2, v0
	v_mov_b32_e32 v9, 0
	v_mov_b32_e32 v10, v0
	s_waitcnt lgkmcnt(0)
	s_add_u32 s14, s2, s34
	s_addc_u32 s15, s3, s35
	s_lshl_b64 s[30:31], s[30:31], 2
	v_mov_b32_e32 v8, 0
	s_add_u32 s14, s14, s30
	s_addc_u32 s15, s15, s31
	s_lshl_b64 s[24:25], s[24:25], 1
	s_ashr_i32 s9, s17, 31
	s_add_i32 s16, s17, s17
	s_lshl_b64 s[20:21], s[20:21], 1
	s_lshl_b64 s[28:29], s[28:29], 1
	s_add_u32 s0, s0, s24
	s_addc_u32 s1, s1, s25
	s_add_u32 s0, s0, s28
	s_addc_u32 s1, s1, s29
	;; [unrolled: 2-line block ×3, first 2 shown]
	s_lshl_b64 s[8:9], s[8:9], 3
	s_add_u32 s2, s2, s30
	s_addc_u32 s3, s3, s31
	s_add_u32 s2, s2, s34
	s_addc_u32 s3, s3, s35
	v_add_co_u32 v3, s2, s2, v2
	v_add_co_ci_u32_e64 v4, null, s3, 0, s2
	v_add_co_u32 v1, s0, s0, v1
	v_add_co_ci_u32_e64 v2, null, s1, 0, s0
	;; [unrolled: 2-line block ×3, first 2 shown]
	v_mov_b32_e32 v7, 0
	v_mov_b32_e32 v6, 0
	s_mul_i32 s1, s17, 3
.LBB317_10:                             ; =>This Inner Loop Header: Depth=1
	v_add_nc_u32_e32 v11, s16, v10
	v_add_nc_u32_e32 v15, s1, v10
	v_add_co_u32 v13, s0, v3, s8
	v_add_co_ci_u32_e64 v14, null, s9, v4, s0
	v_ashrrev_i32_e32 v12, 31, v11
	v_ashrrev_i32_e32 v16, 31, v15
	global_load_dword v19, v[1:2], off
	v_add_nc_u32_e32 v10, 0xc0, v10
	v_lshlrev_b64 v[11:12], 3, v[11:12]
	v_lshlrev_b64 v[15:16], 3, v[15:16]
	v_add_co_u32 v11, s0, s14, v11
	v_add_co_ci_u32_e64 v12, null, s15, v12, s0
	v_add_co_u32 v15, s0, s14, v15
	v_add_co_ci_u32_e64 v16, null, s15, v16, s0
	s_clause 0x1
	global_load_dwordx2 v[17:18], v[3:4], off offset:-4
	global_load_dwordx2 v[13:14], v[13:14], off offset:-4
	s_clause 0x1
	global_load_dwordx2 v[11:12], v[11:12], off
	global_load_dwordx2 v[15:16], v[15:16], off
	v_add_co_u32 v1, s0, 0x300, v1
	v_add_co_ci_u32_e64 v2, null, 0, v2, s0
	v_add_co_u32 v3, s0, 0x600, v3
	v_add_co_ci_u32_e64 v4, null, 0, v4, s0
	v_cmp_le_i32_e64 s0, s12, v10
	s_or_b32 s11, s0, s11
	s_waitcnt vmcnt(4)
	v_lshlrev_b32_e32 v20, 16, v19
	v_and_b32_e32 v19, 0xffff0000, v19
	s_waitcnt vmcnt(3)
	v_fmac_f32_e32 v9, v17, v20
	s_waitcnt vmcnt(2)
	v_fmac_f32_e32 v8, v13, v20
	;; [unrolled: 2-line block ×4, first 2 shown]
	v_fmac_f32_e32 v9, v18, v19
	v_fmac_f32_e32 v8, v14, v19
	;; [unrolled: 1-line block ×4, first 2 shown]
	s_andn2_b32 exec_lo, exec_lo, s11
	s_cbranch_execnz .LBB317_10
; %bb.11:
	s_or_b32 exec_lo, exec_lo, s11
.LBB317_12:
	s_or_b32 exec_lo, exec_lo, s13
	v_mbcnt_lo_u32_b32 v2, -1, 0
	v_xor_b32_e32 v1, 16, v2
	v_xor_b32_e32 v3, 8, v2
	v_cmp_gt_i32_e64 s0, 32, v1
	v_cndmask_b32_e64 v1, v2, v1, s0
	v_cmp_gt_i32_e64 s0, 32, v3
	v_lshlrev_b32_e32 v1, 2, v1
	v_cndmask_b32_e64 v3, v2, v3, s0
	ds_bpermute_b32 v4, v1, v9
	v_lshlrev_b32_e32 v3, 2, v3
	s_waitcnt lgkmcnt(0)
	v_add_f32_e32 v9, v9, v4
	v_xor_b32_e32 v4, 4, v2
	ds_bpermute_b32 v10, v3, v9
	v_cmp_gt_i32_e64 s0, 32, v4
	v_cndmask_b32_e64 v4, v2, v4, s0
	v_lshlrev_b32_e32 v4, 2, v4
	s_waitcnt lgkmcnt(0)
	v_add_f32_e32 v10, v9, v10
	v_xor_b32_e32 v9, 2, v2
	ds_bpermute_b32 v11, v4, v10
	v_cmp_gt_i32_e64 s0, 32, v9
	v_cndmask_b32_e64 v9, v2, v9, s0
	v_lshlrev_b32_e32 v9, 2, v9
	s_waitcnt lgkmcnt(0)
	v_add_f32_e32 v11, v10, v11
	v_xor_b32_e32 v10, 1, v2
	ds_bpermute_b32 v12, v9, v11
	v_cmp_gt_i32_e64 s0, 32, v10
	v_cndmask_b32_e64 v2, v2, v10, s0
	v_lshlrev_b32_e32 v10, 2, v2
	s_waitcnt lgkmcnt(0)
	v_add_f32_e32 v2, v11, v12
	v_lshrrev_b32_e32 v11, 3, v0
	ds_bpermute_b32 v12, v10, v2
	v_and_b32_e32 v11, 0x7c, v11
	v_add_nc_u32_e32 v11, 0, v11
	s_waitcnt lgkmcnt(0)
	v_add_f32_e32 v2, v2, v12
	ds_write_b32 v11, v2
	s_waitcnt lgkmcnt(0)
	s_barrier
	buffer_gl0_inv
	s_and_saveexec_b32 s0, vcc_lo
	s_cbranch_execz .LBB317_14
; %bb.13:
	ds_read_b32 v2, v5
	s_waitcnt lgkmcnt(0)
	ds_bpermute_b32 v12, v1, v2
	s_waitcnt lgkmcnt(0)
	v_add_f32_e32 v2, v2, v12
	ds_bpermute_b32 v12, v3, v2
	s_waitcnt lgkmcnt(0)
	v_add_f32_e32 v2, v2, v12
	ds_bpermute_b32 v12, v4, v2
	s_waitcnt lgkmcnt(0)
	v_add_f32_e32 v2, v2, v12
	ds_bpermute_b32 v12, v9, v2
	s_waitcnt lgkmcnt(0)
	v_add_f32_e32 v2, v2, v12
	ds_bpermute_b32 v12, v10, v2
	s_waitcnt lgkmcnt(0)
	v_add_f32_e32 v2, v2, v12
.LBB317_14:
	s_or_b32 exec_lo, exec_lo, s0
	ds_bpermute_b32 v12, v1, v8
	s_waitcnt lgkmcnt(0)
	s_barrier
	buffer_gl0_inv
	v_add_f32_e32 v8, v8, v12
	ds_bpermute_b32 v12, v3, v8
	s_waitcnt lgkmcnt(0)
	v_add_f32_e32 v8, v8, v12
	ds_bpermute_b32 v12, v4, v8
	s_waitcnt lgkmcnt(0)
	v_add_f32_e32 v8, v8, v12
	ds_bpermute_b32 v12, v9, v8
	s_waitcnt lgkmcnt(0)
	v_add_f32_e32 v8, v8, v12
	ds_bpermute_b32 v12, v10, v8
	s_waitcnt lgkmcnt(0)
	v_add_f32_e32 v8, v8, v12
	ds_write_b32 v11, v8
	s_waitcnt lgkmcnt(0)
	s_barrier
	buffer_gl0_inv
	s_and_saveexec_b32 s0, vcc_lo
	s_cbranch_execz .LBB317_16
; %bb.15:
	ds_read_b32 v8, v5
	s_waitcnt lgkmcnt(0)
	ds_bpermute_b32 v12, v1, v8
	s_waitcnt lgkmcnt(0)
	v_add_f32_e32 v8, v8, v12
	ds_bpermute_b32 v12, v3, v8
	s_waitcnt lgkmcnt(0)
	v_add_f32_e32 v8, v8, v12
	ds_bpermute_b32 v12, v4, v8
	s_waitcnt lgkmcnt(0)
	v_add_f32_e32 v8, v8, v12
	ds_bpermute_b32 v12, v9, v8
	s_waitcnt lgkmcnt(0)
	v_add_f32_e32 v8, v8, v12
	ds_bpermute_b32 v12, v10, v8
	s_waitcnt lgkmcnt(0)
	v_add_f32_e32 v8, v8, v12
.LBB317_16:
	s_or_b32 exec_lo, exec_lo, s0
	ds_bpermute_b32 v12, v1, v7
	s_waitcnt lgkmcnt(0)
	s_barrier
	buffer_gl0_inv
	v_add_f32_e32 v7, v7, v12
	ds_bpermute_b32 v12, v3, v7
	s_waitcnt lgkmcnt(0)
	v_add_f32_e32 v7, v7, v12
	ds_bpermute_b32 v12, v4, v7
	s_waitcnt lgkmcnt(0)
	v_add_f32_e32 v7, v7, v12
	ds_bpermute_b32 v12, v9, v7
	s_waitcnt lgkmcnt(0)
	v_add_f32_e32 v7, v7, v12
	ds_bpermute_b32 v12, v10, v7
	;; [unrolled: 43-line block ×3, first 2 shown]
	s_waitcnt lgkmcnt(0)
	v_add_f32_e32 v6, v6, v12
	ds_write_b32 v11, v6
	s_waitcnt lgkmcnt(0)
	s_barrier
	buffer_gl0_inv
	s_and_saveexec_b32 s0, vcc_lo
	s_cbranch_execz .LBB317_20
; %bb.19:
	ds_read_b32 v5, v5
	s_waitcnt lgkmcnt(0)
	ds_bpermute_b32 v1, v1, v5
	s_waitcnt lgkmcnt(0)
	v_add_f32_e32 v1, v5, v1
	ds_bpermute_b32 v3, v3, v1
	s_waitcnt lgkmcnt(0)
	v_add_f32_e32 v1, v1, v3
	;; [unrolled: 3-line block ×5, first 2 shown]
.LBB317_20:
	s_or_b32 exec_lo, exec_lo, s0
	s_barrier
	buffer_gl0_inv
	s_mov_b32 s0, exec_lo
	v_cmpx_gt_u32_e32 4, v0
	s_cbranch_execz .LBB317_22
; %bb.21:
	s_load_dwordx2 s[0:1], s[4:5], 0x38
	v_mad_u64_u32 v[3:4], null, s18, v0, s[6:7]
	v_cmp_eq_u32_e32 vcc_lo, 1, v0
	s_mul_hi_i32 s3, s22, s10
	s_mul_i32 s2, s22, s10
	s_mul_i32 s4, s26, s7
	s_lshl_b64 s[2:3], s[2:3], 2
	v_cndmask_b32_e32 v1, v2, v8, vcc_lo
	v_ashrrev_i32_e32 v4, 31, v3
	v_cmp_eq_u32_e32 vcc_lo, 2, v0
	s_ashr_i32 s5, s4, 31
	v_cndmask_b32_e32 v5, v1, v7, vcc_lo
	v_lshlrev_b64 v[1:2], 2, v[3:4]
	v_cmp_eq_u32_e32 vcc_lo, 3, v0
	s_waitcnt lgkmcnt(0)
	s_add_u32 s2, s0, s2
	s_addc_u32 s3, s1, s3
	s_lshl_b64 s[0:1], s[4:5], 2
	v_cndmask_b32_e32 v3, v5, v6, vcc_lo
	s_add_u32 s0, s2, s0
	s_addc_u32 s1, s3, s1
	v_add_co_u32 v0, vcc_lo, s0, v1
	v_add_co_ci_u32_e64 v1, null, s1, v2, vcc_lo
	global_store_dword v[0:1], v3, off
.LBB317_22:
	s_endpgm
	.section	.rodata,"a",@progbits
	.p2align	6, 0x0
	.amdhsa_kernel _ZL13mul_mat_vec_fI14__hip_bfloat16fLi4ELi192ELb0ELb0EEvPKT_PKfPKi31ggml_cuda_mm_fusion_args_devicePfi15HIP_vector_typeIjLj3EEiiiSB_iiiSB_iiii
		.amdhsa_group_segment_fixed_size 0
		.amdhsa_private_segment_fixed_size 0
		.amdhsa_kernarg_size 144
		.amdhsa_user_sgpr_count 6
		.amdhsa_user_sgpr_private_segment_buffer 1
		.amdhsa_user_sgpr_dispatch_ptr 0
		.amdhsa_user_sgpr_queue_ptr 0
		.amdhsa_user_sgpr_kernarg_segment_ptr 1
		.amdhsa_user_sgpr_dispatch_id 0
		.amdhsa_user_sgpr_flat_scratch_init 0
		.amdhsa_user_sgpr_private_segment_size 0
		.amdhsa_wavefront_size32 1
		.amdhsa_uses_dynamic_stack 0
		.amdhsa_system_sgpr_private_segment_wavefront_offset 0
		.amdhsa_system_sgpr_workgroup_id_x 1
		.amdhsa_system_sgpr_workgroup_id_y 1
		.amdhsa_system_sgpr_workgroup_id_z 1
		.amdhsa_system_sgpr_workgroup_info 0
		.amdhsa_system_vgpr_workitem_id 0
		.amdhsa_next_free_vgpr 21
		.amdhsa_next_free_sgpr 36
		.amdhsa_reserve_vcc 1
		.amdhsa_reserve_flat_scratch 0
		.amdhsa_float_round_mode_32 0
		.amdhsa_float_round_mode_16_64 0
		.amdhsa_float_denorm_mode_32 3
		.amdhsa_float_denorm_mode_16_64 3
		.amdhsa_dx10_clamp 1
		.amdhsa_ieee_mode 1
		.amdhsa_fp16_overflow 0
		.amdhsa_workgroup_processor_mode 1
		.amdhsa_memory_ordered 1
		.amdhsa_forward_progress 1
		.amdhsa_shared_vgpr_count 0
		.amdhsa_exception_fp_ieee_invalid_op 0
		.amdhsa_exception_fp_denorm_src 0
		.amdhsa_exception_fp_ieee_div_zero 0
		.amdhsa_exception_fp_ieee_overflow 0
		.amdhsa_exception_fp_ieee_underflow 0
		.amdhsa_exception_fp_ieee_inexact 0
		.amdhsa_exception_int_div_zero 0
	.end_amdhsa_kernel
	.section	.text._ZL13mul_mat_vec_fI14__hip_bfloat16fLi4ELi192ELb0ELb0EEvPKT_PKfPKi31ggml_cuda_mm_fusion_args_devicePfi15HIP_vector_typeIjLj3EEiiiSB_iiiSB_iiii,"axG",@progbits,_ZL13mul_mat_vec_fI14__hip_bfloat16fLi4ELi192ELb0ELb0EEvPKT_PKfPKi31ggml_cuda_mm_fusion_args_devicePfi15HIP_vector_typeIjLj3EEiiiSB_iiiSB_iiii,comdat
.Lfunc_end317:
	.size	_ZL13mul_mat_vec_fI14__hip_bfloat16fLi4ELi192ELb0ELb0EEvPKT_PKfPKi31ggml_cuda_mm_fusion_args_devicePfi15HIP_vector_typeIjLj3EEiiiSB_iiiSB_iiii, .Lfunc_end317-_ZL13mul_mat_vec_fI14__hip_bfloat16fLi4ELi192ELb0ELb0EEvPKT_PKfPKi31ggml_cuda_mm_fusion_args_devicePfi15HIP_vector_typeIjLj3EEiiiSB_iiiSB_iiii
                                        ; -- End function
	.set _ZL13mul_mat_vec_fI14__hip_bfloat16fLi4ELi192ELb0ELb0EEvPKT_PKfPKi31ggml_cuda_mm_fusion_args_devicePfi15HIP_vector_typeIjLj3EEiiiSB_iiiSB_iiii.num_vgpr, 21
	.set _ZL13mul_mat_vec_fI14__hip_bfloat16fLi4ELi192ELb0ELb0EEvPKT_PKfPKi31ggml_cuda_mm_fusion_args_devicePfi15HIP_vector_typeIjLj3EEiiiSB_iiiSB_iiii.num_agpr, 0
	.set _ZL13mul_mat_vec_fI14__hip_bfloat16fLi4ELi192ELb0ELb0EEvPKT_PKfPKi31ggml_cuda_mm_fusion_args_devicePfi15HIP_vector_typeIjLj3EEiiiSB_iiiSB_iiii.numbered_sgpr, 36
	.set _ZL13mul_mat_vec_fI14__hip_bfloat16fLi4ELi192ELb0ELb0EEvPKT_PKfPKi31ggml_cuda_mm_fusion_args_devicePfi15HIP_vector_typeIjLj3EEiiiSB_iiiSB_iiii.num_named_barrier, 0
	.set _ZL13mul_mat_vec_fI14__hip_bfloat16fLi4ELi192ELb0ELb0EEvPKT_PKfPKi31ggml_cuda_mm_fusion_args_devicePfi15HIP_vector_typeIjLj3EEiiiSB_iiiSB_iiii.private_seg_size, 0
	.set _ZL13mul_mat_vec_fI14__hip_bfloat16fLi4ELi192ELb0ELb0EEvPKT_PKfPKi31ggml_cuda_mm_fusion_args_devicePfi15HIP_vector_typeIjLj3EEiiiSB_iiiSB_iiii.uses_vcc, 1
	.set _ZL13mul_mat_vec_fI14__hip_bfloat16fLi4ELi192ELb0ELb0EEvPKT_PKfPKi31ggml_cuda_mm_fusion_args_devicePfi15HIP_vector_typeIjLj3EEiiiSB_iiiSB_iiii.uses_flat_scratch, 0
	.set _ZL13mul_mat_vec_fI14__hip_bfloat16fLi4ELi192ELb0ELb0EEvPKT_PKfPKi31ggml_cuda_mm_fusion_args_devicePfi15HIP_vector_typeIjLj3EEiiiSB_iiiSB_iiii.has_dyn_sized_stack, 0
	.set _ZL13mul_mat_vec_fI14__hip_bfloat16fLi4ELi192ELb0ELb0EEvPKT_PKfPKi31ggml_cuda_mm_fusion_args_devicePfi15HIP_vector_typeIjLj3EEiiiSB_iiiSB_iiii.has_recursion, 0
	.set _ZL13mul_mat_vec_fI14__hip_bfloat16fLi4ELi192ELb0ELb0EEvPKT_PKfPKi31ggml_cuda_mm_fusion_args_devicePfi15HIP_vector_typeIjLj3EEiiiSB_iiiSB_iiii.has_indirect_call, 0
	.section	.AMDGPU.csdata,"",@progbits
; Kernel info:
; codeLenInByte = 1924
; TotalNumSgprs: 38
; NumVgprs: 21
; ScratchSize: 0
; MemoryBound: 0
; FloatMode: 240
; IeeeMode: 1
; LDSByteSize: 0 bytes/workgroup (compile time only)
; SGPRBlocks: 0
; VGPRBlocks: 2
; NumSGPRsForWavesPerEU: 38
; NumVGPRsForWavesPerEU: 21
; Occupancy: 16
; WaveLimiterHint : 0
; COMPUTE_PGM_RSRC2:SCRATCH_EN: 0
; COMPUTE_PGM_RSRC2:USER_SGPR: 6
; COMPUTE_PGM_RSRC2:TRAP_HANDLER: 0
; COMPUTE_PGM_RSRC2:TGID_X_EN: 1
; COMPUTE_PGM_RSRC2:TGID_Y_EN: 1
; COMPUTE_PGM_RSRC2:TGID_Z_EN: 1
; COMPUTE_PGM_RSRC2:TIDIG_COMP_CNT: 0
	.section	.text._ZL13mul_mat_vec_fI14__hip_bfloat16fLi4ELi224ELb0ELb0EEvPKT_PKfPKi31ggml_cuda_mm_fusion_args_devicePfi15HIP_vector_typeIjLj3EEiiiSB_iiiSB_iiii,"axG",@progbits,_ZL13mul_mat_vec_fI14__hip_bfloat16fLi4ELi224ELb0ELb0EEvPKT_PKfPKi31ggml_cuda_mm_fusion_args_devicePfi15HIP_vector_typeIjLj3EEiiiSB_iiiSB_iiii,comdat
	.globl	_ZL13mul_mat_vec_fI14__hip_bfloat16fLi4ELi224ELb0ELb0EEvPKT_PKfPKi31ggml_cuda_mm_fusion_args_devicePfi15HIP_vector_typeIjLj3EEiiiSB_iiiSB_iiii ; -- Begin function _ZL13mul_mat_vec_fI14__hip_bfloat16fLi4ELi224ELb0ELb0EEvPKT_PKfPKi31ggml_cuda_mm_fusion_args_devicePfi15HIP_vector_typeIjLj3EEiiiSB_iiiSB_iiii
	.p2align	8
	.type	_ZL13mul_mat_vec_fI14__hip_bfloat16fLi4ELi224ELb0ELb0EEvPKT_PKfPKi31ggml_cuda_mm_fusion_args_devicePfi15HIP_vector_typeIjLj3EEiiiSB_iiiSB_iiii,@function
_ZL13mul_mat_vec_fI14__hip_bfloat16fLi4ELi224ELb0ELb0EEvPKT_PKfPKi31ggml_cuda_mm_fusion_args_devicePfi15HIP_vector_typeIjLj3EEiiiSB_iiiSB_iiii: ; @_ZL13mul_mat_vec_fI14__hip_bfloat16fLi4ELi224ELb0ELb0EEvPKT_PKfPKi31ggml_cuda_mm_fusion_args_devicePfi15HIP_vector_typeIjLj3EEiiiSB_iiiSB_iiii
; %bb.0:
	s_clause 0x2
	s_load_dwordx2 s[0:1], s[4:5], 0x10
	s_load_dwordx8 s[12:19], s[4:5], 0x40
	s_load_dwordx4 s[20:23], s[4:5], 0x80
	s_waitcnt lgkmcnt(0)
	s_cmp_eq_u64 s[0:1], 0
	s_cselect_b32 s10, -1, 0
	s_cmp_lg_u64 s[0:1], 0
	s_cselect_b32 s9, -1, 0
	s_and_b32 vcc_lo, exec_lo, s10
	s_cbranch_vccnz .LBB318_2
; %bb.1:
	s_mul_i32 s2, s23, s8
	s_mov_b32 s3, 0
	s_add_i32 s2, s2, s7
	s_lshl_b64 s[24:25], s[2:3], 2
	s_add_u32 s0, s0, s24
	s_addc_u32 s1, s1, s25
	s_load_dword s19, s[0:1], 0x0
	s_cbranch_execz .LBB318_3
	s_branch .LBB318_4
.LBB318_2:
                                        ; implicit-def: $sgpr19
.LBB318_3:
	s_load_dwordx2 s[0:1], s[4:5], 0x5c
	s_waitcnt lgkmcnt(0)
	s_mul_hi_u32 s0, s0, s7
	s_add_i32 s0, s7, s0
	s_lshr_b32 s19, s0, s1
.LBB318_4:
	s_load_dwordx4 s[24:27], s[4:5], 0x68
	s_andn2_b32 vcc_lo, exec_lo, s9
	s_mov_b32 s23, s7
	s_cbranch_vccnz .LBB318_6
; %bb.5:
	s_mul_hi_u32 s0, s13, s7
	s_add_i32 s0, s7, s0
	s_lshr_b32 s0, s0, s14
	s_mul_i32 s0, s0, s15
	s_sub_i32 s23, s7, s0
.LBB318_6:
	s_load_dword s9, s[4:5], 0x78
	v_cmp_gt_u32_e32 vcc_lo, 32, v0
	v_lshl_add_u32 v5, v0, 2, 0
	s_and_saveexec_b32 s0, vcc_lo
; %bb.7:
	v_mov_b32_e32 v1, 0
	ds_write_b32 v5, v1
; %bb.8:
	s_or_b32 exec_lo, exec_lo, s0
	v_mov_b32_e32 v6, 0
	v_mov_b32_e32 v7, 0
	;; [unrolled: 1-line block ×4, first 2 shown]
	s_and_b32 s0, exec_lo, s10
	s_mov_b32 s11, 0
	s_cselect_b32 s10, s8, 0
	s_mov_b32 s13, exec_lo
	s_waitcnt lgkmcnt(0)
	s_barrier
	buffer_gl0_inv
	v_cmpx_gt_i32_e64 s12, v0
	s_cbranch_execz .LBB318_12
; %bb.9:
	s_load_dwordx4 s[0:3], s[4:5], 0x0
	s_mul_hi_u32 s27, s27, s10
	s_mul_hi_i32 s15, s21, s10
	s_mul_i32 s14, s21, s10
	s_mul_i32 s24, s19, s24
	;; [unrolled: 1-line block ×4, first 2 shown]
	s_add_i32 s16, s10, s27
	s_lshl_b64 s[34:35], s[14:15], 2
	s_ashr_i32 s25, s24, 31
	s_ashr_i32 s29, s28, 31
	;; [unrolled: 1-line block ×3, first 2 shown]
	s_lshr_b32 s9, s16, s9
	s_mov_b32 s8, s17
	s_mul_hi_i32 s21, s9, s20
	s_mul_i32 s20, s9, s20
	v_lshlrev_b32_e32 v2, 3, v0
	v_lshlrev_b32_e32 v1, 2, v0
	v_mov_b32_e32 v9, 0
	v_mov_b32_e32 v10, v0
	s_waitcnt lgkmcnt(0)
	s_add_u32 s14, s2, s34
	s_addc_u32 s15, s3, s35
	s_lshl_b64 s[30:31], s[30:31], 2
	v_mov_b32_e32 v8, 0
	s_add_u32 s14, s14, s30
	s_addc_u32 s15, s15, s31
	s_lshl_b64 s[24:25], s[24:25], 1
	s_ashr_i32 s9, s17, 31
	s_add_i32 s16, s17, s17
	s_lshl_b64 s[20:21], s[20:21], 1
	s_lshl_b64 s[28:29], s[28:29], 1
	s_add_u32 s0, s0, s24
	s_addc_u32 s1, s1, s25
	s_add_u32 s0, s0, s28
	s_addc_u32 s1, s1, s29
	;; [unrolled: 2-line block ×3, first 2 shown]
	s_lshl_b64 s[8:9], s[8:9], 3
	s_add_u32 s2, s2, s30
	s_addc_u32 s3, s3, s31
	s_add_u32 s2, s2, s34
	s_addc_u32 s3, s3, s35
	v_add_co_u32 v3, s2, s2, v2
	v_add_co_ci_u32_e64 v4, null, s3, 0, s2
	v_add_co_u32 v1, s0, s0, v1
	v_add_co_ci_u32_e64 v2, null, s1, 0, s0
	;; [unrolled: 2-line block ×3, first 2 shown]
	v_mov_b32_e32 v7, 0
	v_mov_b32_e32 v6, 0
	s_mul_i32 s1, s17, 3
.LBB318_10:                             ; =>This Inner Loop Header: Depth=1
	v_add_nc_u32_e32 v11, s16, v10
	v_add_nc_u32_e32 v15, s1, v10
	v_add_co_u32 v13, s0, v3, s8
	v_add_co_ci_u32_e64 v14, null, s9, v4, s0
	v_ashrrev_i32_e32 v12, 31, v11
	v_ashrrev_i32_e32 v16, 31, v15
	global_load_dword v19, v[1:2], off
	v_add_nc_u32_e32 v10, 0xe0, v10
	v_lshlrev_b64 v[11:12], 3, v[11:12]
	v_lshlrev_b64 v[15:16], 3, v[15:16]
	v_add_co_u32 v11, s0, s14, v11
	v_add_co_ci_u32_e64 v12, null, s15, v12, s0
	v_add_co_u32 v15, s0, s14, v15
	v_add_co_ci_u32_e64 v16, null, s15, v16, s0
	s_clause 0x1
	global_load_dwordx2 v[17:18], v[3:4], off offset:-4
	global_load_dwordx2 v[13:14], v[13:14], off offset:-4
	s_clause 0x1
	global_load_dwordx2 v[11:12], v[11:12], off
	global_load_dwordx2 v[15:16], v[15:16], off
	v_add_co_u32 v1, s0, 0x380, v1
	v_add_co_ci_u32_e64 v2, null, 0, v2, s0
	v_add_co_u32 v3, s0, 0x700, v3
	v_add_co_ci_u32_e64 v4, null, 0, v4, s0
	v_cmp_le_i32_e64 s0, s12, v10
	s_or_b32 s11, s0, s11
	s_waitcnt vmcnt(4)
	v_lshlrev_b32_e32 v20, 16, v19
	v_and_b32_e32 v19, 0xffff0000, v19
	s_waitcnt vmcnt(3)
	v_fmac_f32_e32 v9, v17, v20
	s_waitcnt vmcnt(2)
	v_fmac_f32_e32 v8, v13, v20
	;; [unrolled: 2-line block ×4, first 2 shown]
	v_fmac_f32_e32 v9, v18, v19
	v_fmac_f32_e32 v8, v14, v19
	v_fmac_f32_e32 v7, v12, v19
	v_fmac_f32_e32 v6, v16, v19
	s_andn2_b32 exec_lo, exec_lo, s11
	s_cbranch_execnz .LBB318_10
; %bb.11:
	s_or_b32 exec_lo, exec_lo, s11
.LBB318_12:
	s_or_b32 exec_lo, exec_lo, s13
	v_mbcnt_lo_u32_b32 v2, -1, 0
	v_xor_b32_e32 v1, 16, v2
	v_xor_b32_e32 v3, 8, v2
	v_cmp_gt_i32_e64 s0, 32, v1
	v_cndmask_b32_e64 v1, v2, v1, s0
	v_cmp_gt_i32_e64 s0, 32, v3
	v_lshlrev_b32_e32 v1, 2, v1
	v_cndmask_b32_e64 v3, v2, v3, s0
	ds_bpermute_b32 v4, v1, v9
	v_lshlrev_b32_e32 v3, 2, v3
	s_waitcnt lgkmcnt(0)
	v_add_f32_e32 v9, v9, v4
	v_xor_b32_e32 v4, 4, v2
	ds_bpermute_b32 v10, v3, v9
	v_cmp_gt_i32_e64 s0, 32, v4
	v_cndmask_b32_e64 v4, v2, v4, s0
	v_lshlrev_b32_e32 v4, 2, v4
	s_waitcnt lgkmcnt(0)
	v_add_f32_e32 v10, v9, v10
	v_xor_b32_e32 v9, 2, v2
	ds_bpermute_b32 v11, v4, v10
	v_cmp_gt_i32_e64 s0, 32, v9
	v_cndmask_b32_e64 v9, v2, v9, s0
	;; [unrolled: 7-line block ×3, first 2 shown]
	v_lshlrev_b32_e32 v10, 2, v2
	s_waitcnt lgkmcnt(0)
	v_add_f32_e32 v2, v11, v12
	v_lshrrev_b32_e32 v11, 3, v0
	ds_bpermute_b32 v12, v10, v2
	v_and_b32_e32 v11, 0x7c, v11
	v_add_nc_u32_e32 v11, 0, v11
	s_waitcnt lgkmcnt(0)
	v_add_f32_e32 v2, v2, v12
	ds_write_b32 v11, v2
	s_waitcnt lgkmcnt(0)
	s_barrier
	buffer_gl0_inv
	s_and_saveexec_b32 s0, vcc_lo
	s_cbranch_execz .LBB318_14
; %bb.13:
	ds_read_b32 v2, v5
	s_waitcnt lgkmcnt(0)
	ds_bpermute_b32 v12, v1, v2
	s_waitcnt lgkmcnt(0)
	v_add_f32_e32 v2, v2, v12
	ds_bpermute_b32 v12, v3, v2
	s_waitcnt lgkmcnt(0)
	v_add_f32_e32 v2, v2, v12
	ds_bpermute_b32 v12, v4, v2
	s_waitcnt lgkmcnt(0)
	v_add_f32_e32 v2, v2, v12
	ds_bpermute_b32 v12, v9, v2
	s_waitcnt lgkmcnt(0)
	v_add_f32_e32 v2, v2, v12
	ds_bpermute_b32 v12, v10, v2
	s_waitcnt lgkmcnt(0)
	v_add_f32_e32 v2, v2, v12
.LBB318_14:
	s_or_b32 exec_lo, exec_lo, s0
	ds_bpermute_b32 v12, v1, v8
	s_waitcnt lgkmcnt(0)
	s_barrier
	buffer_gl0_inv
	v_add_f32_e32 v8, v8, v12
	ds_bpermute_b32 v12, v3, v8
	s_waitcnt lgkmcnt(0)
	v_add_f32_e32 v8, v8, v12
	ds_bpermute_b32 v12, v4, v8
	s_waitcnt lgkmcnt(0)
	v_add_f32_e32 v8, v8, v12
	ds_bpermute_b32 v12, v9, v8
	s_waitcnt lgkmcnt(0)
	v_add_f32_e32 v8, v8, v12
	ds_bpermute_b32 v12, v10, v8
	s_waitcnt lgkmcnt(0)
	v_add_f32_e32 v8, v8, v12
	ds_write_b32 v11, v8
	s_waitcnt lgkmcnt(0)
	s_barrier
	buffer_gl0_inv
	s_and_saveexec_b32 s0, vcc_lo
	s_cbranch_execz .LBB318_16
; %bb.15:
	ds_read_b32 v8, v5
	s_waitcnt lgkmcnt(0)
	ds_bpermute_b32 v12, v1, v8
	s_waitcnt lgkmcnt(0)
	v_add_f32_e32 v8, v8, v12
	ds_bpermute_b32 v12, v3, v8
	s_waitcnt lgkmcnt(0)
	v_add_f32_e32 v8, v8, v12
	ds_bpermute_b32 v12, v4, v8
	s_waitcnt lgkmcnt(0)
	v_add_f32_e32 v8, v8, v12
	ds_bpermute_b32 v12, v9, v8
	s_waitcnt lgkmcnt(0)
	v_add_f32_e32 v8, v8, v12
	ds_bpermute_b32 v12, v10, v8
	s_waitcnt lgkmcnt(0)
	v_add_f32_e32 v8, v8, v12
.LBB318_16:
	s_or_b32 exec_lo, exec_lo, s0
	ds_bpermute_b32 v12, v1, v7
	s_waitcnt lgkmcnt(0)
	s_barrier
	buffer_gl0_inv
	v_add_f32_e32 v7, v7, v12
	ds_bpermute_b32 v12, v3, v7
	s_waitcnt lgkmcnt(0)
	v_add_f32_e32 v7, v7, v12
	ds_bpermute_b32 v12, v4, v7
	s_waitcnt lgkmcnt(0)
	v_add_f32_e32 v7, v7, v12
	ds_bpermute_b32 v12, v9, v7
	s_waitcnt lgkmcnt(0)
	v_add_f32_e32 v7, v7, v12
	ds_bpermute_b32 v12, v10, v7
	;; [unrolled: 43-line block ×3, first 2 shown]
	s_waitcnt lgkmcnt(0)
	v_add_f32_e32 v6, v6, v12
	ds_write_b32 v11, v6
	s_waitcnt lgkmcnt(0)
	s_barrier
	buffer_gl0_inv
	s_and_saveexec_b32 s0, vcc_lo
	s_cbranch_execz .LBB318_20
; %bb.19:
	ds_read_b32 v5, v5
	s_waitcnt lgkmcnt(0)
	ds_bpermute_b32 v1, v1, v5
	s_waitcnt lgkmcnt(0)
	v_add_f32_e32 v1, v5, v1
	ds_bpermute_b32 v3, v3, v1
	s_waitcnt lgkmcnt(0)
	v_add_f32_e32 v1, v1, v3
	;; [unrolled: 3-line block ×5, first 2 shown]
.LBB318_20:
	s_or_b32 exec_lo, exec_lo, s0
	s_barrier
	buffer_gl0_inv
	s_mov_b32 s0, exec_lo
	v_cmpx_gt_u32_e32 4, v0
	s_cbranch_execz .LBB318_22
; %bb.21:
	s_load_dwordx2 s[0:1], s[4:5], 0x38
	v_mad_u64_u32 v[3:4], null, s18, v0, s[6:7]
	v_cmp_eq_u32_e32 vcc_lo, 1, v0
	s_mul_hi_i32 s3, s22, s10
	s_mul_i32 s2, s22, s10
	s_mul_i32 s4, s26, s7
	s_lshl_b64 s[2:3], s[2:3], 2
	v_cndmask_b32_e32 v1, v2, v8, vcc_lo
	v_ashrrev_i32_e32 v4, 31, v3
	v_cmp_eq_u32_e32 vcc_lo, 2, v0
	s_ashr_i32 s5, s4, 31
	v_cndmask_b32_e32 v5, v1, v7, vcc_lo
	v_lshlrev_b64 v[1:2], 2, v[3:4]
	v_cmp_eq_u32_e32 vcc_lo, 3, v0
	s_waitcnt lgkmcnt(0)
	s_add_u32 s2, s0, s2
	s_addc_u32 s3, s1, s3
	s_lshl_b64 s[0:1], s[4:5], 2
	v_cndmask_b32_e32 v3, v5, v6, vcc_lo
	s_add_u32 s0, s2, s0
	s_addc_u32 s1, s3, s1
	v_add_co_u32 v0, vcc_lo, s0, v1
	v_add_co_ci_u32_e64 v1, null, s1, v2, vcc_lo
	global_store_dword v[0:1], v3, off
.LBB318_22:
	s_endpgm
	.section	.rodata,"a",@progbits
	.p2align	6, 0x0
	.amdhsa_kernel _ZL13mul_mat_vec_fI14__hip_bfloat16fLi4ELi224ELb0ELb0EEvPKT_PKfPKi31ggml_cuda_mm_fusion_args_devicePfi15HIP_vector_typeIjLj3EEiiiSB_iiiSB_iiii
		.amdhsa_group_segment_fixed_size 0
		.amdhsa_private_segment_fixed_size 0
		.amdhsa_kernarg_size 144
		.amdhsa_user_sgpr_count 6
		.amdhsa_user_sgpr_private_segment_buffer 1
		.amdhsa_user_sgpr_dispatch_ptr 0
		.amdhsa_user_sgpr_queue_ptr 0
		.amdhsa_user_sgpr_kernarg_segment_ptr 1
		.amdhsa_user_sgpr_dispatch_id 0
		.amdhsa_user_sgpr_flat_scratch_init 0
		.amdhsa_user_sgpr_private_segment_size 0
		.amdhsa_wavefront_size32 1
		.amdhsa_uses_dynamic_stack 0
		.amdhsa_system_sgpr_private_segment_wavefront_offset 0
		.amdhsa_system_sgpr_workgroup_id_x 1
		.amdhsa_system_sgpr_workgroup_id_y 1
		.amdhsa_system_sgpr_workgroup_id_z 1
		.amdhsa_system_sgpr_workgroup_info 0
		.amdhsa_system_vgpr_workitem_id 0
		.amdhsa_next_free_vgpr 21
		.amdhsa_next_free_sgpr 36
		.amdhsa_reserve_vcc 1
		.amdhsa_reserve_flat_scratch 0
		.amdhsa_float_round_mode_32 0
		.amdhsa_float_round_mode_16_64 0
		.amdhsa_float_denorm_mode_32 3
		.amdhsa_float_denorm_mode_16_64 3
		.amdhsa_dx10_clamp 1
		.amdhsa_ieee_mode 1
		.amdhsa_fp16_overflow 0
		.amdhsa_workgroup_processor_mode 1
		.amdhsa_memory_ordered 1
		.amdhsa_forward_progress 1
		.amdhsa_shared_vgpr_count 0
		.amdhsa_exception_fp_ieee_invalid_op 0
		.amdhsa_exception_fp_denorm_src 0
		.amdhsa_exception_fp_ieee_div_zero 0
		.amdhsa_exception_fp_ieee_overflow 0
		.amdhsa_exception_fp_ieee_underflow 0
		.amdhsa_exception_fp_ieee_inexact 0
		.amdhsa_exception_int_div_zero 0
	.end_amdhsa_kernel
	.section	.text._ZL13mul_mat_vec_fI14__hip_bfloat16fLi4ELi224ELb0ELb0EEvPKT_PKfPKi31ggml_cuda_mm_fusion_args_devicePfi15HIP_vector_typeIjLj3EEiiiSB_iiiSB_iiii,"axG",@progbits,_ZL13mul_mat_vec_fI14__hip_bfloat16fLi4ELi224ELb0ELb0EEvPKT_PKfPKi31ggml_cuda_mm_fusion_args_devicePfi15HIP_vector_typeIjLj3EEiiiSB_iiiSB_iiii,comdat
.Lfunc_end318:
	.size	_ZL13mul_mat_vec_fI14__hip_bfloat16fLi4ELi224ELb0ELb0EEvPKT_PKfPKi31ggml_cuda_mm_fusion_args_devicePfi15HIP_vector_typeIjLj3EEiiiSB_iiiSB_iiii, .Lfunc_end318-_ZL13mul_mat_vec_fI14__hip_bfloat16fLi4ELi224ELb0ELb0EEvPKT_PKfPKi31ggml_cuda_mm_fusion_args_devicePfi15HIP_vector_typeIjLj3EEiiiSB_iiiSB_iiii
                                        ; -- End function
	.set _ZL13mul_mat_vec_fI14__hip_bfloat16fLi4ELi224ELb0ELb0EEvPKT_PKfPKi31ggml_cuda_mm_fusion_args_devicePfi15HIP_vector_typeIjLj3EEiiiSB_iiiSB_iiii.num_vgpr, 21
	.set _ZL13mul_mat_vec_fI14__hip_bfloat16fLi4ELi224ELb0ELb0EEvPKT_PKfPKi31ggml_cuda_mm_fusion_args_devicePfi15HIP_vector_typeIjLj3EEiiiSB_iiiSB_iiii.num_agpr, 0
	.set _ZL13mul_mat_vec_fI14__hip_bfloat16fLi4ELi224ELb0ELb0EEvPKT_PKfPKi31ggml_cuda_mm_fusion_args_devicePfi15HIP_vector_typeIjLj3EEiiiSB_iiiSB_iiii.numbered_sgpr, 36
	.set _ZL13mul_mat_vec_fI14__hip_bfloat16fLi4ELi224ELb0ELb0EEvPKT_PKfPKi31ggml_cuda_mm_fusion_args_devicePfi15HIP_vector_typeIjLj3EEiiiSB_iiiSB_iiii.num_named_barrier, 0
	.set _ZL13mul_mat_vec_fI14__hip_bfloat16fLi4ELi224ELb0ELb0EEvPKT_PKfPKi31ggml_cuda_mm_fusion_args_devicePfi15HIP_vector_typeIjLj3EEiiiSB_iiiSB_iiii.private_seg_size, 0
	.set _ZL13mul_mat_vec_fI14__hip_bfloat16fLi4ELi224ELb0ELb0EEvPKT_PKfPKi31ggml_cuda_mm_fusion_args_devicePfi15HIP_vector_typeIjLj3EEiiiSB_iiiSB_iiii.uses_vcc, 1
	.set _ZL13mul_mat_vec_fI14__hip_bfloat16fLi4ELi224ELb0ELb0EEvPKT_PKfPKi31ggml_cuda_mm_fusion_args_devicePfi15HIP_vector_typeIjLj3EEiiiSB_iiiSB_iiii.uses_flat_scratch, 0
	.set _ZL13mul_mat_vec_fI14__hip_bfloat16fLi4ELi224ELb0ELb0EEvPKT_PKfPKi31ggml_cuda_mm_fusion_args_devicePfi15HIP_vector_typeIjLj3EEiiiSB_iiiSB_iiii.has_dyn_sized_stack, 0
	.set _ZL13mul_mat_vec_fI14__hip_bfloat16fLi4ELi224ELb0ELb0EEvPKT_PKfPKi31ggml_cuda_mm_fusion_args_devicePfi15HIP_vector_typeIjLj3EEiiiSB_iiiSB_iiii.has_recursion, 0
	.set _ZL13mul_mat_vec_fI14__hip_bfloat16fLi4ELi224ELb0ELb0EEvPKT_PKfPKi31ggml_cuda_mm_fusion_args_devicePfi15HIP_vector_typeIjLj3EEiiiSB_iiiSB_iiii.has_indirect_call, 0
	.section	.AMDGPU.csdata,"",@progbits
; Kernel info:
; codeLenInByte = 1924
; TotalNumSgprs: 38
; NumVgprs: 21
; ScratchSize: 0
; MemoryBound: 0
; FloatMode: 240
; IeeeMode: 1
; LDSByteSize: 0 bytes/workgroup (compile time only)
; SGPRBlocks: 0
; VGPRBlocks: 2
; NumSGPRsForWavesPerEU: 38
; NumVGPRsForWavesPerEU: 21
; Occupancy: 16
; WaveLimiterHint : 0
; COMPUTE_PGM_RSRC2:SCRATCH_EN: 0
; COMPUTE_PGM_RSRC2:USER_SGPR: 6
; COMPUTE_PGM_RSRC2:TRAP_HANDLER: 0
; COMPUTE_PGM_RSRC2:TGID_X_EN: 1
; COMPUTE_PGM_RSRC2:TGID_Y_EN: 1
; COMPUTE_PGM_RSRC2:TGID_Z_EN: 1
; COMPUTE_PGM_RSRC2:TIDIG_COMP_CNT: 0
	.section	.text._ZL13mul_mat_vec_fI14__hip_bfloat16fLi4ELi256ELb0ELb0EEvPKT_PKfPKi31ggml_cuda_mm_fusion_args_devicePfi15HIP_vector_typeIjLj3EEiiiSB_iiiSB_iiii,"axG",@progbits,_ZL13mul_mat_vec_fI14__hip_bfloat16fLi4ELi256ELb0ELb0EEvPKT_PKfPKi31ggml_cuda_mm_fusion_args_devicePfi15HIP_vector_typeIjLj3EEiiiSB_iiiSB_iiii,comdat
	.globl	_ZL13mul_mat_vec_fI14__hip_bfloat16fLi4ELi256ELb0ELb0EEvPKT_PKfPKi31ggml_cuda_mm_fusion_args_devicePfi15HIP_vector_typeIjLj3EEiiiSB_iiiSB_iiii ; -- Begin function _ZL13mul_mat_vec_fI14__hip_bfloat16fLi4ELi256ELb0ELb0EEvPKT_PKfPKi31ggml_cuda_mm_fusion_args_devicePfi15HIP_vector_typeIjLj3EEiiiSB_iiiSB_iiii
	.p2align	8
	.type	_ZL13mul_mat_vec_fI14__hip_bfloat16fLi4ELi256ELb0ELb0EEvPKT_PKfPKi31ggml_cuda_mm_fusion_args_devicePfi15HIP_vector_typeIjLj3EEiiiSB_iiiSB_iiii,@function
_ZL13mul_mat_vec_fI14__hip_bfloat16fLi4ELi256ELb0ELb0EEvPKT_PKfPKi31ggml_cuda_mm_fusion_args_devicePfi15HIP_vector_typeIjLj3EEiiiSB_iiiSB_iiii: ; @_ZL13mul_mat_vec_fI14__hip_bfloat16fLi4ELi256ELb0ELb0EEvPKT_PKfPKi31ggml_cuda_mm_fusion_args_devicePfi15HIP_vector_typeIjLj3EEiiiSB_iiiSB_iiii
; %bb.0:
	s_clause 0x2
	s_load_dwordx2 s[0:1], s[4:5], 0x10
	s_load_dwordx8 s[12:19], s[4:5], 0x40
	s_load_dwordx4 s[20:23], s[4:5], 0x80
	s_waitcnt lgkmcnt(0)
	s_cmp_eq_u64 s[0:1], 0
	s_cselect_b32 s10, -1, 0
	s_cmp_lg_u64 s[0:1], 0
	s_cselect_b32 s9, -1, 0
	s_and_b32 vcc_lo, exec_lo, s10
	s_cbranch_vccnz .LBB319_2
; %bb.1:
	s_mul_i32 s2, s23, s8
	s_mov_b32 s3, 0
	s_add_i32 s2, s2, s7
	s_lshl_b64 s[24:25], s[2:3], 2
	s_add_u32 s0, s0, s24
	s_addc_u32 s1, s1, s25
	s_load_dword s19, s[0:1], 0x0
	s_cbranch_execz .LBB319_3
	s_branch .LBB319_4
.LBB319_2:
                                        ; implicit-def: $sgpr19
.LBB319_3:
	s_load_dwordx2 s[0:1], s[4:5], 0x5c
	s_waitcnt lgkmcnt(0)
	s_mul_hi_u32 s0, s0, s7
	s_add_i32 s0, s7, s0
	s_lshr_b32 s19, s0, s1
.LBB319_4:
	s_load_dwordx4 s[24:27], s[4:5], 0x68
	s_andn2_b32 vcc_lo, exec_lo, s9
	s_mov_b32 s23, s7
	s_cbranch_vccnz .LBB319_6
; %bb.5:
	s_mul_hi_u32 s0, s13, s7
	s_add_i32 s0, s7, s0
	s_lshr_b32 s0, s0, s14
	s_mul_i32 s0, s0, s15
	s_sub_i32 s23, s7, s0
.LBB319_6:
	s_load_dword s9, s[4:5], 0x78
	v_cmp_gt_u32_e32 vcc_lo, 32, v0
	v_lshl_add_u32 v5, v0, 2, 0
	s_and_saveexec_b32 s0, vcc_lo
; %bb.7:
	v_mov_b32_e32 v1, 0
	ds_write_b32 v5, v1
; %bb.8:
	s_or_b32 exec_lo, exec_lo, s0
	v_mov_b32_e32 v6, 0
	v_mov_b32_e32 v7, 0
	;; [unrolled: 1-line block ×4, first 2 shown]
	s_and_b32 s0, exec_lo, s10
	s_mov_b32 s11, 0
	s_cselect_b32 s10, s8, 0
	s_mov_b32 s13, exec_lo
	s_waitcnt lgkmcnt(0)
	s_barrier
	buffer_gl0_inv
	v_cmpx_gt_i32_e64 s12, v0
	s_cbranch_execz .LBB319_12
; %bb.9:
	s_load_dwordx4 s[0:3], s[4:5], 0x0
	s_mul_hi_u32 s27, s27, s10
	s_mul_hi_i32 s15, s21, s10
	s_mul_i32 s14, s21, s10
	s_mul_i32 s24, s19, s24
	;; [unrolled: 1-line block ×4, first 2 shown]
	s_add_i32 s16, s10, s27
	s_lshl_b64 s[34:35], s[14:15], 2
	s_ashr_i32 s25, s24, 31
	s_ashr_i32 s29, s28, 31
	;; [unrolled: 1-line block ×3, first 2 shown]
	s_lshr_b32 s9, s16, s9
	s_mov_b32 s8, s17
	s_mul_hi_i32 s21, s9, s20
	s_mul_i32 s20, s9, s20
	v_lshlrev_b32_e32 v2, 3, v0
	v_lshlrev_b32_e32 v1, 2, v0
	v_mov_b32_e32 v9, 0
	v_mov_b32_e32 v10, v0
	s_waitcnt lgkmcnt(0)
	s_add_u32 s14, s2, s34
	s_addc_u32 s15, s3, s35
	s_lshl_b64 s[30:31], s[30:31], 2
	v_mov_b32_e32 v8, 0
	s_add_u32 s14, s14, s30
	s_addc_u32 s15, s15, s31
	s_lshl_b64 s[24:25], s[24:25], 1
	s_ashr_i32 s9, s17, 31
	s_add_i32 s16, s17, s17
	s_lshl_b64 s[20:21], s[20:21], 1
	s_lshl_b64 s[28:29], s[28:29], 1
	s_add_u32 s0, s0, s24
	s_addc_u32 s1, s1, s25
	s_add_u32 s0, s0, s28
	s_addc_u32 s1, s1, s29
	;; [unrolled: 2-line block ×3, first 2 shown]
	s_lshl_b64 s[8:9], s[8:9], 3
	s_add_u32 s2, s2, s30
	s_addc_u32 s3, s3, s31
	s_add_u32 s2, s2, s34
	s_addc_u32 s3, s3, s35
	v_add_co_u32 v3, s2, s2, v2
	v_add_co_ci_u32_e64 v4, null, s3, 0, s2
	v_add_co_u32 v1, s0, s0, v1
	v_add_co_ci_u32_e64 v2, null, s1, 0, s0
	;; [unrolled: 2-line block ×3, first 2 shown]
	v_mov_b32_e32 v7, 0
	v_mov_b32_e32 v6, 0
	s_mul_i32 s1, s17, 3
.LBB319_10:                             ; =>This Inner Loop Header: Depth=1
	v_add_nc_u32_e32 v11, s16, v10
	v_add_nc_u32_e32 v15, s1, v10
	v_add_co_u32 v13, s0, v3, s8
	v_add_co_ci_u32_e64 v14, null, s9, v4, s0
	v_ashrrev_i32_e32 v12, 31, v11
	v_ashrrev_i32_e32 v16, 31, v15
	global_load_dword v19, v[1:2], off
	v_add_nc_u32_e32 v10, 0x100, v10
	v_lshlrev_b64 v[11:12], 3, v[11:12]
	v_lshlrev_b64 v[15:16], 3, v[15:16]
	v_add_co_u32 v11, s0, s14, v11
	v_add_co_ci_u32_e64 v12, null, s15, v12, s0
	v_add_co_u32 v15, s0, s14, v15
	v_add_co_ci_u32_e64 v16, null, s15, v16, s0
	s_clause 0x1
	global_load_dwordx2 v[17:18], v[3:4], off offset:-4
	global_load_dwordx2 v[13:14], v[13:14], off offset:-4
	s_clause 0x1
	global_load_dwordx2 v[11:12], v[11:12], off
	global_load_dwordx2 v[15:16], v[15:16], off
	v_add_co_u32 v1, s0, 0x400, v1
	v_add_co_ci_u32_e64 v2, null, 0, v2, s0
	v_add_co_u32 v3, s0, 0x800, v3
	v_add_co_ci_u32_e64 v4, null, 0, v4, s0
	v_cmp_le_i32_e64 s0, s12, v10
	s_or_b32 s11, s0, s11
	s_waitcnt vmcnt(4)
	v_lshlrev_b32_e32 v20, 16, v19
	v_and_b32_e32 v19, 0xffff0000, v19
	s_waitcnt vmcnt(3)
	v_fmac_f32_e32 v9, v17, v20
	s_waitcnt vmcnt(2)
	v_fmac_f32_e32 v8, v13, v20
	;; [unrolled: 2-line block ×4, first 2 shown]
	v_fmac_f32_e32 v9, v18, v19
	v_fmac_f32_e32 v8, v14, v19
	;; [unrolled: 1-line block ×4, first 2 shown]
	s_andn2_b32 exec_lo, exec_lo, s11
	s_cbranch_execnz .LBB319_10
; %bb.11:
	s_or_b32 exec_lo, exec_lo, s11
.LBB319_12:
	s_or_b32 exec_lo, exec_lo, s13
	v_mbcnt_lo_u32_b32 v2, -1, 0
	v_xor_b32_e32 v1, 16, v2
	v_xor_b32_e32 v3, 8, v2
	v_cmp_gt_i32_e64 s0, 32, v1
	v_cndmask_b32_e64 v1, v2, v1, s0
	v_cmp_gt_i32_e64 s0, 32, v3
	v_lshlrev_b32_e32 v1, 2, v1
	v_cndmask_b32_e64 v3, v2, v3, s0
	ds_bpermute_b32 v4, v1, v9
	v_lshlrev_b32_e32 v3, 2, v3
	s_waitcnt lgkmcnt(0)
	v_add_f32_e32 v9, v9, v4
	v_xor_b32_e32 v4, 4, v2
	ds_bpermute_b32 v10, v3, v9
	v_cmp_gt_i32_e64 s0, 32, v4
	v_cndmask_b32_e64 v4, v2, v4, s0
	v_lshlrev_b32_e32 v4, 2, v4
	s_waitcnt lgkmcnt(0)
	v_add_f32_e32 v10, v9, v10
	v_xor_b32_e32 v9, 2, v2
	ds_bpermute_b32 v11, v4, v10
	v_cmp_gt_i32_e64 s0, 32, v9
	v_cndmask_b32_e64 v9, v2, v9, s0
	;; [unrolled: 7-line block ×3, first 2 shown]
	v_lshlrev_b32_e32 v10, 2, v2
	s_waitcnt lgkmcnt(0)
	v_add_f32_e32 v2, v11, v12
	v_lshrrev_b32_e32 v11, 3, v0
	ds_bpermute_b32 v12, v10, v2
	v_and_b32_e32 v11, 0x7c, v11
	v_add_nc_u32_e32 v11, 0, v11
	s_waitcnt lgkmcnt(0)
	v_add_f32_e32 v2, v2, v12
	ds_write_b32 v11, v2
	s_waitcnt lgkmcnt(0)
	s_barrier
	buffer_gl0_inv
	s_and_saveexec_b32 s0, vcc_lo
	s_cbranch_execz .LBB319_14
; %bb.13:
	ds_read_b32 v2, v5
	s_waitcnt lgkmcnt(0)
	ds_bpermute_b32 v12, v1, v2
	s_waitcnt lgkmcnt(0)
	v_add_f32_e32 v2, v2, v12
	ds_bpermute_b32 v12, v3, v2
	s_waitcnt lgkmcnt(0)
	v_add_f32_e32 v2, v2, v12
	ds_bpermute_b32 v12, v4, v2
	s_waitcnt lgkmcnt(0)
	v_add_f32_e32 v2, v2, v12
	ds_bpermute_b32 v12, v9, v2
	s_waitcnt lgkmcnt(0)
	v_add_f32_e32 v2, v2, v12
	ds_bpermute_b32 v12, v10, v2
	s_waitcnt lgkmcnt(0)
	v_add_f32_e32 v2, v2, v12
.LBB319_14:
	s_or_b32 exec_lo, exec_lo, s0
	ds_bpermute_b32 v12, v1, v8
	s_waitcnt lgkmcnt(0)
	s_barrier
	buffer_gl0_inv
	v_add_f32_e32 v8, v8, v12
	ds_bpermute_b32 v12, v3, v8
	s_waitcnt lgkmcnt(0)
	v_add_f32_e32 v8, v8, v12
	ds_bpermute_b32 v12, v4, v8
	s_waitcnt lgkmcnt(0)
	v_add_f32_e32 v8, v8, v12
	ds_bpermute_b32 v12, v9, v8
	s_waitcnt lgkmcnt(0)
	v_add_f32_e32 v8, v8, v12
	ds_bpermute_b32 v12, v10, v8
	s_waitcnt lgkmcnt(0)
	v_add_f32_e32 v8, v8, v12
	ds_write_b32 v11, v8
	s_waitcnt lgkmcnt(0)
	s_barrier
	buffer_gl0_inv
	s_and_saveexec_b32 s0, vcc_lo
	s_cbranch_execz .LBB319_16
; %bb.15:
	ds_read_b32 v8, v5
	s_waitcnt lgkmcnt(0)
	ds_bpermute_b32 v12, v1, v8
	s_waitcnt lgkmcnt(0)
	v_add_f32_e32 v8, v8, v12
	ds_bpermute_b32 v12, v3, v8
	s_waitcnt lgkmcnt(0)
	v_add_f32_e32 v8, v8, v12
	ds_bpermute_b32 v12, v4, v8
	s_waitcnt lgkmcnt(0)
	v_add_f32_e32 v8, v8, v12
	ds_bpermute_b32 v12, v9, v8
	s_waitcnt lgkmcnt(0)
	v_add_f32_e32 v8, v8, v12
	ds_bpermute_b32 v12, v10, v8
	s_waitcnt lgkmcnt(0)
	v_add_f32_e32 v8, v8, v12
.LBB319_16:
	s_or_b32 exec_lo, exec_lo, s0
	ds_bpermute_b32 v12, v1, v7
	s_waitcnt lgkmcnt(0)
	s_barrier
	buffer_gl0_inv
	v_add_f32_e32 v7, v7, v12
	ds_bpermute_b32 v12, v3, v7
	s_waitcnt lgkmcnt(0)
	v_add_f32_e32 v7, v7, v12
	ds_bpermute_b32 v12, v4, v7
	s_waitcnt lgkmcnt(0)
	v_add_f32_e32 v7, v7, v12
	ds_bpermute_b32 v12, v9, v7
	s_waitcnt lgkmcnt(0)
	v_add_f32_e32 v7, v7, v12
	ds_bpermute_b32 v12, v10, v7
	;; [unrolled: 43-line block ×3, first 2 shown]
	s_waitcnt lgkmcnt(0)
	v_add_f32_e32 v6, v6, v12
	ds_write_b32 v11, v6
	s_waitcnt lgkmcnt(0)
	s_barrier
	buffer_gl0_inv
	s_and_saveexec_b32 s0, vcc_lo
	s_cbranch_execz .LBB319_20
; %bb.19:
	ds_read_b32 v5, v5
	s_waitcnt lgkmcnt(0)
	ds_bpermute_b32 v1, v1, v5
	s_waitcnt lgkmcnt(0)
	v_add_f32_e32 v1, v5, v1
	ds_bpermute_b32 v3, v3, v1
	s_waitcnt lgkmcnt(0)
	v_add_f32_e32 v1, v1, v3
	;; [unrolled: 3-line block ×5, first 2 shown]
.LBB319_20:
	s_or_b32 exec_lo, exec_lo, s0
	s_barrier
	buffer_gl0_inv
	s_mov_b32 s0, exec_lo
	v_cmpx_gt_u32_e32 4, v0
	s_cbranch_execz .LBB319_22
; %bb.21:
	s_load_dwordx2 s[0:1], s[4:5], 0x38
	v_mad_u64_u32 v[3:4], null, s18, v0, s[6:7]
	v_cmp_eq_u32_e32 vcc_lo, 1, v0
	s_mul_hi_i32 s3, s22, s10
	s_mul_i32 s2, s22, s10
	s_mul_i32 s4, s26, s7
	s_lshl_b64 s[2:3], s[2:3], 2
	v_cndmask_b32_e32 v1, v2, v8, vcc_lo
	v_ashrrev_i32_e32 v4, 31, v3
	v_cmp_eq_u32_e32 vcc_lo, 2, v0
	s_ashr_i32 s5, s4, 31
	v_cndmask_b32_e32 v5, v1, v7, vcc_lo
	v_lshlrev_b64 v[1:2], 2, v[3:4]
	v_cmp_eq_u32_e32 vcc_lo, 3, v0
	s_waitcnt lgkmcnt(0)
	s_add_u32 s2, s0, s2
	s_addc_u32 s3, s1, s3
	s_lshl_b64 s[0:1], s[4:5], 2
	v_cndmask_b32_e32 v3, v5, v6, vcc_lo
	s_add_u32 s0, s2, s0
	s_addc_u32 s1, s3, s1
	v_add_co_u32 v0, vcc_lo, s0, v1
	v_add_co_ci_u32_e64 v1, null, s1, v2, vcc_lo
	global_store_dword v[0:1], v3, off
.LBB319_22:
	s_endpgm
	.section	.rodata,"a",@progbits
	.p2align	6, 0x0
	.amdhsa_kernel _ZL13mul_mat_vec_fI14__hip_bfloat16fLi4ELi256ELb0ELb0EEvPKT_PKfPKi31ggml_cuda_mm_fusion_args_devicePfi15HIP_vector_typeIjLj3EEiiiSB_iiiSB_iiii
		.amdhsa_group_segment_fixed_size 0
		.amdhsa_private_segment_fixed_size 0
		.amdhsa_kernarg_size 144
		.amdhsa_user_sgpr_count 6
		.amdhsa_user_sgpr_private_segment_buffer 1
		.amdhsa_user_sgpr_dispatch_ptr 0
		.amdhsa_user_sgpr_queue_ptr 0
		.amdhsa_user_sgpr_kernarg_segment_ptr 1
		.amdhsa_user_sgpr_dispatch_id 0
		.amdhsa_user_sgpr_flat_scratch_init 0
		.amdhsa_user_sgpr_private_segment_size 0
		.amdhsa_wavefront_size32 1
		.amdhsa_uses_dynamic_stack 0
		.amdhsa_system_sgpr_private_segment_wavefront_offset 0
		.amdhsa_system_sgpr_workgroup_id_x 1
		.amdhsa_system_sgpr_workgroup_id_y 1
		.amdhsa_system_sgpr_workgroup_id_z 1
		.amdhsa_system_sgpr_workgroup_info 0
		.amdhsa_system_vgpr_workitem_id 0
		.amdhsa_next_free_vgpr 21
		.amdhsa_next_free_sgpr 36
		.amdhsa_reserve_vcc 1
		.amdhsa_reserve_flat_scratch 0
		.amdhsa_float_round_mode_32 0
		.amdhsa_float_round_mode_16_64 0
		.amdhsa_float_denorm_mode_32 3
		.amdhsa_float_denorm_mode_16_64 3
		.amdhsa_dx10_clamp 1
		.amdhsa_ieee_mode 1
		.amdhsa_fp16_overflow 0
		.amdhsa_workgroup_processor_mode 1
		.amdhsa_memory_ordered 1
		.amdhsa_forward_progress 1
		.amdhsa_shared_vgpr_count 0
		.amdhsa_exception_fp_ieee_invalid_op 0
		.amdhsa_exception_fp_denorm_src 0
		.amdhsa_exception_fp_ieee_div_zero 0
		.amdhsa_exception_fp_ieee_overflow 0
		.amdhsa_exception_fp_ieee_underflow 0
		.amdhsa_exception_fp_ieee_inexact 0
		.amdhsa_exception_int_div_zero 0
	.end_amdhsa_kernel
	.section	.text._ZL13mul_mat_vec_fI14__hip_bfloat16fLi4ELi256ELb0ELb0EEvPKT_PKfPKi31ggml_cuda_mm_fusion_args_devicePfi15HIP_vector_typeIjLj3EEiiiSB_iiiSB_iiii,"axG",@progbits,_ZL13mul_mat_vec_fI14__hip_bfloat16fLi4ELi256ELb0ELb0EEvPKT_PKfPKi31ggml_cuda_mm_fusion_args_devicePfi15HIP_vector_typeIjLj3EEiiiSB_iiiSB_iiii,comdat
.Lfunc_end319:
	.size	_ZL13mul_mat_vec_fI14__hip_bfloat16fLi4ELi256ELb0ELb0EEvPKT_PKfPKi31ggml_cuda_mm_fusion_args_devicePfi15HIP_vector_typeIjLj3EEiiiSB_iiiSB_iiii, .Lfunc_end319-_ZL13mul_mat_vec_fI14__hip_bfloat16fLi4ELi256ELb0ELb0EEvPKT_PKfPKi31ggml_cuda_mm_fusion_args_devicePfi15HIP_vector_typeIjLj3EEiiiSB_iiiSB_iiii
                                        ; -- End function
	.set _ZL13mul_mat_vec_fI14__hip_bfloat16fLi4ELi256ELb0ELb0EEvPKT_PKfPKi31ggml_cuda_mm_fusion_args_devicePfi15HIP_vector_typeIjLj3EEiiiSB_iiiSB_iiii.num_vgpr, 21
	.set _ZL13mul_mat_vec_fI14__hip_bfloat16fLi4ELi256ELb0ELb0EEvPKT_PKfPKi31ggml_cuda_mm_fusion_args_devicePfi15HIP_vector_typeIjLj3EEiiiSB_iiiSB_iiii.num_agpr, 0
	.set _ZL13mul_mat_vec_fI14__hip_bfloat16fLi4ELi256ELb0ELb0EEvPKT_PKfPKi31ggml_cuda_mm_fusion_args_devicePfi15HIP_vector_typeIjLj3EEiiiSB_iiiSB_iiii.numbered_sgpr, 36
	.set _ZL13mul_mat_vec_fI14__hip_bfloat16fLi4ELi256ELb0ELb0EEvPKT_PKfPKi31ggml_cuda_mm_fusion_args_devicePfi15HIP_vector_typeIjLj3EEiiiSB_iiiSB_iiii.num_named_barrier, 0
	.set _ZL13mul_mat_vec_fI14__hip_bfloat16fLi4ELi256ELb0ELb0EEvPKT_PKfPKi31ggml_cuda_mm_fusion_args_devicePfi15HIP_vector_typeIjLj3EEiiiSB_iiiSB_iiii.private_seg_size, 0
	.set _ZL13mul_mat_vec_fI14__hip_bfloat16fLi4ELi256ELb0ELb0EEvPKT_PKfPKi31ggml_cuda_mm_fusion_args_devicePfi15HIP_vector_typeIjLj3EEiiiSB_iiiSB_iiii.uses_vcc, 1
	.set _ZL13mul_mat_vec_fI14__hip_bfloat16fLi4ELi256ELb0ELb0EEvPKT_PKfPKi31ggml_cuda_mm_fusion_args_devicePfi15HIP_vector_typeIjLj3EEiiiSB_iiiSB_iiii.uses_flat_scratch, 0
	.set _ZL13mul_mat_vec_fI14__hip_bfloat16fLi4ELi256ELb0ELb0EEvPKT_PKfPKi31ggml_cuda_mm_fusion_args_devicePfi15HIP_vector_typeIjLj3EEiiiSB_iiiSB_iiii.has_dyn_sized_stack, 0
	.set _ZL13mul_mat_vec_fI14__hip_bfloat16fLi4ELi256ELb0ELb0EEvPKT_PKfPKi31ggml_cuda_mm_fusion_args_devicePfi15HIP_vector_typeIjLj3EEiiiSB_iiiSB_iiii.has_recursion, 0
	.set _ZL13mul_mat_vec_fI14__hip_bfloat16fLi4ELi256ELb0ELb0EEvPKT_PKfPKi31ggml_cuda_mm_fusion_args_devicePfi15HIP_vector_typeIjLj3EEiiiSB_iiiSB_iiii.has_indirect_call, 0
	.section	.AMDGPU.csdata,"",@progbits
; Kernel info:
; codeLenInByte = 1924
; TotalNumSgprs: 38
; NumVgprs: 21
; ScratchSize: 0
; MemoryBound: 0
; FloatMode: 240
; IeeeMode: 1
; LDSByteSize: 0 bytes/workgroup (compile time only)
; SGPRBlocks: 0
; VGPRBlocks: 2
; NumSGPRsForWavesPerEU: 38
; NumVGPRsForWavesPerEU: 21
; Occupancy: 16
; WaveLimiterHint : 0
; COMPUTE_PGM_RSRC2:SCRATCH_EN: 0
; COMPUTE_PGM_RSRC2:USER_SGPR: 6
; COMPUTE_PGM_RSRC2:TRAP_HANDLER: 0
; COMPUTE_PGM_RSRC2:TGID_X_EN: 1
; COMPUTE_PGM_RSRC2:TGID_Y_EN: 1
; COMPUTE_PGM_RSRC2:TGID_Z_EN: 1
; COMPUTE_PGM_RSRC2:TIDIG_COMP_CNT: 0
	.section	.text._ZL13mul_mat_vec_fI14__hip_bfloat16fLi5ELi32ELb0ELb0EEvPKT_PKfPKi31ggml_cuda_mm_fusion_args_devicePfi15HIP_vector_typeIjLj3EEiiiSB_iiiSB_iiii,"axG",@progbits,_ZL13mul_mat_vec_fI14__hip_bfloat16fLi5ELi32ELb0ELb0EEvPKT_PKfPKi31ggml_cuda_mm_fusion_args_devicePfi15HIP_vector_typeIjLj3EEiiiSB_iiiSB_iiii,comdat
	.globl	_ZL13mul_mat_vec_fI14__hip_bfloat16fLi5ELi32ELb0ELb0EEvPKT_PKfPKi31ggml_cuda_mm_fusion_args_devicePfi15HIP_vector_typeIjLj3EEiiiSB_iiiSB_iiii ; -- Begin function _ZL13mul_mat_vec_fI14__hip_bfloat16fLi5ELi32ELb0ELb0EEvPKT_PKfPKi31ggml_cuda_mm_fusion_args_devicePfi15HIP_vector_typeIjLj3EEiiiSB_iiiSB_iiii
	.p2align	8
	.type	_ZL13mul_mat_vec_fI14__hip_bfloat16fLi5ELi32ELb0ELb0EEvPKT_PKfPKi31ggml_cuda_mm_fusion_args_devicePfi15HIP_vector_typeIjLj3EEiiiSB_iiiSB_iiii,@function
_ZL13mul_mat_vec_fI14__hip_bfloat16fLi5ELi32ELb0ELb0EEvPKT_PKfPKi31ggml_cuda_mm_fusion_args_devicePfi15HIP_vector_typeIjLj3EEiiiSB_iiiSB_iiii: ; @_ZL13mul_mat_vec_fI14__hip_bfloat16fLi5ELi32ELb0ELb0EEvPKT_PKfPKi31ggml_cuda_mm_fusion_args_devicePfi15HIP_vector_typeIjLj3EEiiiSB_iiiSB_iiii
; %bb.0:
	s_clause 0x2
	s_load_dwordx2 s[20:21], s[4:5], 0x10
	s_load_dwordx8 s[12:19], s[4:5], 0x40
	s_load_dwordx4 s[0:3], s[4:5], 0x80
	s_waitcnt lgkmcnt(0)
	s_cmp_eq_u64 s[20:21], 0
	s_cselect_b32 s9, -1, 0
	s_cmp_lg_u64 s[20:21], 0
	s_cselect_b32 s25, -1, 0
	s_and_b32 vcc_lo, exec_lo, s9
	s_cbranch_vccnz .LBB320_2
; %bb.1:
	s_mul_i32 s3, s3, s8
	s_mov_b32 s11, 0
	s_add_i32 s10, s3, s7
	s_lshl_b64 s[22:23], s[10:11], 2
	s_add_u32 s20, s20, s22
	s_addc_u32 s21, s21, s23
	s_load_dword s24, s[20:21], 0x0
	s_load_dwordx4 s[20:23], s[4:5], 0x68
	s_cbranch_execz .LBB320_3
	s_branch .LBB320_4
.LBB320_2:
                                        ; implicit-def: $sgpr24
	s_load_dwordx4 s[20:23], s[4:5], 0x68
.LBB320_3:
	s_load_dwordx2 s[10:11], s[4:5], 0x5c
	s_waitcnt lgkmcnt(0)
	s_mul_hi_u32 s3, s10, s7
	s_add_i32 s3, s7, s3
	s_lshr_b32 s24, s3, s11
.LBB320_4:
	s_load_dword s19, s[4:5], 0x78
	s_andn2_b32 vcc_lo, exec_lo, s25
	s_mov_b32 s25, s7
	s_cbranch_vccnz .LBB320_6
; %bb.5:
	s_mul_hi_u32 s3, s13, s7
	s_add_i32 s3, s7, s3
	s_lshr_b32 s3, s3, s14
	s_mul_i32 s3, s3, s15
	s_sub_i32 s25, s7, s3
.LBB320_6:
	v_mov_b32_e32 v6, 0
	v_mov_b32_e32 v7, 0
	;; [unrolled: 1-line block ×5, first 2 shown]
	s_and_b32 s3, exec_lo, s9
	s_mov_b32 s14, 0
	s_cselect_b32 s3, s8, 0
	s_mov_b32 s13, exec_lo
	v_cmpx_gt_i32_e64 s12, v0
	s_cbranch_execz .LBB320_10
; %bb.7:
	s_load_dwordx4 s[8:11], s[4:5], 0x0
	s_waitcnt lgkmcnt(0)
	s_mul_hi_u32 s15, s23, s3
	s_mul_hi_i32 s29, s1, s3
	s_mul_i32 s28, s1, s3
	s_mul_i32 s24, s24, s20
	;; [unrolled: 1-line block ×4, first 2 shown]
	s_add_i32 s1, s3, s15
	s_lshl_b64 s[28:29], s[28:29], 2
	s_ashr_i32 s25, s24, 31
	s_ashr_i32 s27, s26, 31
	;; [unrolled: 1-line block ×3, first 2 shown]
	s_lshr_b32 s15, s1, s19
	s_mov_b32 s30, s17
	s_mul_hi_i32 s1, s15, s0
	s_mul_i32 s0, s15, s0
	v_lshlrev_b32_e32 v2, 3, v0
	v_lshlrev_b32_e32 v1, 2, v0
	v_mov_b32_e32 v5, 0
	v_mov_b32_e32 v10, v0
	s_add_u32 s16, s10, s28
	s_addc_u32 s19, s11, s29
	s_lshl_b64 s[34:35], s[20:21], 2
	v_mov_b32_e32 v9, 0
	s_add_u32 s15, s16, s34
	s_addc_u32 s16, s19, s35
	s_lshl_b64 s[24:25], s[24:25], 1
	s_ashr_i32 s31, s17, 31
	s_add_i32 s19, s17, s17
	s_lshl_b32 s20, s17, 2
	s_lshl_b64 s[0:1], s[0:1], 1
	s_lshl_b64 s[26:27], s[26:27], 1
	s_add_u32 s8, s8, s24
	s_addc_u32 s9, s9, s25
	s_add_u32 s8, s8, s26
	s_addc_u32 s9, s9, s27
	;; [unrolled: 2-line block ×3, first 2 shown]
	s_lshl_b64 s[0:1], s[30:31], 3
	s_add_u32 s10, s10, s34
	s_addc_u32 s11, s11, s35
	s_add_u32 s10, s10, s28
	s_addc_u32 s11, s11, s29
	v_add_co_u32 v3, s10, s10, v2
	v_add_co_ci_u32_e64 v4, null, s11, 0, s10
	v_add_co_u32 v1, s8, s8, v1
	v_add_co_u32 v3, vcc_lo, v3, 4
	v_add_co_ci_u32_e64 v2, null, s9, 0, s8
	v_add_co_ci_u32_e64 v4, null, 0, v4, vcc_lo
	v_mov_b32_e32 v8, 0
	v_mov_b32_e32 v7, 0
	;; [unrolled: 1-line block ×3, first 2 shown]
	s_mul_i32 s8, s17, 3
.LBB320_8:                              ; =>This Inner Loop Header: Depth=1
	v_add_nc_u32_e32 v11, s19, v10
	v_add_nc_u32_e32 v15, s8, v10
	v_add_nc_u32_e32 v17, s20, v10
	v_add_co_u32 v13, vcc_lo, v3, s0
	v_ashrrev_i32_e32 v12, 31, v11
	v_ashrrev_i32_e32 v16, 31, v15
	;; [unrolled: 1-line block ×3, first 2 shown]
	v_add_co_ci_u32_e64 v14, null, s1, v4, vcc_lo
	v_lshlrev_b64 v[11:12], 3, v[11:12]
	v_lshlrev_b64 v[15:16], 3, v[15:16]
	;; [unrolled: 1-line block ×3, first 2 shown]
	global_load_dword v21, v[1:2], off
	v_add_nc_u32_e32 v10, 32, v10
	v_add_co_u32 v11, vcc_lo, s15, v11
	v_add_co_ci_u32_e64 v12, null, s16, v12, vcc_lo
	v_add_co_u32 v15, vcc_lo, s15, v15
	v_add_co_ci_u32_e64 v16, null, s16, v16, vcc_lo
	;; [unrolled: 2-line block ×3, first 2 shown]
	s_clause 0x1
	global_load_dwordx2 v[19:20], v[3:4], off offset:-4
	global_load_dwordx2 v[13:14], v[13:14], off offset:-4
	s_clause 0x2
	global_load_dwordx2 v[11:12], v[11:12], off
	global_load_dwordx2 v[15:16], v[15:16], off
	;; [unrolled: 1-line block ×3, first 2 shown]
	v_add_co_u32 v1, vcc_lo, 0x80, v1
	v_add_co_ci_u32_e64 v2, null, 0, v2, vcc_lo
	v_add_co_u32 v3, vcc_lo, 0x100, v3
	v_add_co_ci_u32_e64 v4, null, 0, v4, vcc_lo
	v_cmp_le_i32_e32 vcc_lo, s12, v10
	s_or_b32 s14, vcc_lo, s14
	s_waitcnt vmcnt(5)
	v_lshlrev_b32_e32 v22, 16, v21
	v_and_b32_e32 v21, 0xffff0000, v21
	s_waitcnt vmcnt(4)
	v_fmac_f32_e32 v5, v19, v22
	s_waitcnt vmcnt(3)
	v_fmac_f32_e32 v9, v13, v22
	;; [unrolled: 2-line block ×5, first 2 shown]
	v_fmac_f32_e32 v5, v20, v21
	v_fmac_f32_e32 v9, v14, v21
	;; [unrolled: 1-line block ×5, first 2 shown]
	s_andn2_b32 exec_lo, exec_lo, s14
	s_cbranch_execnz .LBB320_8
; %bb.9:
	s_or_b32 exec_lo, exec_lo, s14
.LBB320_10:
	s_or_b32 exec_lo, exec_lo, s13
	v_mbcnt_lo_u32_b32 v1, -1, 0
	s_mov_b32 s0, exec_lo
	v_xor_b32_e32 v2, 16, v1
	v_xor_b32_e32 v12, 8, v1
	v_cmp_gt_i32_e32 vcc_lo, 32, v2
	v_cndmask_b32_e32 v2, v1, v2, vcc_lo
	v_cmp_gt_i32_e32 vcc_lo, 32, v12
	v_lshlrev_b32_e32 v2, 2, v2
	v_cndmask_b32_e32 v12, v1, v12, vcc_lo
	ds_bpermute_b32 v3, v2, v5
	ds_bpermute_b32 v4, v2, v9
	;; [unrolled: 1-line block ×5, first 2 shown]
	v_lshlrev_b32_e32 v12, 2, v12
	s_waitcnt lgkmcnt(0)
	v_add_f32_e32 v3, v5, v3
	v_add_f32_e32 v4, v9, v4
	;; [unrolled: 1-line block ×5, first 2 shown]
	ds_bpermute_b32 v6, v12, v3
	ds_bpermute_b32 v8, v12, v4
	ds_bpermute_b32 v9, v12, v5
	ds_bpermute_b32 v10, v12, v7
	ds_bpermute_b32 v11, v12, v2
	v_xor_b32_e32 v12, 4, v1
	v_cmp_gt_i32_e32 vcc_lo, 32, v12
	v_cndmask_b32_e32 v12, v1, v12, vcc_lo
	v_lshlrev_b32_e32 v12, 2, v12
	s_waitcnt lgkmcnt(4)
	v_add_f32_e32 v3, v3, v6
	s_waitcnt lgkmcnt(3)
	v_add_f32_e32 v4, v4, v8
	s_waitcnt lgkmcnt(2)
	v_add_f32_e32 v5, v5, v9
	s_waitcnt lgkmcnt(1)
	v_add_f32_e32 v6, v7, v10
	s_waitcnt lgkmcnt(0)
	v_add_f32_e32 v2, v2, v11
	ds_bpermute_b32 v7, v12, v3
	ds_bpermute_b32 v8, v12, v4
	ds_bpermute_b32 v9, v12, v5
	ds_bpermute_b32 v10, v12, v6
	ds_bpermute_b32 v11, v12, v2
	v_xor_b32_e32 v12, 2, v1
	v_cmp_gt_i32_e32 vcc_lo, 32, v12
	v_cndmask_b32_e32 v12, v1, v12, vcc_lo
	v_lshlrev_b32_e32 v12, 2, v12
	s_waitcnt lgkmcnt(4)
	v_add_f32_e32 v3, v3, v7
	s_waitcnt lgkmcnt(3)
	v_add_f32_e32 v4, v4, v8
	s_waitcnt lgkmcnt(2)
	v_add_f32_e32 v5, v5, v9
	s_waitcnt lgkmcnt(1)
	v_add_f32_e32 v6, v6, v10
	s_waitcnt lgkmcnt(0)
	v_add_f32_e32 v9, v2, v11
	;; [unrolled: 19-line block ×3, first 2 shown]
	ds_bpermute_b32 v9, v13, v7
	ds_bpermute_b32 v10, v13, v8
	;; [unrolled: 1-line block ×5, first 2 shown]
	v_cmpx_gt_u32_e32 5, v0
	s_cbranch_execz .LBB320_12
; %bb.11:
	s_load_dwordx2 s[0:1], s[4:5], 0x38
	s_waitcnt lgkmcnt(0)
	v_add_f32_e32 v9, v7, v9
	v_add_f32_e32 v10, v8, v10
	v_cmp_eq_u32_e32 vcc_lo, 1, v0
	v_mad_u64_u32 v[7:8], null, s18, v0, s[6:7]
	v_add_f32_e32 v1, v1, v4
	v_add_f32_e32 v2, v2, v5
	v_cndmask_b32_e32 v4, v9, v10, vcc_lo
	v_cmp_eq_u32_e32 vcc_lo, 2, v0
	s_mul_hi_i32 s5, s2, s3
	s_mul_i32 s4, s2, s3
	v_ashrrev_i32_e32 v8, 31, v7
	s_mul_i32 s2, s22, s7
	v_cndmask_b32_e32 v1, v4, v1, vcc_lo
	v_cmp_eq_u32_e32 vcc_lo, 3, v0
	s_lshl_b64 s[4:5], s[4:5], 2
	s_ashr_i32 s3, s2, 31
	v_add_f32_e32 v3, v3, v6
	v_cndmask_b32_e32 v4, v1, v2, vcc_lo
	v_lshlrev_b64 v[1:2], 2, v[7:8]
	s_add_u32 s4, s0, s4
	v_cmp_eq_u32_e32 vcc_lo, 4, v0
	s_addc_u32 s5, s1, s5
	s_lshl_b64 s[0:1], s[2:3], 2
	s_add_u32 s0, s4, s0
	s_addc_u32 s1, s5, s1
	v_cndmask_b32_e32 v3, v4, v3, vcc_lo
	v_add_co_u32 v0, vcc_lo, s0, v1
	v_add_co_ci_u32_e64 v1, null, s1, v2, vcc_lo
	global_store_dword v[0:1], v3, off
.LBB320_12:
	s_endpgm
	.section	.rodata,"a",@progbits
	.p2align	6, 0x0
	.amdhsa_kernel _ZL13mul_mat_vec_fI14__hip_bfloat16fLi5ELi32ELb0ELb0EEvPKT_PKfPKi31ggml_cuda_mm_fusion_args_devicePfi15HIP_vector_typeIjLj3EEiiiSB_iiiSB_iiii
		.amdhsa_group_segment_fixed_size 0
		.amdhsa_private_segment_fixed_size 0
		.amdhsa_kernarg_size 144
		.amdhsa_user_sgpr_count 6
		.amdhsa_user_sgpr_private_segment_buffer 1
		.amdhsa_user_sgpr_dispatch_ptr 0
		.amdhsa_user_sgpr_queue_ptr 0
		.amdhsa_user_sgpr_kernarg_segment_ptr 1
		.amdhsa_user_sgpr_dispatch_id 0
		.amdhsa_user_sgpr_flat_scratch_init 0
		.amdhsa_user_sgpr_private_segment_size 0
		.amdhsa_wavefront_size32 1
		.amdhsa_uses_dynamic_stack 0
		.amdhsa_system_sgpr_private_segment_wavefront_offset 0
		.amdhsa_system_sgpr_workgroup_id_x 1
		.amdhsa_system_sgpr_workgroup_id_y 1
		.amdhsa_system_sgpr_workgroup_id_z 1
		.amdhsa_system_sgpr_workgroup_info 0
		.amdhsa_system_vgpr_workitem_id 0
		.amdhsa_next_free_vgpr 23
		.amdhsa_next_free_sgpr 36
		.amdhsa_reserve_vcc 1
		.amdhsa_reserve_flat_scratch 0
		.amdhsa_float_round_mode_32 0
		.amdhsa_float_round_mode_16_64 0
		.amdhsa_float_denorm_mode_32 3
		.amdhsa_float_denorm_mode_16_64 3
		.amdhsa_dx10_clamp 1
		.amdhsa_ieee_mode 1
		.amdhsa_fp16_overflow 0
		.amdhsa_workgroup_processor_mode 1
		.amdhsa_memory_ordered 1
		.amdhsa_forward_progress 1
		.amdhsa_shared_vgpr_count 0
		.amdhsa_exception_fp_ieee_invalid_op 0
		.amdhsa_exception_fp_denorm_src 0
		.amdhsa_exception_fp_ieee_div_zero 0
		.amdhsa_exception_fp_ieee_overflow 0
		.amdhsa_exception_fp_ieee_underflow 0
		.amdhsa_exception_fp_ieee_inexact 0
		.amdhsa_exception_int_div_zero 0
	.end_amdhsa_kernel
	.section	.text._ZL13mul_mat_vec_fI14__hip_bfloat16fLi5ELi32ELb0ELb0EEvPKT_PKfPKi31ggml_cuda_mm_fusion_args_devicePfi15HIP_vector_typeIjLj3EEiiiSB_iiiSB_iiii,"axG",@progbits,_ZL13mul_mat_vec_fI14__hip_bfloat16fLi5ELi32ELb0ELb0EEvPKT_PKfPKi31ggml_cuda_mm_fusion_args_devicePfi15HIP_vector_typeIjLj3EEiiiSB_iiiSB_iiii,comdat
.Lfunc_end320:
	.size	_ZL13mul_mat_vec_fI14__hip_bfloat16fLi5ELi32ELb0ELb0EEvPKT_PKfPKi31ggml_cuda_mm_fusion_args_devicePfi15HIP_vector_typeIjLj3EEiiiSB_iiiSB_iiii, .Lfunc_end320-_ZL13mul_mat_vec_fI14__hip_bfloat16fLi5ELi32ELb0ELb0EEvPKT_PKfPKi31ggml_cuda_mm_fusion_args_devicePfi15HIP_vector_typeIjLj3EEiiiSB_iiiSB_iiii
                                        ; -- End function
	.set _ZL13mul_mat_vec_fI14__hip_bfloat16fLi5ELi32ELb0ELb0EEvPKT_PKfPKi31ggml_cuda_mm_fusion_args_devicePfi15HIP_vector_typeIjLj3EEiiiSB_iiiSB_iiii.num_vgpr, 23
	.set _ZL13mul_mat_vec_fI14__hip_bfloat16fLi5ELi32ELb0ELb0EEvPKT_PKfPKi31ggml_cuda_mm_fusion_args_devicePfi15HIP_vector_typeIjLj3EEiiiSB_iiiSB_iiii.num_agpr, 0
	.set _ZL13mul_mat_vec_fI14__hip_bfloat16fLi5ELi32ELb0ELb0EEvPKT_PKfPKi31ggml_cuda_mm_fusion_args_devicePfi15HIP_vector_typeIjLj3EEiiiSB_iiiSB_iiii.numbered_sgpr, 36
	.set _ZL13mul_mat_vec_fI14__hip_bfloat16fLi5ELi32ELb0ELb0EEvPKT_PKfPKi31ggml_cuda_mm_fusion_args_devicePfi15HIP_vector_typeIjLj3EEiiiSB_iiiSB_iiii.num_named_barrier, 0
	.set _ZL13mul_mat_vec_fI14__hip_bfloat16fLi5ELi32ELb0ELb0EEvPKT_PKfPKi31ggml_cuda_mm_fusion_args_devicePfi15HIP_vector_typeIjLj3EEiiiSB_iiiSB_iiii.private_seg_size, 0
	.set _ZL13mul_mat_vec_fI14__hip_bfloat16fLi5ELi32ELb0ELb0EEvPKT_PKfPKi31ggml_cuda_mm_fusion_args_devicePfi15HIP_vector_typeIjLj3EEiiiSB_iiiSB_iiii.uses_vcc, 1
	.set _ZL13mul_mat_vec_fI14__hip_bfloat16fLi5ELi32ELb0ELb0EEvPKT_PKfPKi31ggml_cuda_mm_fusion_args_devicePfi15HIP_vector_typeIjLj3EEiiiSB_iiiSB_iiii.uses_flat_scratch, 0
	.set _ZL13mul_mat_vec_fI14__hip_bfloat16fLi5ELi32ELb0ELb0EEvPKT_PKfPKi31ggml_cuda_mm_fusion_args_devicePfi15HIP_vector_typeIjLj3EEiiiSB_iiiSB_iiii.has_dyn_sized_stack, 0
	.set _ZL13mul_mat_vec_fI14__hip_bfloat16fLi5ELi32ELb0ELb0EEvPKT_PKfPKi31ggml_cuda_mm_fusion_args_devicePfi15HIP_vector_typeIjLj3EEiiiSB_iiiSB_iiii.has_recursion, 0
	.set _ZL13mul_mat_vec_fI14__hip_bfloat16fLi5ELi32ELb0ELb0EEvPKT_PKfPKi31ggml_cuda_mm_fusion_args_devicePfi15HIP_vector_typeIjLj3EEiiiSB_iiiSB_iiii.has_indirect_call, 0
	.section	.AMDGPU.csdata,"",@progbits
; Kernel info:
; codeLenInByte = 1376
; TotalNumSgprs: 38
; NumVgprs: 23
; ScratchSize: 0
; MemoryBound: 0
; FloatMode: 240
; IeeeMode: 1
; LDSByteSize: 0 bytes/workgroup (compile time only)
; SGPRBlocks: 0
; VGPRBlocks: 2
; NumSGPRsForWavesPerEU: 38
; NumVGPRsForWavesPerEU: 23
; Occupancy: 16
; WaveLimiterHint : 0
; COMPUTE_PGM_RSRC2:SCRATCH_EN: 0
; COMPUTE_PGM_RSRC2:USER_SGPR: 6
; COMPUTE_PGM_RSRC2:TRAP_HANDLER: 0
; COMPUTE_PGM_RSRC2:TGID_X_EN: 1
; COMPUTE_PGM_RSRC2:TGID_Y_EN: 1
; COMPUTE_PGM_RSRC2:TGID_Z_EN: 1
; COMPUTE_PGM_RSRC2:TIDIG_COMP_CNT: 0
	.section	.text._ZL13mul_mat_vec_fI14__hip_bfloat16fLi5ELi64ELb0ELb0EEvPKT_PKfPKi31ggml_cuda_mm_fusion_args_devicePfi15HIP_vector_typeIjLj3EEiiiSB_iiiSB_iiii,"axG",@progbits,_ZL13mul_mat_vec_fI14__hip_bfloat16fLi5ELi64ELb0ELb0EEvPKT_PKfPKi31ggml_cuda_mm_fusion_args_devicePfi15HIP_vector_typeIjLj3EEiiiSB_iiiSB_iiii,comdat
	.globl	_ZL13mul_mat_vec_fI14__hip_bfloat16fLi5ELi64ELb0ELb0EEvPKT_PKfPKi31ggml_cuda_mm_fusion_args_devicePfi15HIP_vector_typeIjLj3EEiiiSB_iiiSB_iiii ; -- Begin function _ZL13mul_mat_vec_fI14__hip_bfloat16fLi5ELi64ELb0ELb0EEvPKT_PKfPKi31ggml_cuda_mm_fusion_args_devicePfi15HIP_vector_typeIjLj3EEiiiSB_iiiSB_iiii
	.p2align	8
	.type	_ZL13mul_mat_vec_fI14__hip_bfloat16fLi5ELi64ELb0ELb0EEvPKT_PKfPKi31ggml_cuda_mm_fusion_args_devicePfi15HIP_vector_typeIjLj3EEiiiSB_iiiSB_iiii,@function
_ZL13mul_mat_vec_fI14__hip_bfloat16fLi5ELi64ELb0ELb0EEvPKT_PKfPKi31ggml_cuda_mm_fusion_args_devicePfi15HIP_vector_typeIjLj3EEiiiSB_iiiSB_iiii: ; @_ZL13mul_mat_vec_fI14__hip_bfloat16fLi5ELi64ELb0ELb0EEvPKT_PKfPKi31ggml_cuda_mm_fusion_args_devicePfi15HIP_vector_typeIjLj3EEiiiSB_iiiSB_iiii
; %bb.0:
	s_clause 0x2
	s_load_dwordx2 s[0:1], s[4:5], 0x10
	s_load_dwordx8 s[12:19], s[4:5], 0x40
	s_load_dwordx4 s[20:23], s[4:5], 0x80
	s_waitcnt lgkmcnt(0)
	s_cmp_eq_u64 s[0:1], 0
	s_cselect_b32 s10, -1, 0
	s_cmp_lg_u64 s[0:1], 0
	s_cselect_b32 s11, -1, 0
	s_and_b32 vcc_lo, exec_lo, s10
	s_cbranch_vccnz .LBB321_2
; %bb.1:
	s_mul_i32 s2, s23, s8
	s_mov_b32 s3, 0
	s_add_i32 s2, s2, s7
	s_lshl_b64 s[24:25], s[2:3], 2
	s_add_u32 s0, s0, s24
	s_addc_u32 s1, s1, s25
	s_load_dword s9, s[0:1], 0x0
	s_cbranch_execz .LBB321_3
	s_branch .LBB321_4
.LBB321_2:
                                        ; implicit-def: $sgpr9
.LBB321_3:
	s_load_dwordx2 s[0:1], s[4:5], 0x5c
	s_waitcnt lgkmcnt(0)
	s_mul_hi_u32 s0, s0, s7
	s_add_i32 s0, s7, s0
	s_lshr_b32 s9, s0, s1
.LBB321_4:
	s_load_dwordx4 s[24:27], s[4:5], 0x68
	s_andn2_b32 vcc_lo, exec_lo, s11
	s_mov_b32 s19, s7
	s_cbranch_vccnz .LBB321_6
; %bb.5:
	s_mul_hi_u32 s0, s13, s7
	s_add_i32 s0, s7, s0
	s_lshr_b32 s0, s0, s14
	s_mul_i32 s0, s0, s15
	s_sub_i32 s19, s7, s0
.LBB321_6:
	s_load_dword s14, s[4:5], 0x78
	v_cmp_gt_u32_e32 vcc_lo, 32, v0
	v_lshl_add_u32 v5, v0, 2, 0
	s_and_saveexec_b32 s0, vcc_lo
; %bb.7:
	v_mov_b32_e32 v1, 0
	ds_write_b32 v5, v1
; %bb.8:
	s_or_b32 exec_lo, exec_lo, s0
	v_mov_b32_e32 v6, 0
	v_mov_b32_e32 v7, 0
	;; [unrolled: 1-line block ×5, first 2 shown]
	s_and_b32 s0, exec_lo, s10
	s_mov_b32 s11, 0
	s_cselect_b32 s10, s8, 0
	s_mov_b32 s13, exec_lo
	s_waitcnt lgkmcnt(0)
	s_barrier
	buffer_gl0_inv
	v_cmpx_gt_i32_e64 s12, v0
	s_cbranch_execz .LBB321_12
; %bb.9:
	s_load_dwordx4 s[0:3], s[4:5], 0x0
	s_mul_hi_u32 s15, s27, s10
	s_mul_hi_i32 s29, s21, s10
	s_mul_i32 s28, s21, s10
	s_mul_i32 s8, s9, s24
	;; [unrolled: 1-line block ×4, first 2 shown]
	s_add_i32 s15, s10, s15
	s_lshl_b64 s[28:29], s[28:29], 2
	s_ashr_i32 s9, s8, 31
	s_ashr_i32 s25, s24, 31
	;; [unrolled: 1-line block ×3, first 2 shown]
	s_lshr_b32 s14, s15, s14
	s_mov_b32 s34, s17
	s_mul_hi_i32 s21, s14, s20
	s_mul_i32 s20, s14, s20
	v_lshlrev_b32_e32 v2, 3, v0
	v_lshlrev_b32_e32 v1, 2, v0
	v_mov_b32_e32 v10, 0
	v_mov_b32_e32 v11, v0
	s_waitcnt lgkmcnt(0)
	s_add_u32 s15, s2, s28
	s_addc_u32 s16, s3, s29
	s_lshl_b64 s[30:31], s[30:31], 2
	v_mov_b32_e32 v9, 0
	s_add_u32 s14, s15, s30
	s_addc_u32 s15, s16, s31
	s_lshl_b64 s[8:9], s[8:9], 1
	s_ashr_i32 s35, s17, 31
	s_add_i32 s16, s17, s17
	s_lshl_b32 s19, s17, 2
	s_lshl_b64 s[20:21], s[20:21], 1
	s_lshl_b64 s[24:25], s[24:25], 1
	s_add_u32 s0, s0, s8
	s_addc_u32 s1, s1, s9
	s_add_u32 s0, s0, s24
	s_addc_u32 s1, s1, s25
	;; [unrolled: 2-line block ×3, first 2 shown]
	s_lshl_b64 s[8:9], s[34:35], 3
	s_add_u32 s2, s2, s30
	s_addc_u32 s3, s3, s31
	s_add_u32 s2, s2, s28
	s_addc_u32 s3, s3, s29
	v_add_co_u32 v3, s2, s2, v2
	v_add_co_ci_u32_e64 v4, null, s3, 0, s2
	v_add_co_u32 v1, s0, s0, v1
	v_add_co_ci_u32_e64 v2, null, s1, 0, s0
	;; [unrolled: 2-line block ×3, first 2 shown]
	v_mov_b32_e32 v8, 0
	v_mov_b32_e32 v7, 0
	;; [unrolled: 1-line block ×3, first 2 shown]
	s_mul_i32 s1, s17, 3
.LBB321_10:                             ; =>This Inner Loop Header: Depth=1
	v_add_nc_u32_e32 v12, s16, v11
	v_add_nc_u32_e32 v16, s1, v11
	;; [unrolled: 1-line block ×3, first 2 shown]
	v_add_co_u32 v14, s0, v3, s8
	v_ashrrev_i32_e32 v13, 31, v12
	v_ashrrev_i32_e32 v17, 31, v16
	;; [unrolled: 1-line block ×3, first 2 shown]
	v_add_co_ci_u32_e64 v15, null, s9, v4, s0
	v_lshlrev_b64 v[12:13], 3, v[12:13]
	v_lshlrev_b64 v[16:17], 3, v[16:17]
	;; [unrolled: 1-line block ×3, first 2 shown]
	global_load_dword v22, v[1:2], off
	v_add_nc_u32_e32 v11, 64, v11
	v_add_co_u32 v12, s0, s14, v12
	v_add_co_ci_u32_e64 v13, null, s15, v13, s0
	v_add_co_u32 v16, s0, s14, v16
	v_add_co_ci_u32_e64 v17, null, s15, v17, s0
	;; [unrolled: 2-line block ×3, first 2 shown]
	s_clause 0x1
	global_load_dwordx2 v[20:21], v[3:4], off offset:-4
	global_load_dwordx2 v[14:15], v[14:15], off offset:-4
	s_clause 0x2
	global_load_dwordx2 v[12:13], v[12:13], off
	global_load_dwordx2 v[16:17], v[16:17], off
	global_load_dwordx2 v[18:19], v[18:19], off
	v_add_co_u32 v1, s0, 0x100, v1
	v_add_co_ci_u32_e64 v2, null, 0, v2, s0
	v_add_co_u32 v3, s0, 0x200, v3
	v_add_co_ci_u32_e64 v4, null, 0, v4, s0
	v_cmp_le_i32_e64 s0, s12, v11
	s_or_b32 s11, s0, s11
	s_waitcnt vmcnt(5)
	v_lshlrev_b32_e32 v23, 16, v22
	v_and_b32_e32 v22, 0xffff0000, v22
	s_waitcnt vmcnt(4)
	v_fmac_f32_e32 v10, v20, v23
	s_waitcnt vmcnt(3)
	v_fmac_f32_e32 v9, v14, v23
	;; [unrolled: 2-line block ×5, first 2 shown]
	v_fmac_f32_e32 v10, v21, v22
	v_fmac_f32_e32 v9, v15, v22
	;; [unrolled: 1-line block ×5, first 2 shown]
	s_andn2_b32 exec_lo, exec_lo, s11
	s_cbranch_execnz .LBB321_10
; %bb.11:
	s_or_b32 exec_lo, exec_lo, s11
.LBB321_12:
	s_or_b32 exec_lo, exec_lo, s13
	v_mbcnt_lo_u32_b32 v2, -1, 0
	v_xor_b32_e32 v1, 16, v2
	v_xor_b32_e32 v3, 8, v2
	v_cmp_gt_i32_e64 s0, 32, v1
	v_cndmask_b32_e64 v1, v2, v1, s0
	v_cmp_gt_i32_e64 s0, 32, v3
	v_lshlrev_b32_e32 v1, 2, v1
	v_cndmask_b32_e64 v3, v2, v3, s0
	ds_bpermute_b32 v4, v1, v10
	v_lshlrev_b32_e32 v3, 2, v3
	s_waitcnt lgkmcnt(0)
	v_add_f32_e32 v10, v10, v4
	v_xor_b32_e32 v4, 4, v2
	ds_bpermute_b32 v11, v3, v10
	v_cmp_gt_i32_e64 s0, 32, v4
	v_cndmask_b32_e64 v4, v2, v4, s0
	v_lshlrev_b32_e32 v4, 2, v4
	s_waitcnt lgkmcnt(0)
	v_add_f32_e32 v11, v10, v11
	v_xor_b32_e32 v10, 2, v2
	ds_bpermute_b32 v12, v4, v11
	v_cmp_gt_i32_e64 s0, 32, v10
	v_cndmask_b32_e64 v10, v2, v10, s0
	;; [unrolled: 7-line block ×3, first 2 shown]
	v_lshlrev_b32_e32 v11, 2, v2
	s_waitcnt lgkmcnt(0)
	v_add_f32_e32 v2, v12, v13
	v_lshrrev_b32_e32 v12, 3, v0
	ds_bpermute_b32 v13, v11, v2
	v_and_b32_e32 v12, 0x7c, v12
	v_add_nc_u32_e32 v12, 0, v12
	s_waitcnt lgkmcnt(0)
	v_add_f32_e32 v2, v2, v13
	ds_write_b32 v12, v2
	s_waitcnt lgkmcnt(0)
	s_barrier
	buffer_gl0_inv
	s_and_saveexec_b32 s0, vcc_lo
	s_cbranch_execz .LBB321_14
; %bb.13:
	ds_read_b32 v2, v5
	s_waitcnt lgkmcnt(0)
	ds_bpermute_b32 v13, v1, v2
	s_waitcnt lgkmcnt(0)
	v_add_f32_e32 v2, v2, v13
	ds_bpermute_b32 v13, v3, v2
	s_waitcnt lgkmcnt(0)
	v_add_f32_e32 v2, v2, v13
	ds_bpermute_b32 v13, v4, v2
	s_waitcnt lgkmcnt(0)
	v_add_f32_e32 v2, v2, v13
	ds_bpermute_b32 v13, v10, v2
	s_waitcnt lgkmcnt(0)
	v_add_f32_e32 v2, v2, v13
	ds_bpermute_b32 v13, v11, v2
	s_waitcnt lgkmcnt(0)
	v_add_f32_e32 v2, v2, v13
.LBB321_14:
	s_or_b32 exec_lo, exec_lo, s0
	ds_bpermute_b32 v13, v1, v9
	s_waitcnt lgkmcnt(0)
	s_barrier
	buffer_gl0_inv
	v_add_f32_e32 v9, v9, v13
	ds_bpermute_b32 v13, v3, v9
	s_waitcnt lgkmcnt(0)
	v_add_f32_e32 v9, v9, v13
	ds_bpermute_b32 v13, v4, v9
	s_waitcnt lgkmcnt(0)
	v_add_f32_e32 v9, v9, v13
	ds_bpermute_b32 v13, v10, v9
	s_waitcnt lgkmcnt(0)
	v_add_f32_e32 v9, v9, v13
	ds_bpermute_b32 v13, v11, v9
	s_waitcnt lgkmcnt(0)
	v_add_f32_e32 v9, v9, v13
	ds_write_b32 v12, v9
	s_waitcnt lgkmcnt(0)
	s_barrier
	buffer_gl0_inv
	s_and_saveexec_b32 s0, vcc_lo
	s_cbranch_execz .LBB321_16
; %bb.15:
	ds_read_b32 v9, v5
	s_waitcnt lgkmcnt(0)
	ds_bpermute_b32 v13, v1, v9
	s_waitcnt lgkmcnt(0)
	v_add_f32_e32 v9, v9, v13
	ds_bpermute_b32 v13, v3, v9
	s_waitcnt lgkmcnt(0)
	v_add_f32_e32 v9, v9, v13
	ds_bpermute_b32 v13, v4, v9
	s_waitcnt lgkmcnt(0)
	v_add_f32_e32 v9, v9, v13
	ds_bpermute_b32 v13, v10, v9
	s_waitcnt lgkmcnt(0)
	v_add_f32_e32 v9, v9, v13
	ds_bpermute_b32 v13, v11, v9
	s_waitcnt lgkmcnt(0)
	v_add_f32_e32 v9, v9, v13
.LBB321_16:
	s_or_b32 exec_lo, exec_lo, s0
	ds_bpermute_b32 v13, v1, v8
	s_waitcnt lgkmcnt(0)
	s_barrier
	buffer_gl0_inv
	v_add_f32_e32 v8, v8, v13
	ds_bpermute_b32 v13, v3, v8
	s_waitcnt lgkmcnt(0)
	v_add_f32_e32 v8, v8, v13
	ds_bpermute_b32 v13, v4, v8
	s_waitcnt lgkmcnt(0)
	v_add_f32_e32 v8, v8, v13
	ds_bpermute_b32 v13, v10, v8
	s_waitcnt lgkmcnt(0)
	v_add_f32_e32 v8, v8, v13
	ds_bpermute_b32 v13, v11, v8
	;; [unrolled: 43-line block ×4, first 2 shown]
	s_waitcnt lgkmcnt(0)
	v_add_f32_e32 v6, v6, v13
	ds_write_b32 v12, v6
	s_waitcnt lgkmcnt(0)
	s_barrier
	buffer_gl0_inv
	s_and_saveexec_b32 s0, vcc_lo
	s_cbranch_execz .LBB321_22
; %bb.21:
	ds_read_b32 v5, v5
	s_waitcnt lgkmcnt(0)
	ds_bpermute_b32 v1, v1, v5
	s_waitcnt lgkmcnt(0)
	v_add_f32_e32 v1, v5, v1
	ds_bpermute_b32 v3, v3, v1
	s_waitcnt lgkmcnt(0)
	v_add_f32_e32 v1, v1, v3
	;; [unrolled: 3-line block ×5, first 2 shown]
.LBB321_22:
	s_or_b32 exec_lo, exec_lo, s0
	s_barrier
	buffer_gl0_inv
	s_mov_b32 s0, exec_lo
	v_cmpx_gt_u32_e32 5, v0
	s_cbranch_execz .LBB321_24
; %bb.23:
	s_load_dwordx2 s[0:1], s[4:5], 0x38
	v_cmp_eq_u32_e32 vcc_lo, 1, v0
	v_mad_u64_u32 v[3:4], null, s18, v0, s[6:7]
	s_mul_hi_i32 s3, s22, s10
	s_mul_i32 s2, s22, s10
	v_cndmask_b32_e32 v1, v2, v9, vcc_lo
	v_cmp_eq_u32_e32 vcc_lo, 2, v0
	s_mul_i32 s4, s26, s7
	s_lshl_b64 s[2:3], s[2:3], 2
	v_ashrrev_i32_e32 v4, 31, v3
	s_ashr_i32 s5, s4, 31
	v_cndmask_b32_e32 v1, v1, v8, vcc_lo
	v_cmp_eq_u32_e32 vcc_lo, 3, v0
	v_cndmask_b32_e32 v5, v1, v7, vcc_lo
	v_lshlrev_b64 v[1:2], 2, v[3:4]
	s_waitcnt lgkmcnt(0)
	s_add_u32 s2, s0, s2
	v_cmp_eq_u32_e32 vcc_lo, 4, v0
	s_addc_u32 s3, s1, s3
	s_lshl_b64 s[0:1], s[4:5], 2
	s_add_u32 s0, s2, s0
	v_cndmask_b32_e32 v3, v5, v6, vcc_lo
	s_addc_u32 s1, s3, s1
	v_add_co_u32 v0, vcc_lo, s0, v1
	v_add_co_ci_u32_e64 v1, null, s1, v2, vcc_lo
	global_store_dword v[0:1], v3, off
.LBB321_24:
	s_endpgm
	.section	.rodata,"a",@progbits
	.p2align	6, 0x0
	.amdhsa_kernel _ZL13mul_mat_vec_fI14__hip_bfloat16fLi5ELi64ELb0ELb0EEvPKT_PKfPKi31ggml_cuda_mm_fusion_args_devicePfi15HIP_vector_typeIjLj3EEiiiSB_iiiSB_iiii
		.amdhsa_group_segment_fixed_size 0
		.amdhsa_private_segment_fixed_size 0
		.amdhsa_kernarg_size 144
		.amdhsa_user_sgpr_count 6
		.amdhsa_user_sgpr_private_segment_buffer 1
		.amdhsa_user_sgpr_dispatch_ptr 0
		.amdhsa_user_sgpr_queue_ptr 0
		.amdhsa_user_sgpr_kernarg_segment_ptr 1
		.amdhsa_user_sgpr_dispatch_id 0
		.amdhsa_user_sgpr_flat_scratch_init 0
		.amdhsa_user_sgpr_private_segment_size 0
		.amdhsa_wavefront_size32 1
		.amdhsa_uses_dynamic_stack 0
		.amdhsa_system_sgpr_private_segment_wavefront_offset 0
		.amdhsa_system_sgpr_workgroup_id_x 1
		.amdhsa_system_sgpr_workgroup_id_y 1
		.amdhsa_system_sgpr_workgroup_id_z 1
		.amdhsa_system_sgpr_workgroup_info 0
		.amdhsa_system_vgpr_workitem_id 0
		.amdhsa_next_free_vgpr 24
		.amdhsa_next_free_sgpr 36
		.amdhsa_reserve_vcc 1
		.amdhsa_reserve_flat_scratch 0
		.amdhsa_float_round_mode_32 0
		.amdhsa_float_round_mode_16_64 0
		.amdhsa_float_denorm_mode_32 3
		.amdhsa_float_denorm_mode_16_64 3
		.amdhsa_dx10_clamp 1
		.amdhsa_ieee_mode 1
		.amdhsa_fp16_overflow 0
		.amdhsa_workgroup_processor_mode 1
		.amdhsa_memory_ordered 1
		.amdhsa_forward_progress 1
		.amdhsa_shared_vgpr_count 0
		.amdhsa_exception_fp_ieee_invalid_op 0
		.amdhsa_exception_fp_denorm_src 0
		.amdhsa_exception_fp_ieee_div_zero 0
		.amdhsa_exception_fp_ieee_overflow 0
		.amdhsa_exception_fp_ieee_underflow 0
		.amdhsa_exception_fp_ieee_inexact 0
		.amdhsa_exception_int_div_zero 0
	.end_amdhsa_kernel
	.section	.text._ZL13mul_mat_vec_fI14__hip_bfloat16fLi5ELi64ELb0ELb0EEvPKT_PKfPKi31ggml_cuda_mm_fusion_args_devicePfi15HIP_vector_typeIjLj3EEiiiSB_iiiSB_iiii,"axG",@progbits,_ZL13mul_mat_vec_fI14__hip_bfloat16fLi5ELi64ELb0ELb0EEvPKT_PKfPKi31ggml_cuda_mm_fusion_args_devicePfi15HIP_vector_typeIjLj3EEiiiSB_iiiSB_iiii,comdat
.Lfunc_end321:
	.size	_ZL13mul_mat_vec_fI14__hip_bfloat16fLi5ELi64ELb0ELb0EEvPKT_PKfPKi31ggml_cuda_mm_fusion_args_devicePfi15HIP_vector_typeIjLj3EEiiiSB_iiiSB_iiii, .Lfunc_end321-_ZL13mul_mat_vec_fI14__hip_bfloat16fLi5ELi64ELb0ELb0EEvPKT_PKfPKi31ggml_cuda_mm_fusion_args_devicePfi15HIP_vector_typeIjLj3EEiiiSB_iiiSB_iiii
                                        ; -- End function
	.set _ZL13mul_mat_vec_fI14__hip_bfloat16fLi5ELi64ELb0ELb0EEvPKT_PKfPKi31ggml_cuda_mm_fusion_args_devicePfi15HIP_vector_typeIjLj3EEiiiSB_iiiSB_iiii.num_vgpr, 24
	.set _ZL13mul_mat_vec_fI14__hip_bfloat16fLi5ELi64ELb0ELb0EEvPKT_PKfPKi31ggml_cuda_mm_fusion_args_devicePfi15HIP_vector_typeIjLj3EEiiiSB_iiiSB_iiii.num_agpr, 0
	.set _ZL13mul_mat_vec_fI14__hip_bfloat16fLi5ELi64ELb0ELb0EEvPKT_PKfPKi31ggml_cuda_mm_fusion_args_devicePfi15HIP_vector_typeIjLj3EEiiiSB_iiiSB_iiii.numbered_sgpr, 36
	.set _ZL13mul_mat_vec_fI14__hip_bfloat16fLi5ELi64ELb0ELb0EEvPKT_PKfPKi31ggml_cuda_mm_fusion_args_devicePfi15HIP_vector_typeIjLj3EEiiiSB_iiiSB_iiii.num_named_barrier, 0
	.set _ZL13mul_mat_vec_fI14__hip_bfloat16fLi5ELi64ELb0ELb0EEvPKT_PKfPKi31ggml_cuda_mm_fusion_args_devicePfi15HIP_vector_typeIjLj3EEiiiSB_iiiSB_iiii.private_seg_size, 0
	.set _ZL13mul_mat_vec_fI14__hip_bfloat16fLi5ELi64ELb0ELb0EEvPKT_PKfPKi31ggml_cuda_mm_fusion_args_devicePfi15HIP_vector_typeIjLj3EEiiiSB_iiiSB_iiii.uses_vcc, 1
	.set _ZL13mul_mat_vec_fI14__hip_bfloat16fLi5ELi64ELb0ELb0EEvPKT_PKfPKi31ggml_cuda_mm_fusion_args_devicePfi15HIP_vector_typeIjLj3EEiiiSB_iiiSB_iiii.uses_flat_scratch, 0
	.set _ZL13mul_mat_vec_fI14__hip_bfloat16fLi5ELi64ELb0ELb0EEvPKT_PKfPKi31ggml_cuda_mm_fusion_args_devicePfi15HIP_vector_typeIjLj3EEiiiSB_iiiSB_iiii.has_dyn_sized_stack, 0
	.set _ZL13mul_mat_vec_fI14__hip_bfloat16fLi5ELi64ELb0ELb0EEvPKT_PKfPKi31ggml_cuda_mm_fusion_args_devicePfi15HIP_vector_typeIjLj3EEiiiSB_iiiSB_iiii.has_recursion, 0
	.set _ZL13mul_mat_vec_fI14__hip_bfloat16fLi5ELi64ELb0ELb0EEvPKT_PKfPKi31ggml_cuda_mm_fusion_args_devicePfi15HIP_vector_typeIjLj3EEiiiSB_iiiSB_iiii.has_indirect_call, 0
	.section	.AMDGPU.csdata,"",@progbits
; Kernel info:
; codeLenInByte = 2212
; TotalNumSgprs: 38
; NumVgprs: 24
; ScratchSize: 0
; MemoryBound: 0
; FloatMode: 240
; IeeeMode: 1
; LDSByteSize: 0 bytes/workgroup (compile time only)
; SGPRBlocks: 0
; VGPRBlocks: 2
; NumSGPRsForWavesPerEU: 38
; NumVGPRsForWavesPerEU: 24
; Occupancy: 16
; WaveLimiterHint : 0
; COMPUTE_PGM_RSRC2:SCRATCH_EN: 0
; COMPUTE_PGM_RSRC2:USER_SGPR: 6
; COMPUTE_PGM_RSRC2:TRAP_HANDLER: 0
; COMPUTE_PGM_RSRC2:TGID_X_EN: 1
; COMPUTE_PGM_RSRC2:TGID_Y_EN: 1
; COMPUTE_PGM_RSRC2:TGID_Z_EN: 1
; COMPUTE_PGM_RSRC2:TIDIG_COMP_CNT: 0
	.section	.text._ZL13mul_mat_vec_fI14__hip_bfloat16fLi5ELi96ELb0ELb0EEvPKT_PKfPKi31ggml_cuda_mm_fusion_args_devicePfi15HIP_vector_typeIjLj3EEiiiSB_iiiSB_iiii,"axG",@progbits,_ZL13mul_mat_vec_fI14__hip_bfloat16fLi5ELi96ELb0ELb0EEvPKT_PKfPKi31ggml_cuda_mm_fusion_args_devicePfi15HIP_vector_typeIjLj3EEiiiSB_iiiSB_iiii,comdat
	.globl	_ZL13mul_mat_vec_fI14__hip_bfloat16fLi5ELi96ELb0ELb0EEvPKT_PKfPKi31ggml_cuda_mm_fusion_args_devicePfi15HIP_vector_typeIjLj3EEiiiSB_iiiSB_iiii ; -- Begin function _ZL13mul_mat_vec_fI14__hip_bfloat16fLi5ELi96ELb0ELb0EEvPKT_PKfPKi31ggml_cuda_mm_fusion_args_devicePfi15HIP_vector_typeIjLj3EEiiiSB_iiiSB_iiii
	.p2align	8
	.type	_ZL13mul_mat_vec_fI14__hip_bfloat16fLi5ELi96ELb0ELb0EEvPKT_PKfPKi31ggml_cuda_mm_fusion_args_devicePfi15HIP_vector_typeIjLj3EEiiiSB_iiiSB_iiii,@function
_ZL13mul_mat_vec_fI14__hip_bfloat16fLi5ELi96ELb0ELb0EEvPKT_PKfPKi31ggml_cuda_mm_fusion_args_devicePfi15HIP_vector_typeIjLj3EEiiiSB_iiiSB_iiii: ; @_ZL13mul_mat_vec_fI14__hip_bfloat16fLi5ELi96ELb0ELb0EEvPKT_PKfPKi31ggml_cuda_mm_fusion_args_devicePfi15HIP_vector_typeIjLj3EEiiiSB_iiiSB_iiii
; %bb.0:
	s_clause 0x2
	s_load_dwordx2 s[0:1], s[4:5], 0x10
	s_load_dwordx8 s[12:19], s[4:5], 0x40
	s_load_dwordx4 s[20:23], s[4:5], 0x80
	s_waitcnt lgkmcnt(0)
	s_cmp_eq_u64 s[0:1], 0
	s_cselect_b32 s10, -1, 0
	s_cmp_lg_u64 s[0:1], 0
	s_cselect_b32 s11, -1, 0
	s_and_b32 vcc_lo, exec_lo, s10
	s_cbranch_vccnz .LBB322_2
; %bb.1:
	s_mul_i32 s2, s23, s8
	s_mov_b32 s3, 0
	s_add_i32 s2, s2, s7
	s_lshl_b64 s[24:25], s[2:3], 2
	s_add_u32 s0, s0, s24
	s_addc_u32 s1, s1, s25
	s_load_dword s9, s[0:1], 0x0
	s_cbranch_execz .LBB322_3
	s_branch .LBB322_4
.LBB322_2:
                                        ; implicit-def: $sgpr9
.LBB322_3:
	s_load_dwordx2 s[0:1], s[4:5], 0x5c
	s_waitcnt lgkmcnt(0)
	s_mul_hi_u32 s0, s0, s7
	s_add_i32 s0, s7, s0
	s_lshr_b32 s9, s0, s1
.LBB322_4:
	s_load_dwordx4 s[24:27], s[4:5], 0x68
	s_andn2_b32 vcc_lo, exec_lo, s11
	s_mov_b32 s19, s7
	s_cbranch_vccnz .LBB322_6
; %bb.5:
	s_mul_hi_u32 s0, s13, s7
	s_add_i32 s0, s7, s0
	s_lshr_b32 s0, s0, s14
	s_mul_i32 s0, s0, s15
	s_sub_i32 s19, s7, s0
.LBB322_6:
	s_load_dword s14, s[4:5], 0x78
	v_cmp_gt_u32_e32 vcc_lo, 32, v0
	v_lshl_add_u32 v5, v0, 2, 0
	s_and_saveexec_b32 s0, vcc_lo
; %bb.7:
	v_mov_b32_e32 v1, 0
	ds_write_b32 v5, v1
; %bb.8:
	s_or_b32 exec_lo, exec_lo, s0
	v_mov_b32_e32 v6, 0
	v_mov_b32_e32 v7, 0
	;; [unrolled: 1-line block ×5, first 2 shown]
	s_and_b32 s0, exec_lo, s10
	s_mov_b32 s11, 0
	s_cselect_b32 s10, s8, 0
	s_mov_b32 s13, exec_lo
	s_waitcnt lgkmcnt(0)
	s_barrier
	buffer_gl0_inv
	v_cmpx_gt_i32_e64 s12, v0
	s_cbranch_execz .LBB322_12
; %bb.9:
	s_load_dwordx4 s[0:3], s[4:5], 0x0
	s_mul_hi_u32 s15, s27, s10
	s_mul_hi_i32 s29, s21, s10
	s_mul_i32 s28, s21, s10
	s_mul_i32 s8, s9, s24
	;; [unrolled: 1-line block ×4, first 2 shown]
	s_add_i32 s15, s10, s15
	s_lshl_b64 s[28:29], s[28:29], 2
	s_ashr_i32 s9, s8, 31
	s_ashr_i32 s25, s24, 31
	;; [unrolled: 1-line block ×3, first 2 shown]
	s_lshr_b32 s14, s15, s14
	s_mov_b32 s34, s17
	s_mul_hi_i32 s21, s14, s20
	s_mul_i32 s20, s14, s20
	v_lshlrev_b32_e32 v2, 3, v0
	v_lshlrev_b32_e32 v1, 2, v0
	v_mov_b32_e32 v10, 0
	v_mov_b32_e32 v11, v0
	s_waitcnt lgkmcnt(0)
	s_add_u32 s15, s2, s28
	s_addc_u32 s16, s3, s29
	s_lshl_b64 s[30:31], s[30:31], 2
	v_mov_b32_e32 v9, 0
	s_add_u32 s14, s15, s30
	s_addc_u32 s15, s16, s31
	s_lshl_b64 s[8:9], s[8:9], 1
	s_ashr_i32 s35, s17, 31
	s_add_i32 s16, s17, s17
	s_lshl_b32 s19, s17, 2
	s_lshl_b64 s[20:21], s[20:21], 1
	s_lshl_b64 s[24:25], s[24:25], 1
	s_add_u32 s0, s0, s8
	s_addc_u32 s1, s1, s9
	s_add_u32 s0, s0, s24
	s_addc_u32 s1, s1, s25
	;; [unrolled: 2-line block ×3, first 2 shown]
	s_lshl_b64 s[8:9], s[34:35], 3
	s_add_u32 s2, s2, s30
	s_addc_u32 s3, s3, s31
	s_add_u32 s2, s2, s28
	s_addc_u32 s3, s3, s29
	v_add_co_u32 v3, s2, s2, v2
	v_add_co_ci_u32_e64 v4, null, s3, 0, s2
	v_add_co_u32 v1, s0, s0, v1
	v_add_co_ci_u32_e64 v2, null, s1, 0, s0
	;; [unrolled: 2-line block ×3, first 2 shown]
	v_mov_b32_e32 v8, 0
	v_mov_b32_e32 v7, 0
	;; [unrolled: 1-line block ×3, first 2 shown]
	s_mul_i32 s1, s17, 3
.LBB322_10:                             ; =>This Inner Loop Header: Depth=1
	v_add_nc_u32_e32 v12, s16, v11
	v_add_nc_u32_e32 v16, s1, v11
	;; [unrolled: 1-line block ×3, first 2 shown]
	v_add_co_u32 v14, s0, v3, s8
	v_ashrrev_i32_e32 v13, 31, v12
	v_ashrrev_i32_e32 v17, 31, v16
	;; [unrolled: 1-line block ×3, first 2 shown]
	v_add_co_ci_u32_e64 v15, null, s9, v4, s0
	v_lshlrev_b64 v[12:13], 3, v[12:13]
	v_lshlrev_b64 v[16:17], 3, v[16:17]
	;; [unrolled: 1-line block ×3, first 2 shown]
	global_load_dword v22, v[1:2], off
	v_add_nc_u32_e32 v11, 0x60, v11
	v_add_co_u32 v12, s0, s14, v12
	v_add_co_ci_u32_e64 v13, null, s15, v13, s0
	v_add_co_u32 v16, s0, s14, v16
	v_add_co_ci_u32_e64 v17, null, s15, v17, s0
	;; [unrolled: 2-line block ×3, first 2 shown]
	s_clause 0x1
	global_load_dwordx2 v[20:21], v[3:4], off offset:-4
	global_load_dwordx2 v[14:15], v[14:15], off offset:-4
	s_clause 0x2
	global_load_dwordx2 v[12:13], v[12:13], off
	global_load_dwordx2 v[16:17], v[16:17], off
	;; [unrolled: 1-line block ×3, first 2 shown]
	v_add_co_u32 v1, s0, 0x180, v1
	v_add_co_ci_u32_e64 v2, null, 0, v2, s0
	v_add_co_u32 v3, s0, 0x300, v3
	v_add_co_ci_u32_e64 v4, null, 0, v4, s0
	v_cmp_le_i32_e64 s0, s12, v11
	s_or_b32 s11, s0, s11
	s_waitcnt vmcnt(5)
	v_lshlrev_b32_e32 v23, 16, v22
	v_and_b32_e32 v22, 0xffff0000, v22
	s_waitcnt vmcnt(4)
	v_fmac_f32_e32 v10, v20, v23
	s_waitcnt vmcnt(3)
	v_fmac_f32_e32 v9, v14, v23
	;; [unrolled: 2-line block ×5, first 2 shown]
	v_fmac_f32_e32 v10, v21, v22
	v_fmac_f32_e32 v9, v15, v22
	;; [unrolled: 1-line block ×5, first 2 shown]
	s_andn2_b32 exec_lo, exec_lo, s11
	s_cbranch_execnz .LBB322_10
; %bb.11:
	s_or_b32 exec_lo, exec_lo, s11
.LBB322_12:
	s_or_b32 exec_lo, exec_lo, s13
	v_mbcnt_lo_u32_b32 v2, -1, 0
	v_xor_b32_e32 v1, 16, v2
	v_xor_b32_e32 v3, 8, v2
	v_cmp_gt_i32_e64 s0, 32, v1
	v_cndmask_b32_e64 v1, v2, v1, s0
	v_cmp_gt_i32_e64 s0, 32, v3
	v_lshlrev_b32_e32 v1, 2, v1
	v_cndmask_b32_e64 v3, v2, v3, s0
	ds_bpermute_b32 v4, v1, v10
	v_lshlrev_b32_e32 v3, 2, v3
	s_waitcnt lgkmcnt(0)
	v_add_f32_e32 v10, v10, v4
	v_xor_b32_e32 v4, 4, v2
	ds_bpermute_b32 v11, v3, v10
	v_cmp_gt_i32_e64 s0, 32, v4
	v_cndmask_b32_e64 v4, v2, v4, s0
	v_lshlrev_b32_e32 v4, 2, v4
	s_waitcnt lgkmcnt(0)
	v_add_f32_e32 v11, v10, v11
	v_xor_b32_e32 v10, 2, v2
	ds_bpermute_b32 v12, v4, v11
	v_cmp_gt_i32_e64 s0, 32, v10
	v_cndmask_b32_e64 v10, v2, v10, s0
	v_lshlrev_b32_e32 v10, 2, v10
	s_waitcnt lgkmcnt(0)
	v_add_f32_e32 v12, v11, v12
	v_xor_b32_e32 v11, 1, v2
	ds_bpermute_b32 v13, v10, v12
	v_cmp_gt_i32_e64 s0, 32, v11
	v_cndmask_b32_e64 v2, v2, v11, s0
	v_lshlrev_b32_e32 v11, 2, v2
	s_waitcnt lgkmcnt(0)
	v_add_f32_e32 v2, v12, v13
	v_lshrrev_b32_e32 v12, 3, v0
	ds_bpermute_b32 v13, v11, v2
	v_and_b32_e32 v12, 0x7c, v12
	v_add_nc_u32_e32 v12, 0, v12
	s_waitcnt lgkmcnt(0)
	v_add_f32_e32 v2, v2, v13
	ds_write_b32 v12, v2
	s_waitcnt lgkmcnt(0)
	s_barrier
	buffer_gl0_inv
	s_and_saveexec_b32 s0, vcc_lo
	s_cbranch_execz .LBB322_14
; %bb.13:
	ds_read_b32 v2, v5
	s_waitcnt lgkmcnt(0)
	ds_bpermute_b32 v13, v1, v2
	s_waitcnt lgkmcnt(0)
	v_add_f32_e32 v2, v2, v13
	ds_bpermute_b32 v13, v3, v2
	s_waitcnt lgkmcnt(0)
	v_add_f32_e32 v2, v2, v13
	ds_bpermute_b32 v13, v4, v2
	s_waitcnt lgkmcnt(0)
	v_add_f32_e32 v2, v2, v13
	ds_bpermute_b32 v13, v10, v2
	s_waitcnt lgkmcnt(0)
	v_add_f32_e32 v2, v2, v13
	ds_bpermute_b32 v13, v11, v2
	s_waitcnt lgkmcnt(0)
	v_add_f32_e32 v2, v2, v13
.LBB322_14:
	s_or_b32 exec_lo, exec_lo, s0
	ds_bpermute_b32 v13, v1, v9
	s_waitcnt lgkmcnt(0)
	s_barrier
	buffer_gl0_inv
	v_add_f32_e32 v9, v9, v13
	ds_bpermute_b32 v13, v3, v9
	s_waitcnt lgkmcnt(0)
	v_add_f32_e32 v9, v9, v13
	ds_bpermute_b32 v13, v4, v9
	s_waitcnt lgkmcnt(0)
	v_add_f32_e32 v9, v9, v13
	ds_bpermute_b32 v13, v10, v9
	s_waitcnt lgkmcnt(0)
	v_add_f32_e32 v9, v9, v13
	ds_bpermute_b32 v13, v11, v9
	s_waitcnt lgkmcnt(0)
	v_add_f32_e32 v9, v9, v13
	ds_write_b32 v12, v9
	s_waitcnt lgkmcnt(0)
	s_barrier
	buffer_gl0_inv
	s_and_saveexec_b32 s0, vcc_lo
	s_cbranch_execz .LBB322_16
; %bb.15:
	ds_read_b32 v9, v5
	s_waitcnt lgkmcnt(0)
	ds_bpermute_b32 v13, v1, v9
	s_waitcnt lgkmcnt(0)
	v_add_f32_e32 v9, v9, v13
	ds_bpermute_b32 v13, v3, v9
	s_waitcnt lgkmcnt(0)
	v_add_f32_e32 v9, v9, v13
	ds_bpermute_b32 v13, v4, v9
	s_waitcnt lgkmcnt(0)
	v_add_f32_e32 v9, v9, v13
	ds_bpermute_b32 v13, v10, v9
	s_waitcnt lgkmcnt(0)
	v_add_f32_e32 v9, v9, v13
	ds_bpermute_b32 v13, v11, v9
	s_waitcnt lgkmcnt(0)
	v_add_f32_e32 v9, v9, v13
.LBB322_16:
	s_or_b32 exec_lo, exec_lo, s0
	ds_bpermute_b32 v13, v1, v8
	s_waitcnt lgkmcnt(0)
	s_barrier
	buffer_gl0_inv
	v_add_f32_e32 v8, v8, v13
	ds_bpermute_b32 v13, v3, v8
	s_waitcnt lgkmcnt(0)
	v_add_f32_e32 v8, v8, v13
	ds_bpermute_b32 v13, v4, v8
	s_waitcnt lgkmcnt(0)
	v_add_f32_e32 v8, v8, v13
	ds_bpermute_b32 v13, v10, v8
	s_waitcnt lgkmcnt(0)
	v_add_f32_e32 v8, v8, v13
	ds_bpermute_b32 v13, v11, v8
	;; [unrolled: 43-line block ×4, first 2 shown]
	s_waitcnt lgkmcnt(0)
	v_add_f32_e32 v6, v6, v13
	ds_write_b32 v12, v6
	s_waitcnt lgkmcnt(0)
	s_barrier
	buffer_gl0_inv
	s_and_saveexec_b32 s0, vcc_lo
	s_cbranch_execz .LBB322_22
; %bb.21:
	ds_read_b32 v5, v5
	s_waitcnt lgkmcnt(0)
	ds_bpermute_b32 v1, v1, v5
	s_waitcnt lgkmcnt(0)
	v_add_f32_e32 v1, v5, v1
	ds_bpermute_b32 v3, v3, v1
	s_waitcnt lgkmcnt(0)
	v_add_f32_e32 v1, v1, v3
	;; [unrolled: 3-line block ×5, first 2 shown]
.LBB322_22:
	s_or_b32 exec_lo, exec_lo, s0
	s_barrier
	buffer_gl0_inv
	s_mov_b32 s0, exec_lo
	v_cmpx_gt_u32_e32 5, v0
	s_cbranch_execz .LBB322_24
; %bb.23:
	s_load_dwordx2 s[0:1], s[4:5], 0x38
	v_cmp_eq_u32_e32 vcc_lo, 1, v0
	v_mad_u64_u32 v[3:4], null, s18, v0, s[6:7]
	s_mul_hi_i32 s3, s22, s10
	s_mul_i32 s2, s22, s10
	v_cndmask_b32_e32 v1, v2, v9, vcc_lo
	v_cmp_eq_u32_e32 vcc_lo, 2, v0
	s_mul_i32 s4, s26, s7
	s_lshl_b64 s[2:3], s[2:3], 2
	v_ashrrev_i32_e32 v4, 31, v3
	s_ashr_i32 s5, s4, 31
	v_cndmask_b32_e32 v1, v1, v8, vcc_lo
	v_cmp_eq_u32_e32 vcc_lo, 3, v0
	v_cndmask_b32_e32 v5, v1, v7, vcc_lo
	v_lshlrev_b64 v[1:2], 2, v[3:4]
	s_waitcnt lgkmcnt(0)
	s_add_u32 s2, s0, s2
	v_cmp_eq_u32_e32 vcc_lo, 4, v0
	s_addc_u32 s3, s1, s3
	s_lshl_b64 s[0:1], s[4:5], 2
	s_add_u32 s0, s2, s0
	v_cndmask_b32_e32 v3, v5, v6, vcc_lo
	s_addc_u32 s1, s3, s1
	v_add_co_u32 v0, vcc_lo, s0, v1
	v_add_co_ci_u32_e64 v1, null, s1, v2, vcc_lo
	global_store_dword v[0:1], v3, off
.LBB322_24:
	s_endpgm
	.section	.rodata,"a",@progbits
	.p2align	6, 0x0
	.amdhsa_kernel _ZL13mul_mat_vec_fI14__hip_bfloat16fLi5ELi96ELb0ELb0EEvPKT_PKfPKi31ggml_cuda_mm_fusion_args_devicePfi15HIP_vector_typeIjLj3EEiiiSB_iiiSB_iiii
		.amdhsa_group_segment_fixed_size 0
		.amdhsa_private_segment_fixed_size 0
		.amdhsa_kernarg_size 144
		.amdhsa_user_sgpr_count 6
		.amdhsa_user_sgpr_private_segment_buffer 1
		.amdhsa_user_sgpr_dispatch_ptr 0
		.amdhsa_user_sgpr_queue_ptr 0
		.amdhsa_user_sgpr_kernarg_segment_ptr 1
		.amdhsa_user_sgpr_dispatch_id 0
		.amdhsa_user_sgpr_flat_scratch_init 0
		.amdhsa_user_sgpr_private_segment_size 0
		.amdhsa_wavefront_size32 1
		.amdhsa_uses_dynamic_stack 0
		.amdhsa_system_sgpr_private_segment_wavefront_offset 0
		.amdhsa_system_sgpr_workgroup_id_x 1
		.amdhsa_system_sgpr_workgroup_id_y 1
		.amdhsa_system_sgpr_workgroup_id_z 1
		.amdhsa_system_sgpr_workgroup_info 0
		.amdhsa_system_vgpr_workitem_id 0
		.amdhsa_next_free_vgpr 24
		.amdhsa_next_free_sgpr 36
		.amdhsa_reserve_vcc 1
		.amdhsa_reserve_flat_scratch 0
		.amdhsa_float_round_mode_32 0
		.amdhsa_float_round_mode_16_64 0
		.amdhsa_float_denorm_mode_32 3
		.amdhsa_float_denorm_mode_16_64 3
		.amdhsa_dx10_clamp 1
		.amdhsa_ieee_mode 1
		.amdhsa_fp16_overflow 0
		.amdhsa_workgroup_processor_mode 1
		.amdhsa_memory_ordered 1
		.amdhsa_forward_progress 1
		.amdhsa_shared_vgpr_count 0
		.amdhsa_exception_fp_ieee_invalid_op 0
		.amdhsa_exception_fp_denorm_src 0
		.amdhsa_exception_fp_ieee_div_zero 0
		.amdhsa_exception_fp_ieee_overflow 0
		.amdhsa_exception_fp_ieee_underflow 0
		.amdhsa_exception_fp_ieee_inexact 0
		.amdhsa_exception_int_div_zero 0
	.end_amdhsa_kernel
	.section	.text._ZL13mul_mat_vec_fI14__hip_bfloat16fLi5ELi96ELb0ELb0EEvPKT_PKfPKi31ggml_cuda_mm_fusion_args_devicePfi15HIP_vector_typeIjLj3EEiiiSB_iiiSB_iiii,"axG",@progbits,_ZL13mul_mat_vec_fI14__hip_bfloat16fLi5ELi96ELb0ELb0EEvPKT_PKfPKi31ggml_cuda_mm_fusion_args_devicePfi15HIP_vector_typeIjLj3EEiiiSB_iiiSB_iiii,comdat
.Lfunc_end322:
	.size	_ZL13mul_mat_vec_fI14__hip_bfloat16fLi5ELi96ELb0ELb0EEvPKT_PKfPKi31ggml_cuda_mm_fusion_args_devicePfi15HIP_vector_typeIjLj3EEiiiSB_iiiSB_iiii, .Lfunc_end322-_ZL13mul_mat_vec_fI14__hip_bfloat16fLi5ELi96ELb0ELb0EEvPKT_PKfPKi31ggml_cuda_mm_fusion_args_devicePfi15HIP_vector_typeIjLj3EEiiiSB_iiiSB_iiii
                                        ; -- End function
	.set _ZL13mul_mat_vec_fI14__hip_bfloat16fLi5ELi96ELb0ELb0EEvPKT_PKfPKi31ggml_cuda_mm_fusion_args_devicePfi15HIP_vector_typeIjLj3EEiiiSB_iiiSB_iiii.num_vgpr, 24
	.set _ZL13mul_mat_vec_fI14__hip_bfloat16fLi5ELi96ELb0ELb0EEvPKT_PKfPKi31ggml_cuda_mm_fusion_args_devicePfi15HIP_vector_typeIjLj3EEiiiSB_iiiSB_iiii.num_agpr, 0
	.set _ZL13mul_mat_vec_fI14__hip_bfloat16fLi5ELi96ELb0ELb0EEvPKT_PKfPKi31ggml_cuda_mm_fusion_args_devicePfi15HIP_vector_typeIjLj3EEiiiSB_iiiSB_iiii.numbered_sgpr, 36
	.set _ZL13mul_mat_vec_fI14__hip_bfloat16fLi5ELi96ELb0ELb0EEvPKT_PKfPKi31ggml_cuda_mm_fusion_args_devicePfi15HIP_vector_typeIjLj3EEiiiSB_iiiSB_iiii.num_named_barrier, 0
	.set _ZL13mul_mat_vec_fI14__hip_bfloat16fLi5ELi96ELb0ELb0EEvPKT_PKfPKi31ggml_cuda_mm_fusion_args_devicePfi15HIP_vector_typeIjLj3EEiiiSB_iiiSB_iiii.private_seg_size, 0
	.set _ZL13mul_mat_vec_fI14__hip_bfloat16fLi5ELi96ELb0ELb0EEvPKT_PKfPKi31ggml_cuda_mm_fusion_args_devicePfi15HIP_vector_typeIjLj3EEiiiSB_iiiSB_iiii.uses_vcc, 1
	.set _ZL13mul_mat_vec_fI14__hip_bfloat16fLi5ELi96ELb0ELb0EEvPKT_PKfPKi31ggml_cuda_mm_fusion_args_devicePfi15HIP_vector_typeIjLj3EEiiiSB_iiiSB_iiii.uses_flat_scratch, 0
	.set _ZL13mul_mat_vec_fI14__hip_bfloat16fLi5ELi96ELb0ELb0EEvPKT_PKfPKi31ggml_cuda_mm_fusion_args_devicePfi15HIP_vector_typeIjLj3EEiiiSB_iiiSB_iiii.has_dyn_sized_stack, 0
	.set _ZL13mul_mat_vec_fI14__hip_bfloat16fLi5ELi96ELb0ELb0EEvPKT_PKfPKi31ggml_cuda_mm_fusion_args_devicePfi15HIP_vector_typeIjLj3EEiiiSB_iiiSB_iiii.has_recursion, 0
	.set _ZL13mul_mat_vec_fI14__hip_bfloat16fLi5ELi96ELb0ELb0EEvPKT_PKfPKi31ggml_cuda_mm_fusion_args_devicePfi15HIP_vector_typeIjLj3EEiiiSB_iiiSB_iiii.has_indirect_call, 0
	.section	.AMDGPU.csdata,"",@progbits
; Kernel info:
; codeLenInByte = 2216
; TotalNumSgprs: 38
; NumVgprs: 24
; ScratchSize: 0
; MemoryBound: 0
; FloatMode: 240
; IeeeMode: 1
; LDSByteSize: 0 bytes/workgroup (compile time only)
; SGPRBlocks: 0
; VGPRBlocks: 2
; NumSGPRsForWavesPerEU: 38
; NumVGPRsForWavesPerEU: 24
; Occupancy: 16
; WaveLimiterHint : 0
; COMPUTE_PGM_RSRC2:SCRATCH_EN: 0
; COMPUTE_PGM_RSRC2:USER_SGPR: 6
; COMPUTE_PGM_RSRC2:TRAP_HANDLER: 0
; COMPUTE_PGM_RSRC2:TGID_X_EN: 1
; COMPUTE_PGM_RSRC2:TGID_Y_EN: 1
; COMPUTE_PGM_RSRC2:TGID_Z_EN: 1
; COMPUTE_PGM_RSRC2:TIDIG_COMP_CNT: 0
	.section	.text._ZL13mul_mat_vec_fI14__hip_bfloat16fLi5ELi128ELb0ELb0EEvPKT_PKfPKi31ggml_cuda_mm_fusion_args_devicePfi15HIP_vector_typeIjLj3EEiiiSB_iiiSB_iiii,"axG",@progbits,_ZL13mul_mat_vec_fI14__hip_bfloat16fLi5ELi128ELb0ELb0EEvPKT_PKfPKi31ggml_cuda_mm_fusion_args_devicePfi15HIP_vector_typeIjLj3EEiiiSB_iiiSB_iiii,comdat
	.globl	_ZL13mul_mat_vec_fI14__hip_bfloat16fLi5ELi128ELb0ELb0EEvPKT_PKfPKi31ggml_cuda_mm_fusion_args_devicePfi15HIP_vector_typeIjLj3EEiiiSB_iiiSB_iiii ; -- Begin function _ZL13mul_mat_vec_fI14__hip_bfloat16fLi5ELi128ELb0ELb0EEvPKT_PKfPKi31ggml_cuda_mm_fusion_args_devicePfi15HIP_vector_typeIjLj3EEiiiSB_iiiSB_iiii
	.p2align	8
	.type	_ZL13mul_mat_vec_fI14__hip_bfloat16fLi5ELi128ELb0ELb0EEvPKT_PKfPKi31ggml_cuda_mm_fusion_args_devicePfi15HIP_vector_typeIjLj3EEiiiSB_iiiSB_iiii,@function
_ZL13mul_mat_vec_fI14__hip_bfloat16fLi5ELi128ELb0ELb0EEvPKT_PKfPKi31ggml_cuda_mm_fusion_args_devicePfi15HIP_vector_typeIjLj3EEiiiSB_iiiSB_iiii: ; @_ZL13mul_mat_vec_fI14__hip_bfloat16fLi5ELi128ELb0ELb0EEvPKT_PKfPKi31ggml_cuda_mm_fusion_args_devicePfi15HIP_vector_typeIjLj3EEiiiSB_iiiSB_iiii
; %bb.0:
	s_clause 0x2
	s_load_dwordx2 s[0:1], s[4:5], 0x10
	s_load_dwordx8 s[12:19], s[4:5], 0x40
	s_load_dwordx4 s[20:23], s[4:5], 0x80
	s_waitcnt lgkmcnt(0)
	s_cmp_eq_u64 s[0:1], 0
	s_cselect_b32 s10, -1, 0
	s_cmp_lg_u64 s[0:1], 0
	s_cselect_b32 s11, -1, 0
	s_and_b32 vcc_lo, exec_lo, s10
	s_cbranch_vccnz .LBB323_2
; %bb.1:
	s_mul_i32 s2, s23, s8
	s_mov_b32 s3, 0
	s_add_i32 s2, s2, s7
	s_lshl_b64 s[24:25], s[2:3], 2
	s_add_u32 s0, s0, s24
	s_addc_u32 s1, s1, s25
	s_load_dword s9, s[0:1], 0x0
	s_cbranch_execz .LBB323_3
	s_branch .LBB323_4
.LBB323_2:
                                        ; implicit-def: $sgpr9
.LBB323_3:
	s_load_dwordx2 s[0:1], s[4:5], 0x5c
	s_waitcnt lgkmcnt(0)
	s_mul_hi_u32 s0, s0, s7
	s_add_i32 s0, s7, s0
	s_lshr_b32 s9, s0, s1
.LBB323_4:
	s_load_dwordx4 s[24:27], s[4:5], 0x68
	s_andn2_b32 vcc_lo, exec_lo, s11
	s_mov_b32 s19, s7
	s_cbranch_vccnz .LBB323_6
; %bb.5:
	s_mul_hi_u32 s0, s13, s7
	s_add_i32 s0, s7, s0
	s_lshr_b32 s0, s0, s14
	s_mul_i32 s0, s0, s15
	s_sub_i32 s19, s7, s0
.LBB323_6:
	s_load_dword s14, s[4:5], 0x78
	v_cmp_gt_u32_e32 vcc_lo, 32, v0
	v_lshl_add_u32 v5, v0, 2, 0
	s_and_saveexec_b32 s0, vcc_lo
; %bb.7:
	v_mov_b32_e32 v1, 0
	ds_write_b32 v5, v1
; %bb.8:
	s_or_b32 exec_lo, exec_lo, s0
	v_mov_b32_e32 v6, 0
	v_mov_b32_e32 v7, 0
	;; [unrolled: 1-line block ×5, first 2 shown]
	s_and_b32 s0, exec_lo, s10
	s_mov_b32 s11, 0
	s_cselect_b32 s10, s8, 0
	s_mov_b32 s13, exec_lo
	s_waitcnt lgkmcnt(0)
	s_barrier
	buffer_gl0_inv
	v_cmpx_gt_i32_e64 s12, v0
	s_cbranch_execz .LBB323_12
; %bb.9:
	s_load_dwordx4 s[0:3], s[4:5], 0x0
	s_mul_hi_u32 s15, s27, s10
	s_mul_hi_i32 s29, s21, s10
	s_mul_i32 s28, s21, s10
	s_mul_i32 s8, s9, s24
	;; [unrolled: 1-line block ×4, first 2 shown]
	s_add_i32 s15, s10, s15
	s_lshl_b64 s[28:29], s[28:29], 2
	s_ashr_i32 s9, s8, 31
	s_ashr_i32 s25, s24, 31
	;; [unrolled: 1-line block ×3, first 2 shown]
	s_lshr_b32 s14, s15, s14
	s_mov_b32 s34, s17
	s_mul_hi_i32 s21, s14, s20
	s_mul_i32 s20, s14, s20
	v_lshlrev_b32_e32 v2, 3, v0
	v_lshlrev_b32_e32 v1, 2, v0
	v_mov_b32_e32 v10, 0
	v_mov_b32_e32 v11, v0
	s_waitcnt lgkmcnt(0)
	s_add_u32 s15, s2, s28
	s_addc_u32 s16, s3, s29
	s_lshl_b64 s[30:31], s[30:31], 2
	v_mov_b32_e32 v9, 0
	s_add_u32 s14, s15, s30
	s_addc_u32 s15, s16, s31
	s_lshl_b64 s[8:9], s[8:9], 1
	s_ashr_i32 s35, s17, 31
	s_add_i32 s16, s17, s17
	s_lshl_b32 s19, s17, 2
	s_lshl_b64 s[20:21], s[20:21], 1
	s_lshl_b64 s[24:25], s[24:25], 1
	s_add_u32 s0, s0, s8
	s_addc_u32 s1, s1, s9
	s_add_u32 s0, s0, s24
	s_addc_u32 s1, s1, s25
	;; [unrolled: 2-line block ×3, first 2 shown]
	s_lshl_b64 s[8:9], s[34:35], 3
	s_add_u32 s2, s2, s30
	s_addc_u32 s3, s3, s31
	s_add_u32 s2, s2, s28
	s_addc_u32 s3, s3, s29
	v_add_co_u32 v3, s2, s2, v2
	v_add_co_ci_u32_e64 v4, null, s3, 0, s2
	v_add_co_u32 v1, s0, s0, v1
	v_add_co_ci_u32_e64 v2, null, s1, 0, s0
	;; [unrolled: 2-line block ×3, first 2 shown]
	v_mov_b32_e32 v8, 0
	v_mov_b32_e32 v7, 0
	;; [unrolled: 1-line block ×3, first 2 shown]
	s_mul_i32 s1, s17, 3
.LBB323_10:                             ; =>This Inner Loop Header: Depth=1
	v_add_nc_u32_e32 v12, s16, v11
	v_add_nc_u32_e32 v16, s1, v11
	;; [unrolled: 1-line block ×3, first 2 shown]
	v_add_co_u32 v14, s0, v3, s8
	v_ashrrev_i32_e32 v13, 31, v12
	v_ashrrev_i32_e32 v17, 31, v16
	;; [unrolled: 1-line block ×3, first 2 shown]
	v_add_co_ci_u32_e64 v15, null, s9, v4, s0
	v_lshlrev_b64 v[12:13], 3, v[12:13]
	v_lshlrev_b64 v[16:17], 3, v[16:17]
	;; [unrolled: 1-line block ×3, first 2 shown]
	global_load_dword v22, v[1:2], off
	v_add_nc_u32_e32 v11, 0x80, v11
	v_add_co_u32 v12, s0, s14, v12
	v_add_co_ci_u32_e64 v13, null, s15, v13, s0
	v_add_co_u32 v16, s0, s14, v16
	v_add_co_ci_u32_e64 v17, null, s15, v17, s0
	;; [unrolled: 2-line block ×3, first 2 shown]
	s_clause 0x1
	global_load_dwordx2 v[20:21], v[3:4], off offset:-4
	global_load_dwordx2 v[14:15], v[14:15], off offset:-4
	s_clause 0x2
	global_load_dwordx2 v[12:13], v[12:13], off
	global_load_dwordx2 v[16:17], v[16:17], off
	global_load_dwordx2 v[18:19], v[18:19], off
	v_add_co_u32 v1, s0, 0x200, v1
	v_add_co_ci_u32_e64 v2, null, 0, v2, s0
	v_add_co_u32 v3, s0, 0x400, v3
	v_add_co_ci_u32_e64 v4, null, 0, v4, s0
	v_cmp_le_i32_e64 s0, s12, v11
	s_or_b32 s11, s0, s11
	s_waitcnt vmcnt(5)
	v_lshlrev_b32_e32 v23, 16, v22
	v_and_b32_e32 v22, 0xffff0000, v22
	s_waitcnt vmcnt(4)
	v_fmac_f32_e32 v10, v20, v23
	s_waitcnt vmcnt(3)
	v_fmac_f32_e32 v9, v14, v23
	;; [unrolled: 2-line block ×5, first 2 shown]
	v_fmac_f32_e32 v10, v21, v22
	v_fmac_f32_e32 v9, v15, v22
	;; [unrolled: 1-line block ×5, first 2 shown]
	s_andn2_b32 exec_lo, exec_lo, s11
	s_cbranch_execnz .LBB323_10
; %bb.11:
	s_or_b32 exec_lo, exec_lo, s11
.LBB323_12:
	s_or_b32 exec_lo, exec_lo, s13
	v_mbcnt_lo_u32_b32 v2, -1, 0
	v_xor_b32_e32 v1, 16, v2
	v_xor_b32_e32 v3, 8, v2
	v_cmp_gt_i32_e64 s0, 32, v1
	v_cndmask_b32_e64 v1, v2, v1, s0
	v_cmp_gt_i32_e64 s0, 32, v3
	v_lshlrev_b32_e32 v1, 2, v1
	v_cndmask_b32_e64 v3, v2, v3, s0
	ds_bpermute_b32 v4, v1, v10
	v_lshlrev_b32_e32 v3, 2, v3
	s_waitcnt lgkmcnt(0)
	v_add_f32_e32 v10, v10, v4
	v_xor_b32_e32 v4, 4, v2
	ds_bpermute_b32 v11, v3, v10
	v_cmp_gt_i32_e64 s0, 32, v4
	v_cndmask_b32_e64 v4, v2, v4, s0
	v_lshlrev_b32_e32 v4, 2, v4
	s_waitcnt lgkmcnt(0)
	v_add_f32_e32 v11, v10, v11
	v_xor_b32_e32 v10, 2, v2
	ds_bpermute_b32 v12, v4, v11
	v_cmp_gt_i32_e64 s0, 32, v10
	v_cndmask_b32_e64 v10, v2, v10, s0
	;; [unrolled: 7-line block ×3, first 2 shown]
	v_lshlrev_b32_e32 v11, 2, v2
	s_waitcnt lgkmcnt(0)
	v_add_f32_e32 v2, v12, v13
	v_lshrrev_b32_e32 v12, 3, v0
	ds_bpermute_b32 v13, v11, v2
	v_and_b32_e32 v12, 0x7c, v12
	v_add_nc_u32_e32 v12, 0, v12
	s_waitcnt lgkmcnt(0)
	v_add_f32_e32 v2, v2, v13
	ds_write_b32 v12, v2
	s_waitcnt lgkmcnt(0)
	s_barrier
	buffer_gl0_inv
	s_and_saveexec_b32 s0, vcc_lo
	s_cbranch_execz .LBB323_14
; %bb.13:
	ds_read_b32 v2, v5
	s_waitcnt lgkmcnt(0)
	ds_bpermute_b32 v13, v1, v2
	s_waitcnt lgkmcnt(0)
	v_add_f32_e32 v2, v2, v13
	ds_bpermute_b32 v13, v3, v2
	s_waitcnt lgkmcnt(0)
	v_add_f32_e32 v2, v2, v13
	ds_bpermute_b32 v13, v4, v2
	s_waitcnt lgkmcnt(0)
	v_add_f32_e32 v2, v2, v13
	ds_bpermute_b32 v13, v10, v2
	s_waitcnt lgkmcnt(0)
	v_add_f32_e32 v2, v2, v13
	ds_bpermute_b32 v13, v11, v2
	s_waitcnt lgkmcnt(0)
	v_add_f32_e32 v2, v2, v13
.LBB323_14:
	s_or_b32 exec_lo, exec_lo, s0
	ds_bpermute_b32 v13, v1, v9
	s_waitcnt lgkmcnt(0)
	s_barrier
	buffer_gl0_inv
	v_add_f32_e32 v9, v9, v13
	ds_bpermute_b32 v13, v3, v9
	s_waitcnt lgkmcnt(0)
	v_add_f32_e32 v9, v9, v13
	ds_bpermute_b32 v13, v4, v9
	s_waitcnt lgkmcnt(0)
	v_add_f32_e32 v9, v9, v13
	ds_bpermute_b32 v13, v10, v9
	s_waitcnt lgkmcnt(0)
	v_add_f32_e32 v9, v9, v13
	ds_bpermute_b32 v13, v11, v9
	s_waitcnt lgkmcnt(0)
	v_add_f32_e32 v9, v9, v13
	ds_write_b32 v12, v9
	s_waitcnt lgkmcnt(0)
	s_barrier
	buffer_gl0_inv
	s_and_saveexec_b32 s0, vcc_lo
	s_cbranch_execz .LBB323_16
; %bb.15:
	ds_read_b32 v9, v5
	s_waitcnt lgkmcnt(0)
	ds_bpermute_b32 v13, v1, v9
	s_waitcnt lgkmcnt(0)
	v_add_f32_e32 v9, v9, v13
	ds_bpermute_b32 v13, v3, v9
	s_waitcnt lgkmcnt(0)
	v_add_f32_e32 v9, v9, v13
	ds_bpermute_b32 v13, v4, v9
	s_waitcnt lgkmcnt(0)
	v_add_f32_e32 v9, v9, v13
	ds_bpermute_b32 v13, v10, v9
	s_waitcnt lgkmcnt(0)
	v_add_f32_e32 v9, v9, v13
	ds_bpermute_b32 v13, v11, v9
	s_waitcnt lgkmcnt(0)
	v_add_f32_e32 v9, v9, v13
.LBB323_16:
	s_or_b32 exec_lo, exec_lo, s0
	ds_bpermute_b32 v13, v1, v8
	s_waitcnt lgkmcnt(0)
	s_barrier
	buffer_gl0_inv
	v_add_f32_e32 v8, v8, v13
	ds_bpermute_b32 v13, v3, v8
	s_waitcnt lgkmcnt(0)
	v_add_f32_e32 v8, v8, v13
	ds_bpermute_b32 v13, v4, v8
	s_waitcnt lgkmcnt(0)
	v_add_f32_e32 v8, v8, v13
	ds_bpermute_b32 v13, v10, v8
	s_waitcnt lgkmcnt(0)
	v_add_f32_e32 v8, v8, v13
	ds_bpermute_b32 v13, v11, v8
	;; [unrolled: 43-line block ×4, first 2 shown]
	s_waitcnt lgkmcnt(0)
	v_add_f32_e32 v6, v6, v13
	ds_write_b32 v12, v6
	s_waitcnt lgkmcnt(0)
	s_barrier
	buffer_gl0_inv
	s_and_saveexec_b32 s0, vcc_lo
	s_cbranch_execz .LBB323_22
; %bb.21:
	ds_read_b32 v5, v5
	s_waitcnt lgkmcnt(0)
	ds_bpermute_b32 v1, v1, v5
	s_waitcnt lgkmcnt(0)
	v_add_f32_e32 v1, v5, v1
	ds_bpermute_b32 v3, v3, v1
	s_waitcnt lgkmcnt(0)
	v_add_f32_e32 v1, v1, v3
	;; [unrolled: 3-line block ×5, first 2 shown]
.LBB323_22:
	s_or_b32 exec_lo, exec_lo, s0
	s_barrier
	buffer_gl0_inv
	s_mov_b32 s0, exec_lo
	v_cmpx_gt_u32_e32 5, v0
	s_cbranch_execz .LBB323_24
; %bb.23:
	s_load_dwordx2 s[0:1], s[4:5], 0x38
	v_cmp_eq_u32_e32 vcc_lo, 1, v0
	v_mad_u64_u32 v[3:4], null, s18, v0, s[6:7]
	s_mul_hi_i32 s3, s22, s10
	s_mul_i32 s2, s22, s10
	v_cndmask_b32_e32 v1, v2, v9, vcc_lo
	v_cmp_eq_u32_e32 vcc_lo, 2, v0
	s_mul_i32 s4, s26, s7
	s_lshl_b64 s[2:3], s[2:3], 2
	v_ashrrev_i32_e32 v4, 31, v3
	s_ashr_i32 s5, s4, 31
	v_cndmask_b32_e32 v1, v1, v8, vcc_lo
	v_cmp_eq_u32_e32 vcc_lo, 3, v0
	v_cndmask_b32_e32 v5, v1, v7, vcc_lo
	v_lshlrev_b64 v[1:2], 2, v[3:4]
	s_waitcnt lgkmcnt(0)
	s_add_u32 s2, s0, s2
	v_cmp_eq_u32_e32 vcc_lo, 4, v0
	s_addc_u32 s3, s1, s3
	s_lshl_b64 s[0:1], s[4:5], 2
	s_add_u32 s0, s2, s0
	v_cndmask_b32_e32 v3, v5, v6, vcc_lo
	s_addc_u32 s1, s3, s1
	v_add_co_u32 v0, vcc_lo, s0, v1
	v_add_co_ci_u32_e64 v1, null, s1, v2, vcc_lo
	global_store_dword v[0:1], v3, off
.LBB323_24:
	s_endpgm
	.section	.rodata,"a",@progbits
	.p2align	6, 0x0
	.amdhsa_kernel _ZL13mul_mat_vec_fI14__hip_bfloat16fLi5ELi128ELb0ELb0EEvPKT_PKfPKi31ggml_cuda_mm_fusion_args_devicePfi15HIP_vector_typeIjLj3EEiiiSB_iiiSB_iiii
		.amdhsa_group_segment_fixed_size 0
		.amdhsa_private_segment_fixed_size 0
		.amdhsa_kernarg_size 144
		.amdhsa_user_sgpr_count 6
		.amdhsa_user_sgpr_private_segment_buffer 1
		.amdhsa_user_sgpr_dispatch_ptr 0
		.amdhsa_user_sgpr_queue_ptr 0
		.amdhsa_user_sgpr_kernarg_segment_ptr 1
		.amdhsa_user_sgpr_dispatch_id 0
		.amdhsa_user_sgpr_flat_scratch_init 0
		.amdhsa_user_sgpr_private_segment_size 0
		.amdhsa_wavefront_size32 1
		.amdhsa_uses_dynamic_stack 0
		.amdhsa_system_sgpr_private_segment_wavefront_offset 0
		.amdhsa_system_sgpr_workgroup_id_x 1
		.amdhsa_system_sgpr_workgroup_id_y 1
		.amdhsa_system_sgpr_workgroup_id_z 1
		.amdhsa_system_sgpr_workgroup_info 0
		.amdhsa_system_vgpr_workitem_id 0
		.amdhsa_next_free_vgpr 24
		.amdhsa_next_free_sgpr 36
		.amdhsa_reserve_vcc 1
		.amdhsa_reserve_flat_scratch 0
		.amdhsa_float_round_mode_32 0
		.amdhsa_float_round_mode_16_64 0
		.amdhsa_float_denorm_mode_32 3
		.amdhsa_float_denorm_mode_16_64 3
		.amdhsa_dx10_clamp 1
		.amdhsa_ieee_mode 1
		.amdhsa_fp16_overflow 0
		.amdhsa_workgroup_processor_mode 1
		.amdhsa_memory_ordered 1
		.amdhsa_forward_progress 1
		.amdhsa_shared_vgpr_count 0
		.amdhsa_exception_fp_ieee_invalid_op 0
		.amdhsa_exception_fp_denorm_src 0
		.amdhsa_exception_fp_ieee_div_zero 0
		.amdhsa_exception_fp_ieee_overflow 0
		.amdhsa_exception_fp_ieee_underflow 0
		.amdhsa_exception_fp_ieee_inexact 0
		.amdhsa_exception_int_div_zero 0
	.end_amdhsa_kernel
	.section	.text._ZL13mul_mat_vec_fI14__hip_bfloat16fLi5ELi128ELb0ELb0EEvPKT_PKfPKi31ggml_cuda_mm_fusion_args_devicePfi15HIP_vector_typeIjLj3EEiiiSB_iiiSB_iiii,"axG",@progbits,_ZL13mul_mat_vec_fI14__hip_bfloat16fLi5ELi128ELb0ELb0EEvPKT_PKfPKi31ggml_cuda_mm_fusion_args_devicePfi15HIP_vector_typeIjLj3EEiiiSB_iiiSB_iiii,comdat
.Lfunc_end323:
	.size	_ZL13mul_mat_vec_fI14__hip_bfloat16fLi5ELi128ELb0ELb0EEvPKT_PKfPKi31ggml_cuda_mm_fusion_args_devicePfi15HIP_vector_typeIjLj3EEiiiSB_iiiSB_iiii, .Lfunc_end323-_ZL13mul_mat_vec_fI14__hip_bfloat16fLi5ELi128ELb0ELb0EEvPKT_PKfPKi31ggml_cuda_mm_fusion_args_devicePfi15HIP_vector_typeIjLj3EEiiiSB_iiiSB_iiii
                                        ; -- End function
	.set _ZL13mul_mat_vec_fI14__hip_bfloat16fLi5ELi128ELb0ELb0EEvPKT_PKfPKi31ggml_cuda_mm_fusion_args_devicePfi15HIP_vector_typeIjLj3EEiiiSB_iiiSB_iiii.num_vgpr, 24
	.set _ZL13mul_mat_vec_fI14__hip_bfloat16fLi5ELi128ELb0ELb0EEvPKT_PKfPKi31ggml_cuda_mm_fusion_args_devicePfi15HIP_vector_typeIjLj3EEiiiSB_iiiSB_iiii.num_agpr, 0
	.set _ZL13mul_mat_vec_fI14__hip_bfloat16fLi5ELi128ELb0ELb0EEvPKT_PKfPKi31ggml_cuda_mm_fusion_args_devicePfi15HIP_vector_typeIjLj3EEiiiSB_iiiSB_iiii.numbered_sgpr, 36
	.set _ZL13mul_mat_vec_fI14__hip_bfloat16fLi5ELi128ELb0ELb0EEvPKT_PKfPKi31ggml_cuda_mm_fusion_args_devicePfi15HIP_vector_typeIjLj3EEiiiSB_iiiSB_iiii.num_named_barrier, 0
	.set _ZL13mul_mat_vec_fI14__hip_bfloat16fLi5ELi128ELb0ELb0EEvPKT_PKfPKi31ggml_cuda_mm_fusion_args_devicePfi15HIP_vector_typeIjLj3EEiiiSB_iiiSB_iiii.private_seg_size, 0
	.set _ZL13mul_mat_vec_fI14__hip_bfloat16fLi5ELi128ELb0ELb0EEvPKT_PKfPKi31ggml_cuda_mm_fusion_args_devicePfi15HIP_vector_typeIjLj3EEiiiSB_iiiSB_iiii.uses_vcc, 1
	.set _ZL13mul_mat_vec_fI14__hip_bfloat16fLi5ELi128ELb0ELb0EEvPKT_PKfPKi31ggml_cuda_mm_fusion_args_devicePfi15HIP_vector_typeIjLj3EEiiiSB_iiiSB_iiii.uses_flat_scratch, 0
	.set _ZL13mul_mat_vec_fI14__hip_bfloat16fLi5ELi128ELb0ELb0EEvPKT_PKfPKi31ggml_cuda_mm_fusion_args_devicePfi15HIP_vector_typeIjLj3EEiiiSB_iiiSB_iiii.has_dyn_sized_stack, 0
	.set _ZL13mul_mat_vec_fI14__hip_bfloat16fLi5ELi128ELb0ELb0EEvPKT_PKfPKi31ggml_cuda_mm_fusion_args_devicePfi15HIP_vector_typeIjLj3EEiiiSB_iiiSB_iiii.has_recursion, 0
	.set _ZL13mul_mat_vec_fI14__hip_bfloat16fLi5ELi128ELb0ELb0EEvPKT_PKfPKi31ggml_cuda_mm_fusion_args_devicePfi15HIP_vector_typeIjLj3EEiiiSB_iiiSB_iiii.has_indirect_call, 0
	.section	.AMDGPU.csdata,"",@progbits
; Kernel info:
; codeLenInByte = 2216
; TotalNumSgprs: 38
; NumVgprs: 24
; ScratchSize: 0
; MemoryBound: 0
; FloatMode: 240
; IeeeMode: 1
; LDSByteSize: 0 bytes/workgroup (compile time only)
; SGPRBlocks: 0
; VGPRBlocks: 2
; NumSGPRsForWavesPerEU: 38
; NumVGPRsForWavesPerEU: 24
; Occupancy: 16
; WaveLimiterHint : 0
; COMPUTE_PGM_RSRC2:SCRATCH_EN: 0
; COMPUTE_PGM_RSRC2:USER_SGPR: 6
; COMPUTE_PGM_RSRC2:TRAP_HANDLER: 0
; COMPUTE_PGM_RSRC2:TGID_X_EN: 1
; COMPUTE_PGM_RSRC2:TGID_Y_EN: 1
; COMPUTE_PGM_RSRC2:TGID_Z_EN: 1
; COMPUTE_PGM_RSRC2:TIDIG_COMP_CNT: 0
	.section	.text._ZL13mul_mat_vec_fI14__hip_bfloat16fLi5ELi160ELb0ELb0EEvPKT_PKfPKi31ggml_cuda_mm_fusion_args_devicePfi15HIP_vector_typeIjLj3EEiiiSB_iiiSB_iiii,"axG",@progbits,_ZL13mul_mat_vec_fI14__hip_bfloat16fLi5ELi160ELb0ELb0EEvPKT_PKfPKi31ggml_cuda_mm_fusion_args_devicePfi15HIP_vector_typeIjLj3EEiiiSB_iiiSB_iiii,comdat
	.globl	_ZL13mul_mat_vec_fI14__hip_bfloat16fLi5ELi160ELb0ELb0EEvPKT_PKfPKi31ggml_cuda_mm_fusion_args_devicePfi15HIP_vector_typeIjLj3EEiiiSB_iiiSB_iiii ; -- Begin function _ZL13mul_mat_vec_fI14__hip_bfloat16fLi5ELi160ELb0ELb0EEvPKT_PKfPKi31ggml_cuda_mm_fusion_args_devicePfi15HIP_vector_typeIjLj3EEiiiSB_iiiSB_iiii
	.p2align	8
	.type	_ZL13mul_mat_vec_fI14__hip_bfloat16fLi5ELi160ELb0ELb0EEvPKT_PKfPKi31ggml_cuda_mm_fusion_args_devicePfi15HIP_vector_typeIjLj3EEiiiSB_iiiSB_iiii,@function
_ZL13mul_mat_vec_fI14__hip_bfloat16fLi5ELi160ELb0ELb0EEvPKT_PKfPKi31ggml_cuda_mm_fusion_args_devicePfi15HIP_vector_typeIjLj3EEiiiSB_iiiSB_iiii: ; @_ZL13mul_mat_vec_fI14__hip_bfloat16fLi5ELi160ELb0ELb0EEvPKT_PKfPKi31ggml_cuda_mm_fusion_args_devicePfi15HIP_vector_typeIjLj3EEiiiSB_iiiSB_iiii
; %bb.0:
	s_clause 0x2
	s_load_dwordx2 s[0:1], s[4:5], 0x10
	s_load_dwordx8 s[12:19], s[4:5], 0x40
	s_load_dwordx4 s[20:23], s[4:5], 0x80
	s_waitcnt lgkmcnt(0)
	s_cmp_eq_u64 s[0:1], 0
	s_cselect_b32 s10, -1, 0
	s_cmp_lg_u64 s[0:1], 0
	s_cselect_b32 s11, -1, 0
	s_and_b32 vcc_lo, exec_lo, s10
	s_cbranch_vccnz .LBB324_2
; %bb.1:
	s_mul_i32 s2, s23, s8
	s_mov_b32 s3, 0
	s_add_i32 s2, s2, s7
	s_lshl_b64 s[24:25], s[2:3], 2
	s_add_u32 s0, s0, s24
	s_addc_u32 s1, s1, s25
	s_load_dword s9, s[0:1], 0x0
	s_cbranch_execz .LBB324_3
	s_branch .LBB324_4
.LBB324_2:
                                        ; implicit-def: $sgpr9
.LBB324_3:
	s_load_dwordx2 s[0:1], s[4:5], 0x5c
	s_waitcnt lgkmcnt(0)
	s_mul_hi_u32 s0, s0, s7
	s_add_i32 s0, s7, s0
	s_lshr_b32 s9, s0, s1
.LBB324_4:
	s_load_dwordx4 s[24:27], s[4:5], 0x68
	s_andn2_b32 vcc_lo, exec_lo, s11
	s_mov_b32 s19, s7
	s_cbranch_vccnz .LBB324_6
; %bb.5:
	s_mul_hi_u32 s0, s13, s7
	s_add_i32 s0, s7, s0
	s_lshr_b32 s0, s0, s14
	s_mul_i32 s0, s0, s15
	s_sub_i32 s19, s7, s0
.LBB324_6:
	s_load_dword s14, s[4:5], 0x78
	v_cmp_gt_u32_e32 vcc_lo, 32, v0
	v_lshl_add_u32 v5, v0, 2, 0
	s_and_saveexec_b32 s0, vcc_lo
; %bb.7:
	v_mov_b32_e32 v1, 0
	ds_write_b32 v5, v1
; %bb.8:
	s_or_b32 exec_lo, exec_lo, s0
	v_mov_b32_e32 v6, 0
	v_mov_b32_e32 v7, 0
	;; [unrolled: 1-line block ×5, first 2 shown]
	s_and_b32 s0, exec_lo, s10
	s_mov_b32 s11, 0
	s_cselect_b32 s10, s8, 0
	s_mov_b32 s13, exec_lo
	s_waitcnt lgkmcnt(0)
	s_barrier
	buffer_gl0_inv
	v_cmpx_gt_i32_e64 s12, v0
	s_cbranch_execz .LBB324_12
; %bb.9:
	s_load_dwordx4 s[0:3], s[4:5], 0x0
	s_mul_hi_u32 s15, s27, s10
	s_mul_hi_i32 s29, s21, s10
	s_mul_i32 s28, s21, s10
	s_mul_i32 s8, s9, s24
	;; [unrolled: 1-line block ×4, first 2 shown]
	s_add_i32 s15, s10, s15
	s_lshl_b64 s[28:29], s[28:29], 2
	s_ashr_i32 s9, s8, 31
	s_ashr_i32 s25, s24, 31
	;; [unrolled: 1-line block ×3, first 2 shown]
	s_lshr_b32 s14, s15, s14
	s_mov_b32 s34, s17
	s_mul_hi_i32 s21, s14, s20
	s_mul_i32 s20, s14, s20
	v_lshlrev_b32_e32 v2, 3, v0
	v_lshlrev_b32_e32 v1, 2, v0
	v_mov_b32_e32 v10, 0
	v_mov_b32_e32 v11, v0
	s_waitcnt lgkmcnt(0)
	s_add_u32 s15, s2, s28
	s_addc_u32 s16, s3, s29
	s_lshl_b64 s[30:31], s[30:31], 2
	v_mov_b32_e32 v9, 0
	s_add_u32 s14, s15, s30
	s_addc_u32 s15, s16, s31
	s_lshl_b64 s[8:9], s[8:9], 1
	s_ashr_i32 s35, s17, 31
	s_add_i32 s16, s17, s17
	s_lshl_b32 s19, s17, 2
	s_lshl_b64 s[20:21], s[20:21], 1
	s_lshl_b64 s[24:25], s[24:25], 1
	s_add_u32 s0, s0, s8
	s_addc_u32 s1, s1, s9
	s_add_u32 s0, s0, s24
	s_addc_u32 s1, s1, s25
	;; [unrolled: 2-line block ×3, first 2 shown]
	s_lshl_b64 s[8:9], s[34:35], 3
	s_add_u32 s2, s2, s30
	s_addc_u32 s3, s3, s31
	s_add_u32 s2, s2, s28
	s_addc_u32 s3, s3, s29
	v_add_co_u32 v3, s2, s2, v2
	v_add_co_ci_u32_e64 v4, null, s3, 0, s2
	v_add_co_u32 v1, s0, s0, v1
	v_add_co_ci_u32_e64 v2, null, s1, 0, s0
	;; [unrolled: 2-line block ×3, first 2 shown]
	v_mov_b32_e32 v8, 0
	v_mov_b32_e32 v7, 0
	;; [unrolled: 1-line block ×3, first 2 shown]
	s_mul_i32 s1, s17, 3
.LBB324_10:                             ; =>This Inner Loop Header: Depth=1
	v_add_nc_u32_e32 v12, s16, v11
	v_add_nc_u32_e32 v16, s1, v11
	v_add_nc_u32_e32 v18, s19, v11
	v_add_co_u32 v14, s0, v3, s8
	v_ashrrev_i32_e32 v13, 31, v12
	v_ashrrev_i32_e32 v17, 31, v16
	;; [unrolled: 1-line block ×3, first 2 shown]
	v_add_co_ci_u32_e64 v15, null, s9, v4, s0
	v_lshlrev_b64 v[12:13], 3, v[12:13]
	v_lshlrev_b64 v[16:17], 3, v[16:17]
	;; [unrolled: 1-line block ×3, first 2 shown]
	global_load_dword v22, v[1:2], off
	v_add_nc_u32_e32 v11, 0xa0, v11
	v_add_co_u32 v12, s0, s14, v12
	v_add_co_ci_u32_e64 v13, null, s15, v13, s0
	v_add_co_u32 v16, s0, s14, v16
	v_add_co_ci_u32_e64 v17, null, s15, v17, s0
	;; [unrolled: 2-line block ×3, first 2 shown]
	s_clause 0x1
	global_load_dwordx2 v[20:21], v[3:4], off offset:-4
	global_load_dwordx2 v[14:15], v[14:15], off offset:-4
	s_clause 0x2
	global_load_dwordx2 v[12:13], v[12:13], off
	global_load_dwordx2 v[16:17], v[16:17], off
	;; [unrolled: 1-line block ×3, first 2 shown]
	v_add_co_u32 v1, s0, 0x280, v1
	v_add_co_ci_u32_e64 v2, null, 0, v2, s0
	v_add_co_u32 v3, s0, 0x500, v3
	v_add_co_ci_u32_e64 v4, null, 0, v4, s0
	v_cmp_le_i32_e64 s0, s12, v11
	s_or_b32 s11, s0, s11
	s_waitcnt vmcnt(5)
	v_lshlrev_b32_e32 v23, 16, v22
	v_and_b32_e32 v22, 0xffff0000, v22
	s_waitcnt vmcnt(4)
	v_fmac_f32_e32 v10, v20, v23
	s_waitcnt vmcnt(3)
	v_fmac_f32_e32 v9, v14, v23
	;; [unrolled: 2-line block ×5, first 2 shown]
	v_fmac_f32_e32 v10, v21, v22
	v_fmac_f32_e32 v9, v15, v22
	v_fmac_f32_e32 v8, v13, v22
	v_fmac_f32_e32 v7, v17, v22
	v_fmac_f32_e32 v6, v19, v22
	s_andn2_b32 exec_lo, exec_lo, s11
	s_cbranch_execnz .LBB324_10
; %bb.11:
	s_or_b32 exec_lo, exec_lo, s11
.LBB324_12:
	s_or_b32 exec_lo, exec_lo, s13
	v_mbcnt_lo_u32_b32 v2, -1, 0
	v_xor_b32_e32 v1, 16, v2
	v_xor_b32_e32 v3, 8, v2
	v_cmp_gt_i32_e64 s0, 32, v1
	v_cndmask_b32_e64 v1, v2, v1, s0
	v_cmp_gt_i32_e64 s0, 32, v3
	v_lshlrev_b32_e32 v1, 2, v1
	v_cndmask_b32_e64 v3, v2, v3, s0
	ds_bpermute_b32 v4, v1, v10
	v_lshlrev_b32_e32 v3, 2, v3
	s_waitcnt lgkmcnt(0)
	v_add_f32_e32 v10, v10, v4
	v_xor_b32_e32 v4, 4, v2
	ds_bpermute_b32 v11, v3, v10
	v_cmp_gt_i32_e64 s0, 32, v4
	v_cndmask_b32_e64 v4, v2, v4, s0
	v_lshlrev_b32_e32 v4, 2, v4
	s_waitcnt lgkmcnt(0)
	v_add_f32_e32 v11, v10, v11
	v_xor_b32_e32 v10, 2, v2
	ds_bpermute_b32 v12, v4, v11
	v_cmp_gt_i32_e64 s0, 32, v10
	v_cndmask_b32_e64 v10, v2, v10, s0
	;; [unrolled: 7-line block ×3, first 2 shown]
	v_lshlrev_b32_e32 v11, 2, v2
	s_waitcnt lgkmcnt(0)
	v_add_f32_e32 v2, v12, v13
	v_lshrrev_b32_e32 v12, 3, v0
	ds_bpermute_b32 v13, v11, v2
	v_and_b32_e32 v12, 0x7c, v12
	v_add_nc_u32_e32 v12, 0, v12
	s_waitcnt lgkmcnt(0)
	v_add_f32_e32 v2, v2, v13
	ds_write_b32 v12, v2
	s_waitcnt lgkmcnt(0)
	s_barrier
	buffer_gl0_inv
	s_and_saveexec_b32 s0, vcc_lo
	s_cbranch_execz .LBB324_14
; %bb.13:
	ds_read_b32 v2, v5
	s_waitcnt lgkmcnt(0)
	ds_bpermute_b32 v13, v1, v2
	s_waitcnt lgkmcnt(0)
	v_add_f32_e32 v2, v2, v13
	ds_bpermute_b32 v13, v3, v2
	s_waitcnt lgkmcnt(0)
	v_add_f32_e32 v2, v2, v13
	ds_bpermute_b32 v13, v4, v2
	s_waitcnt lgkmcnt(0)
	v_add_f32_e32 v2, v2, v13
	ds_bpermute_b32 v13, v10, v2
	s_waitcnt lgkmcnt(0)
	v_add_f32_e32 v2, v2, v13
	ds_bpermute_b32 v13, v11, v2
	s_waitcnt lgkmcnt(0)
	v_add_f32_e32 v2, v2, v13
.LBB324_14:
	s_or_b32 exec_lo, exec_lo, s0
	ds_bpermute_b32 v13, v1, v9
	s_waitcnt lgkmcnt(0)
	s_barrier
	buffer_gl0_inv
	v_add_f32_e32 v9, v9, v13
	ds_bpermute_b32 v13, v3, v9
	s_waitcnt lgkmcnt(0)
	v_add_f32_e32 v9, v9, v13
	ds_bpermute_b32 v13, v4, v9
	s_waitcnt lgkmcnt(0)
	v_add_f32_e32 v9, v9, v13
	ds_bpermute_b32 v13, v10, v9
	s_waitcnt lgkmcnt(0)
	v_add_f32_e32 v9, v9, v13
	ds_bpermute_b32 v13, v11, v9
	s_waitcnt lgkmcnt(0)
	v_add_f32_e32 v9, v9, v13
	ds_write_b32 v12, v9
	s_waitcnt lgkmcnt(0)
	s_barrier
	buffer_gl0_inv
	s_and_saveexec_b32 s0, vcc_lo
	s_cbranch_execz .LBB324_16
; %bb.15:
	ds_read_b32 v9, v5
	s_waitcnt lgkmcnt(0)
	ds_bpermute_b32 v13, v1, v9
	s_waitcnt lgkmcnt(0)
	v_add_f32_e32 v9, v9, v13
	ds_bpermute_b32 v13, v3, v9
	s_waitcnt lgkmcnt(0)
	v_add_f32_e32 v9, v9, v13
	ds_bpermute_b32 v13, v4, v9
	s_waitcnt lgkmcnt(0)
	v_add_f32_e32 v9, v9, v13
	ds_bpermute_b32 v13, v10, v9
	s_waitcnt lgkmcnt(0)
	v_add_f32_e32 v9, v9, v13
	ds_bpermute_b32 v13, v11, v9
	s_waitcnt lgkmcnt(0)
	v_add_f32_e32 v9, v9, v13
.LBB324_16:
	s_or_b32 exec_lo, exec_lo, s0
	ds_bpermute_b32 v13, v1, v8
	s_waitcnt lgkmcnt(0)
	s_barrier
	buffer_gl0_inv
	v_add_f32_e32 v8, v8, v13
	ds_bpermute_b32 v13, v3, v8
	s_waitcnt lgkmcnt(0)
	v_add_f32_e32 v8, v8, v13
	ds_bpermute_b32 v13, v4, v8
	s_waitcnt lgkmcnt(0)
	v_add_f32_e32 v8, v8, v13
	ds_bpermute_b32 v13, v10, v8
	s_waitcnt lgkmcnt(0)
	v_add_f32_e32 v8, v8, v13
	ds_bpermute_b32 v13, v11, v8
	;; [unrolled: 43-line block ×4, first 2 shown]
	s_waitcnt lgkmcnt(0)
	v_add_f32_e32 v6, v6, v13
	ds_write_b32 v12, v6
	s_waitcnt lgkmcnt(0)
	s_barrier
	buffer_gl0_inv
	s_and_saveexec_b32 s0, vcc_lo
	s_cbranch_execz .LBB324_22
; %bb.21:
	ds_read_b32 v5, v5
	s_waitcnt lgkmcnt(0)
	ds_bpermute_b32 v1, v1, v5
	s_waitcnt lgkmcnt(0)
	v_add_f32_e32 v1, v5, v1
	ds_bpermute_b32 v3, v3, v1
	s_waitcnt lgkmcnt(0)
	v_add_f32_e32 v1, v1, v3
	;; [unrolled: 3-line block ×5, first 2 shown]
.LBB324_22:
	s_or_b32 exec_lo, exec_lo, s0
	s_barrier
	buffer_gl0_inv
	s_mov_b32 s0, exec_lo
	v_cmpx_gt_u32_e32 5, v0
	s_cbranch_execz .LBB324_24
; %bb.23:
	s_load_dwordx2 s[0:1], s[4:5], 0x38
	v_cmp_eq_u32_e32 vcc_lo, 1, v0
	v_mad_u64_u32 v[3:4], null, s18, v0, s[6:7]
	s_mul_hi_i32 s3, s22, s10
	s_mul_i32 s2, s22, s10
	v_cndmask_b32_e32 v1, v2, v9, vcc_lo
	v_cmp_eq_u32_e32 vcc_lo, 2, v0
	s_mul_i32 s4, s26, s7
	s_lshl_b64 s[2:3], s[2:3], 2
	v_ashrrev_i32_e32 v4, 31, v3
	s_ashr_i32 s5, s4, 31
	v_cndmask_b32_e32 v1, v1, v8, vcc_lo
	v_cmp_eq_u32_e32 vcc_lo, 3, v0
	v_cndmask_b32_e32 v5, v1, v7, vcc_lo
	v_lshlrev_b64 v[1:2], 2, v[3:4]
	s_waitcnt lgkmcnt(0)
	s_add_u32 s2, s0, s2
	v_cmp_eq_u32_e32 vcc_lo, 4, v0
	s_addc_u32 s3, s1, s3
	s_lshl_b64 s[0:1], s[4:5], 2
	s_add_u32 s0, s2, s0
	v_cndmask_b32_e32 v3, v5, v6, vcc_lo
	s_addc_u32 s1, s3, s1
	v_add_co_u32 v0, vcc_lo, s0, v1
	v_add_co_ci_u32_e64 v1, null, s1, v2, vcc_lo
	global_store_dword v[0:1], v3, off
.LBB324_24:
	s_endpgm
	.section	.rodata,"a",@progbits
	.p2align	6, 0x0
	.amdhsa_kernel _ZL13mul_mat_vec_fI14__hip_bfloat16fLi5ELi160ELb0ELb0EEvPKT_PKfPKi31ggml_cuda_mm_fusion_args_devicePfi15HIP_vector_typeIjLj3EEiiiSB_iiiSB_iiii
		.amdhsa_group_segment_fixed_size 0
		.amdhsa_private_segment_fixed_size 0
		.amdhsa_kernarg_size 144
		.amdhsa_user_sgpr_count 6
		.amdhsa_user_sgpr_private_segment_buffer 1
		.amdhsa_user_sgpr_dispatch_ptr 0
		.amdhsa_user_sgpr_queue_ptr 0
		.amdhsa_user_sgpr_kernarg_segment_ptr 1
		.amdhsa_user_sgpr_dispatch_id 0
		.amdhsa_user_sgpr_flat_scratch_init 0
		.amdhsa_user_sgpr_private_segment_size 0
		.amdhsa_wavefront_size32 1
		.amdhsa_uses_dynamic_stack 0
		.amdhsa_system_sgpr_private_segment_wavefront_offset 0
		.amdhsa_system_sgpr_workgroup_id_x 1
		.amdhsa_system_sgpr_workgroup_id_y 1
		.amdhsa_system_sgpr_workgroup_id_z 1
		.amdhsa_system_sgpr_workgroup_info 0
		.amdhsa_system_vgpr_workitem_id 0
		.amdhsa_next_free_vgpr 24
		.amdhsa_next_free_sgpr 36
		.amdhsa_reserve_vcc 1
		.amdhsa_reserve_flat_scratch 0
		.amdhsa_float_round_mode_32 0
		.amdhsa_float_round_mode_16_64 0
		.amdhsa_float_denorm_mode_32 3
		.amdhsa_float_denorm_mode_16_64 3
		.amdhsa_dx10_clamp 1
		.amdhsa_ieee_mode 1
		.amdhsa_fp16_overflow 0
		.amdhsa_workgroup_processor_mode 1
		.amdhsa_memory_ordered 1
		.amdhsa_forward_progress 1
		.amdhsa_shared_vgpr_count 0
		.amdhsa_exception_fp_ieee_invalid_op 0
		.amdhsa_exception_fp_denorm_src 0
		.amdhsa_exception_fp_ieee_div_zero 0
		.amdhsa_exception_fp_ieee_overflow 0
		.amdhsa_exception_fp_ieee_underflow 0
		.amdhsa_exception_fp_ieee_inexact 0
		.amdhsa_exception_int_div_zero 0
	.end_amdhsa_kernel
	.section	.text._ZL13mul_mat_vec_fI14__hip_bfloat16fLi5ELi160ELb0ELb0EEvPKT_PKfPKi31ggml_cuda_mm_fusion_args_devicePfi15HIP_vector_typeIjLj3EEiiiSB_iiiSB_iiii,"axG",@progbits,_ZL13mul_mat_vec_fI14__hip_bfloat16fLi5ELi160ELb0ELb0EEvPKT_PKfPKi31ggml_cuda_mm_fusion_args_devicePfi15HIP_vector_typeIjLj3EEiiiSB_iiiSB_iiii,comdat
.Lfunc_end324:
	.size	_ZL13mul_mat_vec_fI14__hip_bfloat16fLi5ELi160ELb0ELb0EEvPKT_PKfPKi31ggml_cuda_mm_fusion_args_devicePfi15HIP_vector_typeIjLj3EEiiiSB_iiiSB_iiii, .Lfunc_end324-_ZL13mul_mat_vec_fI14__hip_bfloat16fLi5ELi160ELb0ELb0EEvPKT_PKfPKi31ggml_cuda_mm_fusion_args_devicePfi15HIP_vector_typeIjLj3EEiiiSB_iiiSB_iiii
                                        ; -- End function
	.set _ZL13mul_mat_vec_fI14__hip_bfloat16fLi5ELi160ELb0ELb0EEvPKT_PKfPKi31ggml_cuda_mm_fusion_args_devicePfi15HIP_vector_typeIjLj3EEiiiSB_iiiSB_iiii.num_vgpr, 24
	.set _ZL13mul_mat_vec_fI14__hip_bfloat16fLi5ELi160ELb0ELb0EEvPKT_PKfPKi31ggml_cuda_mm_fusion_args_devicePfi15HIP_vector_typeIjLj3EEiiiSB_iiiSB_iiii.num_agpr, 0
	.set _ZL13mul_mat_vec_fI14__hip_bfloat16fLi5ELi160ELb0ELb0EEvPKT_PKfPKi31ggml_cuda_mm_fusion_args_devicePfi15HIP_vector_typeIjLj3EEiiiSB_iiiSB_iiii.numbered_sgpr, 36
	.set _ZL13mul_mat_vec_fI14__hip_bfloat16fLi5ELi160ELb0ELb0EEvPKT_PKfPKi31ggml_cuda_mm_fusion_args_devicePfi15HIP_vector_typeIjLj3EEiiiSB_iiiSB_iiii.num_named_barrier, 0
	.set _ZL13mul_mat_vec_fI14__hip_bfloat16fLi5ELi160ELb0ELb0EEvPKT_PKfPKi31ggml_cuda_mm_fusion_args_devicePfi15HIP_vector_typeIjLj3EEiiiSB_iiiSB_iiii.private_seg_size, 0
	.set _ZL13mul_mat_vec_fI14__hip_bfloat16fLi5ELi160ELb0ELb0EEvPKT_PKfPKi31ggml_cuda_mm_fusion_args_devicePfi15HIP_vector_typeIjLj3EEiiiSB_iiiSB_iiii.uses_vcc, 1
	.set _ZL13mul_mat_vec_fI14__hip_bfloat16fLi5ELi160ELb0ELb0EEvPKT_PKfPKi31ggml_cuda_mm_fusion_args_devicePfi15HIP_vector_typeIjLj3EEiiiSB_iiiSB_iiii.uses_flat_scratch, 0
	.set _ZL13mul_mat_vec_fI14__hip_bfloat16fLi5ELi160ELb0ELb0EEvPKT_PKfPKi31ggml_cuda_mm_fusion_args_devicePfi15HIP_vector_typeIjLj3EEiiiSB_iiiSB_iiii.has_dyn_sized_stack, 0
	.set _ZL13mul_mat_vec_fI14__hip_bfloat16fLi5ELi160ELb0ELb0EEvPKT_PKfPKi31ggml_cuda_mm_fusion_args_devicePfi15HIP_vector_typeIjLj3EEiiiSB_iiiSB_iiii.has_recursion, 0
	.set _ZL13mul_mat_vec_fI14__hip_bfloat16fLi5ELi160ELb0ELb0EEvPKT_PKfPKi31ggml_cuda_mm_fusion_args_devicePfi15HIP_vector_typeIjLj3EEiiiSB_iiiSB_iiii.has_indirect_call, 0
	.section	.AMDGPU.csdata,"",@progbits
; Kernel info:
; codeLenInByte = 2216
; TotalNumSgprs: 38
; NumVgprs: 24
; ScratchSize: 0
; MemoryBound: 0
; FloatMode: 240
; IeeeMode: 1
; LDSByteSize: 0 bytes/workgroup (compile time only)
; SGPRBlocks: 0
; VGPRBlocks: 2
; NumSGPRsForWavesPerEU: 38
; NumVGPRsForWavesPerEU: 24
; Occupancy: 16
; WaveLimiterHint : 0
; COMPUTE_PGM_RSRC2:SCRATCH_EN: 0
; COMPUTE_PGM_RSRC2:USER_SGPR: 6
; COMPUTE_PGM_RSRC2:TRAP_HANDLER: 0
; COMPUTE_PGM_RSRC2:TGID_X_EN: 1
; COMPUTE_PGM_RSRC2:TGID_Y_EN: 1
; COMPUTE_PGM_RSRC2:TGID_Z_EN: 1
; COMPUTE_PGM_RSRC2:TIDIG_COMP_CNT: 0
	.section	.text._ZL13mul_mat_vec_fI14__hip_bfloat16fLi5ELi192ELb0ELb0EEvPKT_PKfPKi31ggml_cuda_mm_fusion_args_devicePfi15HIP_vector_typeIjLj3EEiiiSB_iiiSB_iiii,"axG",@progbits,_ZL13mul_mat_vec_fI14__hip_bfloat16fLi5ELi192ELb0ELb0EEvPKT_PKfPKi31ggml_cuda_mm_fusion_args_devicePfi15HIP_vector_typeIjLj3EEiiiSB_iiiSB_iiii,comdat
	.globl	_ZL13mul_mat_vec_fI14__hip_bfloat16fLi5ELi192ELb0ELb0EEvPKT_PKfPKi31ggml_cuda_mm_fusion_args_devicePfi15HIP_vector_typeIjLj3EEiiiSB_iiiSB_iiii ; -- Begin function _ZL13mul_mat_vec_fI14__hip_bfloat16fLi5ELi192ELb0ELb0EEvPKT_PKfPKi31ggml_cuda_mm_fusion_args_devicePfi15HIP_vector_typeIjLj3EEiiiSB_iiiSB_iiii
	.p2align	8
	.type	_ZL13mul_mat_vec_fI14__hip_bfloat16fLi5ELi192ELb0ELb0EEvPKT_PKfPKi31ggml_cuda_mm_fusion_args_devicePfi15HIP_vector_typeIjLj3EEiiiSB_iiiSB_iiii,@function
_ZL13mul_mat_vec_fI14__hip_bfloat16fLi5ELi192ELb0ELb0EEvPKT_PKfPKi31ggml_cuda_mm_fusion_args_devicePfi15HIP_vector_typeIjLj3EEiiiSB_iiiSB_iiii: ; @_ZL13mul_mat_vec_fI14__hip_bfloat16fLi5ELi192ELb0ELb0EEvPKT_PKfPKi31ggml_cuda_mm_fusion_args_devicePfi15HIP_vector_typeIjLj3EEiiiSB_iiiSB_iiii
; %bb.0:
	s_clause 0x2
	s_load_dwordx2 s[0:1], s[4:5], 0x10
	s_load_dwordx8 s[12:19], s[4:5], 0x40
	s_load_dwordx4 s[20:23], s[4:5], 0x80
	s_waitcnt lgkmcnt(0)
	s_cmp_eq_u64 s[0:1], 0
	s_cselect_b32 s10, -1, 0
	s_cmp_lg_u64 s[0:1], 0
	s_cselect_b32 s11, -1, 0
	s_and_b32 vcc_lo, exec_lo, s10
	s_cbranch_vccnz .LBB325_2
; %bb.1:
	s_mul_i32 s2, s23, s8
	s_mov_b32 s3, 0
	s_add_i32 s2, s2, s7
	s_lshl_b64 s[24:25], s[2:3], 2
	s_add_u32 s0, s0, s24
	s_addc_u32 s1, s1, s25
	s_load_dword s9, s[0:1], 0x0
	s_cbranch_execz .LBB325_3
	s_branch .LBB325_4
.LBB325_2:
                                        ; implicit-def: $sgpr9
.LBB325_3:
	s_load_dwordx2 s[0:1], s[4:5], 0x5c
	s_waitcnt lgkmcnt(0)
	s_mul_hi_u32 s0, s0, s7
	s_add_i32 s0, s7, s0
	s_lshr_b32 s9, s0, s1
.LBB325_4:
	s_load_dwordx4 s[24:27], s[4:5], 0x68
	s_andn2_b32 vcc_lo, exec_lo, s11
	s_mov_b32 s19, s7
	s_cbranch_vccnz .LBB325_6
; %bb.5:
	s_mul_hi_u32 s0, s13, s7
	s_add_i32 s0, s7, s0
	s_lshr_b32 s0, s0, s14
	s_mul_i32 s0, s0, s15
	s_sub_i32 s19, s7, s0
.LBB325_6:
	s_load_dword s14, s[4:5], 0x78
	v_cmp_gt_u32_e32 vcc_lo, 32, v0
	v_lshl_add_u32 v5, v0, 2, 0
	s_and_saveexec_b32 s0, vcc_lo
; %bb.7:
	v_mov_b32_e32 v1, 0
	ds_write_b32 v5, v1
; %bb.8:
	s_or_b32 exec_lo, exec_lo, s0
	v_mov_b32_e32 v6, 0
	v_mov_b32_e32 v7, 0
	;; [unrolled: 1-line block ×5, first 2 shown]
	s_and_b32 s0, exec_lo, s10
	s_mov_b32 s11, 0
	s_cselect_b32 s10, s8, 0
	s_mov_b32 s13, exec_lo
	s_waitcnt lgkmcnt(0)
	s_barrier
	buffer_gl0_inv
	v_cmpx_gt_i32_e64 s12, v0
	s_cbranch_execz .LBB325_12
; %bb.9:
	s_load_dwordx4 s[0:3], s[4:5], 0x0
	s_mul_hi_u32 s15, s27, s10
	s_mul_hi_i32 s29, s21, s10
	s_mul_i32 s28, s21, s10
	s_mul_i32 s8, s9, s24
	;; [unrolled: 1-line block ×4, first 2 shown]
	s_add_i32 s15, s10, s15
	s_lshl_b64 s[28:29], s[28:29], 2
	s_ashr_i32 s9, s8, 31
	s_ashr_i32 s25, s24, 31
	;; [unrolled: 1-line block ×3, first 2 shown]
	s_lshr_b32 s14, s15, s14
	s_mov_b32 s34, s17
	s_mul_hi_i32 s21, s14, s20
	s_mul_i32 s20, s14, s20
	v_lshlrev_b32_e32 v2, 3, v0
	v_lshlrev_b32_e32 v1, 2, v0
	v_mov_b32_e32 v10, 0
	v_mov_b32_e32 v11, v0
	s_waitcnt lgkmcnt(0)
	s_add_u32 s15, s2, s28
	s_addc_u32 s16, s3, s29
	s_lshl_b64 s[30:31], s[30:31], 2
	v_mov_b32_e32 v9, 0
	s_add_u32 s14, s15, s30
	s_addc_u32 s15, s16, s31
	s_lshl_b64 s[8:9], s[8:9], 1
	s_ashr_i32 s35, s17, 31
	s_add_i32 s16, s17, s17
	s_lshl_b32 s19, s17, 2
	s_lshl_b64 s[20:21], s[20:21], 1
	s_lshl_b64 s[24:25], s[24:25], 1
	s_add_u32 s0, s0, s8
	s_addc_u32 s1, s1, s9
	s_add_u32 s0, s0, s24
	s_addc_u32 s1, s1, s25
	;; [unrolled: 2-line block ×3, first 2 shown]
	s_lshl_b64 s[8:9], s[34:35], 3
	s_add_u32 s2, s2, s30
	s_addc_u32 s3, s3, s31
	s_add_u32 s2, s2, s28
	s_addc_u32 s3, s3, s29
	v_add_co_u32 v3, s2, s2, v2
	v_add_co_ci_u32_e64 v4, null, s3, 0, s2
	v_add_co_u32 v1, s0, s0, v1
	v_add_co_ci_u32_e64 v2, null, s1, 0, s0
	;; [unrolled: 2-line block ×3, first 2 shown]
	v_mov_b32_e32 v8, 0
	v_mov_b32_e32 v7, 0
	;; [unrolled: 1-line block ×3, first 2 shown]
	s_mul_i32 s1, s17, 3
.LBB325_10:                             ; =>This Inner Loop Header: Depth=1
	v_add_nc_u32_e32 v12, s16, v11
	v_add_nc_u32_e32 v16, s1, v11
	;; [unrolled: 1-line block ×3, first 2 shown]
	v_add_co_u32 v14, s0, v3, s8
	v_ashrrev_i32_e32 v13, 31, v12
	v_ashrrev_i32_e32 v17, 31, v16
	;; [unrolled: 1-line block ×3, first 2 shown]
	v_add_co_ci_u32_e64 v15, null, s9, v4, s0
	v_lshlrev_b64 v[12:13], 3, v[12:13]
	v_lshlrev_b64 v[16:17], 3, v[16:17]
	;; [unrolled: 1-line block ×3, first 2 shown]
	global_load_dword v22, v[1:2], off
	v_add_nc_u32_e32 v11, 0xc0, v11
	v_add_co_u32 v12, s0, s14, v12
	v_add_co_ci_u32_e64 v13, null, s15, v13, s0
	v_add_co_u32 v16, s0, s14, v16
	v_add_co_ci_u32_e64 v17, null, s15, v17, s0
	;; [unrolled: 2-line block ×3, first 2 shown]
	s_clause 0x1
	global_load_dwordx2 v[20:21], v[3:4], off offset:-4
	global_load_dwordx2 v[14:15], v[14:15], off offset:-4
	s_clause 0x2
	global_load_dwordx2 v[12:13], v[12:13], off
	global_load_dwordx2 v[16:17], v[16:17], off
	;; [unrolled: 1-line block ×3, first 2 shown]
	v_add_co_u32 v1, s0, 0x300, v1
	v_add_co_ci_u32_e64 v2, null, 0, v2, s0
	v_add_co_u32 v3, s0, 0x600, v3
	v_add_co_ci_u32_e64 v4, null, 0, v4, s0
	v_cmp_le_i32_e64 s0, s12, v11
	s_or_b32 s11, s0, s11
	s_waitcnt vmcnt(5)
	v_lshlrev_b32_e32 v23, 16, v22
	v_and_b32_e32 v22, 0xffff0000, v22
	s_waitcnt vmcnt(4)
	v_fmac_f32_e32 v10, v20, v23
	s_waitcnt vmcnt(3)
	v_fmac_f32_e32 v9, v14, v23
	;; [unrolled: 2-line block ×5, first 2 shown]
	v_fmac_f32_e32 v10, v21, v22
	v_fmac_f32_e32 v9, v15, v22
	;; [unrolled: 1-line block ×5, first 2 shown]
	s_andn2_b32 exec_lo, exec_lo, s11
	s_cbranch_execnz .LBB325_10
; %bb.11:
	s_or_b32 exec_lo, exec_lo, s11
.LBB325_12:
	s_or_b32 exec_lo, exec_lo, s13
	v_mbcnt_lo_u32_b32 v2, -1, 0
	v_xor_b32_e32 v1, 16, v2
	v_xor_b32_e32 v3, 8, v2
	v_cmp_gt_i32_e64 s0, 32, v1
	v_cndmask_b32_e64 v1, v2, v1, s0
	v_cmp_gt_i32_e64 s0, 32, v3
	v_lshlrev_b32_e32 v1, 2, v1
	v_cndmask_b32_e64 v3, v2, v3, s0
	ds_bpermute_b32 v4, v1, v10
	v_lshlrev_b32_e32 v3, 2, v3
	s_waitcnt lgkmcnt(0)
	v_add_f32_e32 v10, v10, v4
	v_xor_b32_e32 v4, 4, v2
	ds_bpermute_b32 v11, v3, v10
	v_cmp_gt_i32_e64 s0, 32, v4
	v_cndmask_b32_e64 v4, v2, v4, s0
	v_lshlrev_b32_e32 v4, 2, v4
	s_waitcnt lgkmcnt(0)
	v_add_f32_e32 v11, v10, v11
	v_xor_b32_e32 v10, 2, v2
	ds_bpermute_b32 v12, v4, v11
	v_cmp_gt_i32_e64 s0, 32, v10
	v_cndmask_b32_e64 v10, v2, v10, s0
	;; [unrolled: 7-line block ×3, first 2 shown]
	v_lshlrev_b32_e32 v11, 2, v2
	s_waitcnt lgkmcnt(0)
	v_add_f32_e32 v2, v12, v13
	v_lshrrev_b32_e32 v12, 3, v0
	ds_bpermute_b32 v13, v11, v2
	v_and_b32_e32 v12, 0x7c, v12
	v_add_nc_u32_e32 v12, 0, v12
	s_waitcnt lgkmcnt(0)
	v_add_f32_e32 v2, v2, v13
	ds_write_b32 v12, v2
	s_waitcnt lgkmcnt(0)
	s_barrier
	buffer_gl0_inv
	s_and_saveexec_b32 s0, vcc_lo
	s_cbranch_execz .LBB325_14
; %bb.13:
	ds_read_b32 v2, v5
	s_waitcnt lgkmcnt(0)
	ds_bpermute_b32 v13, v1, v2
	s_waitcnt lgkmcnt(0)
	v_add_f32_e32 v2, v2, v13
	ds_bpermute_b32 v13, v3, v2
	s_waitcnt lgkmcnt(0)
	v_add_f32_e32 v2, v2, v13
	ds_bpermute_b32 v13, v4, v2
	s_waitcnt lgkmcnt(0)
	v_add_f32_e32 v2, v2, v13
	ds_bpermute_b32 v13, v10, v2
	s_waitcnt lgkmcnt(0)
	v_add_f32_e32 v2, v2, v13
	ds_bpermute_b32 v13, v11, v2
	s_waitcnt lgkmcnt(0)
	v_add_f32_e32 v2, v2, v13
.LBB325_14:
	s_or_b32 exec_lo, exec_lo, s0
	ds_bpermute_b32 v13, v1, v9
	s_waitcnt lgkmcnt(0)
	s_barrier
	buffer_gl0_inv
	v_add_f32_e32 v9, v9, v13
	ds_bpermute_b32 v13, v3, v9
	s_waitcnt lgkmcnt(0)
	v_add_f32_e32 v9, v9, v13
	ds_bpermute_b32 v13, v4, v9
	s_waitcnt lgkmcnt(0)
	v_add_f32_e32 v9, v9, v13
	ds_bpermute_b32 v13, v10, v9
	s_waitcnt lgkmcnt(0)
	v_add_f32_e32 v9, v9, v13
	ds_bpermute_b32 v13, v11, v9
	s_waitcnt lgkmcnt(0)
	v_add_f32_e32 v9, v9, v13
	ds_write_b32 v12, v9
	s_waitcnt lgkmcnt(0)
	s_barrier
	buffer_gl0_inv
	s_and_saveexec_b32 s0, vcc_lo
	s_cbranch_execz .LBB325_16
; %bb.15:
	ds_read_b32 v9, v5
	s_waitcnt lgkmcnt(0)
	ds_bpermute_b32 v13, v1, v9
	s_waitcnt lgkmcnt(0)
	v_add_f32_e32 v9, v9, v13
	ds_bpermute_b32 v13, v3, v9
	s_waitcnt lgkmcnt(0)
	v_add_f32_e32 v9, v9, v13
	ds_bpermute_b32 v13, v4, v9
	s_waitcnt lgkmcnt(0)
	v_add_f32_e32 v9, v9, v13
	ds_bpermute_b32 v13, v10, v9
	s_waitcnt lgkmcnt(0)
	v_add_f32_e32 v9, v9, v13
	ds_bpermute_b32 v13, v11, v9
	s_waitcnt lgkmcnt(0)
	v_add_f32_e32 v9, v9, v13
.LBB325_16:
	s_or_b32 exec_lo, exec_lo, s0
	ds_bpermute_b32 v13, v1, v8
	s_waitcnt lgkmcnt(0)
	s_barrier
	buffer_gl0_inv
	v_add_f32_e32 v8, v8, v13
	ds_bpermute_b32 v13, v3, v8
	s_waitcnt lgkmcnt(0)
	v_add_f32_e32 v8, v8, v13
	ds_bpermute_b32 v13, v4, v8
	s_waitcnt lgkmcnt(0)
	v_add_f32_e32 v8, v8, v13
	ds_bpermute_b32 v13, v10, v8
	s_waitcnt lgkmcnt(0)
	v_add_f32_e32 v8, v8, v13
	ds_bpermute_b32 v13, v11, v8
	;; [unrolled: 43-line block ×4, first 2 shown]
	s_waitcnt lgkmcnt(0)
	v_add_f32_e32 v6, v6, v13
	ds_write_b32 v12, v6
	s_waitcnt lgkmcnt(0)
	s_barrier
	buffer_gl0_inv
	s_and_saveexec_b32 s0, vcc_lo
	s_cbranch_execz .LBB325_22
; %bb.21:
	ds_read_b32 v5, v5
	s_waitcnt lgkmcnt(0)
	ds_bpermute_b32 v1, v1, v5
	s_waitcnt lgkmcnt(0)
	v_add_f32_e32 v1, v5, v1
	ds_bpermute_b32 v3, v3, v1
	s_waitcnt lgkmcnt(0)
	v_add_f32_e32 v1, v1, v3
	;; [unrolled: 3-line block ×5, first 2 shown]
.LBB325_22:
	s_or_b32 exec_lo, exec_lo, s0
	s_barrier
	buffer_gl0_inv
	s_mov_b32 s0, exec_lo
	v_cmpx_gt_u32_e32 5, v0
	s_cbranch_execz .LBB325_24
; %bb.23:
	s_load_dwordx2 s[0:1], s[4:5], 0x38
	v_cmp_eq_u32_e32 vcc_lo, 1, v0
	v_mad_u64_u32 v[3:4], null, s18, v0, s[6:7]
	s_mul_hi_i32 s3, s22, s10
	s_mul_i32 s2, s22, s10
	v_cndmask_b32_e32 v1, v2, v9, vcc_lo
	v_cmp_eq_u32_e32 vcc_lo, 2, v0
	s_mul_i32 s4, s26, s7
	s_lshl_b64 s[2:3], s[2:3], 2
	v_ashrrev_i32_e32 v4, 31, v3
	s_ashr_i32 s5, s4, 31
	v_cndmask_b32_e32 v1, v1, v8, vcc_lo
	v_cmp_eq_u32_e32 vcc_lo, 3, v0
	v_cndmask_b32_e32 v5, v1, v7, vcc_lo
	v_lshlrev_b64 v[1:2], 2, v[3:4]
	s_waitcnt lgkmcnt(0)
	s_add_u32 s2, s0, s2
	v_cmp_eq_u32_e32 vcc_lo, 4, v0
	s_addc_u32 s3, s1, s3
	s_lshl_b64 s[0:1], s[4:5], 2
	s_add_u32 s0, s2, s0
	v_cndmask_b32_e32 v3, v5, v6, vcc_lo
	s_addc_u32 s1, s3, s1
	v_add_co_u32 v0, vcc_lo, s0, v1
	v_add_co_ci_u32_e64 v1, null, s1, v2, vcc_lo
	global_store_dword v[0:1], v3, off
.LBB325_24:
	s_endpgm
	.section	.rodata,"a",@progbits
	.p2align	6, 0x0
	.amdhsa_kernel _ZL13mul_mat_vec_fI14__hip_bfloat16fLi5ELi192ELb0ELb0EEvPKT_PKfPKi31ggml_cuda_mm_fusion_args_devicePfi15HIP_vector_typeIjLj3EEiiiSB_iiiSB_iiii
		.amdhsa_group_segment_fixed_size 0
		.amdhsa_private_segment_fixed_size 0
		.amdhsa_kernarg_size 144
		.amdhsa_user_sgpr_count 6
		.amdhsa_user_sgpr_private_segment_buffer 1
		.amdhsa_user_sgpr_dispatch_ptr 0
		.amdhsa_user_sgpr_queue_ptr 0
		.amdhsa_user_sgpr_kernarg_segment_ptr 1
		.amdhsa_user_sgpr_dispatch_id 0
		.amdhsa_user_sgpr_flat_scratch_init 0
		.amdhsa_user_sgpr_private_segment_size 0
		.amdhsa_wavefront_size32 1
		.amdhsa_uses_dynamic_stack 0
		.amdhsa_system_sgpr_private_segment_wavefront_offset 0
		.amdhsa_system_sgpr_workgroup_id_x 1
		.amdhsa_system_sgpr_workgroup_id_y 1
		.amdhsa_system_sgpr_workgroup_id_z 1
		.amdhsa_system_sgpr_workgroup_info 0
		.amdhsa_system_vgpr_workitem_id 0
		.amdhsa_next_free_vgpr 24
		.amdhsa_next_free_sgpr 36
		.amdhsa_reserve_vcc 1
		.amdhsa_reserve_flat_scratch 0
		.amdhsa_float_round_mode_32 0
		.amdhsa_float_round_mode_16_64 0
		.amdhsa_float_denorm_mode_32 3
		.amdhsa_float_denorm_mode_16_64 3
		.amdhsa_dx10_clamp 1
		.amdhsa_ieee_mode 1
		.amdhsa_fp16_overflow 0
		.amdhsa_workgroup_processor_mode 1
		.amdhsa_memory_ordered 1
		.amdhsa_forward_progress 1
		.amdhsa_shared_vgpr_count 0
		.amdhsa_exception_fp_ieee_invalid_op 0
		.amdhsa_exception_fp_denorm_src 0
		.amdhsa_exception_fp_ieee_div_zero 0
		.amdhsa_exception_fp_ieee_overflow 0
		.amdhsa_exception_fp_ieee_underflow 0
		.amdhsa_exception_fp_ieee_inexact 0
		.amdhsa_exception_int_div_zero 0
	.end_amdhsa_kernel
	.section	.text._ZL13mul_mat_vec_fI14__hip_bfloat16fLi5ELi192ELb0ELb0EEvPKT_PKfPKi31ggml_cuda_mm_fusion_args_devicePfi15HIP_vector_typeIjLj3EEiiiSB_iiiSB_iiii,"axG",@progbits,_ZL13mul_mat_vec_fI14__hip_bfloat16fLi5ELi192ELb0ELb0EEvPKT_PKfPKi31ggml_cuda_mm_fusion_args_devicePfi15HIP_vector_typeIjLj3EEiiiSB_iiiSB_iiii,comdat
.Lfunc_end325:
	.size	_ZL13mul_mat_vec_fI14__hip_bfloat16fLi5ELi192ELb0ELb0EEvPKT_PKfPKi31ggml_cuda_mm_fusion_args_devicePfi15HIP_vector_typeIjLj3EEiiiSB_iiiSB_iiii, .Lfunc_end325-_ZL13mul_mat_vec_fI14__hip_bfloat16fLi5ELi192ELb0ELb0EEvPKT_PKfPKi31ggml_cuda_mm_fusion_args_devicePfi15HIP_vector_typeIjLj3EEiiiSB_iiiSB_iiii
                                        ; -- End function
	.set _ZL13mul_mat_vec_fI14__hip_bfloat16fLi5ELi192ELb0ELb0EEvPKT_PKfPKi31ggml_cuda_mm_fusion_args_devicePfi15HIP_vector_typeIjLj3EEiiiSB_iiiSB_iiii.num_vgpr, 24
	.set _ZL13mul_mat_vec_fI14__hip_bfloat16fLi5ELi192ELb0ELb0EEvPKT_PKfPKi31ggml_cuda_mm_fusion_args_devicePfi15HIP_vector_typeIjLj3EEiiiSB_iiiSB_iiii.num_agpr, 0
	.set _ZL13mul_mat_vec_fI14__hip_bfloat16fLi5ELi192ELb0ELb0EEvPKT_PKfPKi31ggml_cuda_mm_fusion_args_devicePfi15HIP_vector_typeIjLj3EEiiiSB_iiiSB_iiii.numbered_sgpr, 36
	.set _ZL13mul_mat_vec_fI14__hip_bfloat16fLi5ELi192ELb0ELb0EEvPKT_PKfPKi31ggml_cuda_mm_fusion_args_devicePfi15HIP_vector_typeIjLj3EEiiiSB_iiiSB_iiii.num_named_barrier, 0
	.set _ZL13mul_mat_vec_fI14__hip_bfloat16fLi5ELi192ELb0ELb0EEvPKT_PKfPKi31ggml_cuda_mm_fusion_args_devicePfi15HIP_vector_typeIjLj3EEiiiSB_iiiSB_iiii.private_seg_size, 0
	.set _ZL13mul_mat_vec_fI14__hip_bfloat16fLi5ELi192ELb0ELb0EEvPKT_PKfPKi31ggml_cuda_mm_fusion_args_devicePfi15HIP_vector_typeIjLj3EEiiiSB_iiiSB_iiii.uses_vcc, 1
	.set _ZL13mul_mat_vec_fI14__hip_bfloat16fLi5ELi192ELb0ELb0EEvPKT_PKfPKi31ggml_cuda_mm_fusion_args_devicePfi15HIP_vector_typeIjLj3EEiiiSB_iiiSB_iiii.uses_flat_scratch, 0
	.set _ZL13mul_mat_vec_fI14__hip_bfloat16fLi5ELi192ELb0ELb0EEvPKT_PKfPKi31ggml_cuda_mm_fusion_args_devicePfi15HIP_vector_typeIjLj3EEiiiSB_iiiSB_iiii.has_dyn_sized_stack, 0
	.set _ZL13mul_mat_vec_fI14__hip_bfloat16fLi5ELi192ELb0ELb0EEvPKT_PKfPKi31ggml_cuda_mm_fusion_args_devicePfi15HIP_vector_typeIjLj3EEiiiSB_iiiSB_iiii.has_recursion, 0
	.set _ZL13mul_mat_vec_fI14__hip_bfloat16fLi5ELi192ELb0ELb0EEvPKT_PKfPKi31ggml_cuda_mm_fusion_args_devicePfi15HIP_vector_typeIjLj3EEiiiSB_iiiSB_iiii.has_indirect_call, 0
	.section	.AMDGPU.csdata,"",@progbits
; Kernel info:
; codeLenInByte = 2216
; TotalNumSgprs: 38
; NumVgprs: 24
; ScratchSize: 0
; MemoryBound: 0
; FloatMode: 240
; IeeeMode: 1
; LDSByteSize: 0 bytes/workgroup (compile time only)
; SGPRBlocks: 0
; VGPRBlocks: 2
; NumSGPRsForWavesPerEU: 38
; NumVGPRsForWavesPerEU: 24
; Occupancy: 16
; WaveLimiterHint : 0
; COMPUTE_PGM_RSRC2:SCRATCH_EN: 0
; COMPUTE_PGM_RSRC2:USER_SGPR: 6
; COMPUTE_PGM_RSRC2:TRAP_HANDLER: 0
; COMPUTE_PGM_RSRC2:TGID_X_EN: 1
; COMPUTE_PGM_RSRC2:TGID_Y_EN: 1
; COMPUTE_PGM_RSRC2:TGID_Z_EN: 1
; COMPUTE_PGM_RSRC2:TIDIG_COMP_CNT: 0
	.section	.text._ZL13mul_mat_vec_fI14__hip_bfloat16fLi5ELi224ELb0ELb0EEvPKT_PKfPKi31ggml_cuda_mm_fusion_args_devicePfi15HIP_vector_typeIjLj3EEiiiSB_iiiSB_iiii,"axG",@progbits,_ZL13mul_mat_vec_fI14__hip_bfloat16fLi5ELi224ELb0ELb0EEvPKT_PKfPKi31ggml_cuda_mm_fusion_args_devicePfi15HIP_vector_typeIjLj3EEiiiSB_iiiSB_iiii,comdat
	.globl	_ZL13mul_mat_vec_fI14__hip_bfloat16fLi5ELi224ELb0ELb0EEvPKT_PKfPKi31ggml_cuda_mm_fusion_args_devicePfi15HIP_vector_typeIjLj3EEiiiSB_iiiSB_iiii ; -- Begin function _ZL13mul_mat_vec_fI14__hip_bfloat16fLi5ELi224ELb0ELb0EEvPKT_PKfPKi31ggml_cuda_mm_fusion_args_devicePfi15HIP_vector_typeIjLj3EEiiiSB_iiiSB_iiii
	.p2align	8
	.type	_ZL13mul_mat_vec_fI14__hip_bfloat16fLi5ELi224ELb0ELb0EEvPKT_PKfPKi31ggml_cuda_mm_fusion_args_devicePfi15HIP_vector_typeIjLj3EEiiiSB_iiiSB_iiii,@function
_ZL13mul_mat_vec_fI14__hip_bfloat16fLi5ELi224ELb0ELb0EEvPKT_PKfPKi31ggml_cuda_mm_fusion_args_devicePfi15HIP_vector_typeIjLj3EEiiiSB_iiiSB_iiii: ; @_ZL13mul_mat_vec_fI14__hip_bfloat16fLi5ELi224ELb0ELb0EEvPKT_PKfPKi31ggml_cuda_mm_fusion_args_devicePfi15HIP_vector_typeIjLj3EEiiiSB_iiiSB_iiii
; %bb.0:
	s_clause 0x2
	s_load_dwordx2 s[0:1], s[4:5], 0x10
	s_load_dwordx8 s[12:19], s[4:5], 0x40
	s_load_dwordx4 s[20:23], s[4:5], 0x80
	s_waitcnt lgkmcnt(0)
	s_cmp_eq_u64 s[0:1], 0
	s_cselect_b32 s10, -1, 0
	s_cmp_lg_u64 s[0:1], 0
	s_cselect_b32 s11, -1, 0
	s_and_b32 vcc_lo, exec_lo, s10
	s_cbranch_vccnz .LBB326_2
; %bb.1:
	s_mul_i32 s2, s23, s8
	s_mov_b32 s3, 0
	s_add_i32 s2, s2, s7
	s_lshl_b64 s[24:25], s[2:3], 2
	s_add_u32 s0, s0, s24
	s_addc_u32 s1, s1, s25
	s_load_dword s9, s[0:1], 0x0
	s_cbranch_execz .LBB326_3
	s_branch .LBB326_4
.LBB326_2:
                                        ; implicit-def: $sgpr9
.LBB326_3:
	s_load_dwordx2 s[0:1], s[4:5], 0x5c
	s_waitcnt lgkmcnt(0)
	s_mul_hi_u32 s0, s0, s7
	s_add_i32 s0, s7, s0
	s_lshr_b32 s9, s0, s1
.LBB326_4:
	s_load_dwordx4 s[24:27], s[4:5], 0x68
	s_andn2_b32 vcc_lo, exec_lo, s11
	s_mov_b32 s19, s7
	s_cbranch_vccnz .LBB326_6
; %bb.5:
	s_mul_hi_u32 s0, s13, s7
	s_add_i32 s0, s7, s0
	s_lshr_b32 s0, s0, s14
	s_mul_i32 s0, s0, s15
	s_sub_i32 s19, s7, s0
.LBB326_6:
	s_load_dword s14, s[4:5], 0x78
	v_cmp_gt_u32_e32 vcc_lo, 32, v0
	v_lshl_add_u32 v5, v0, 2, 0
	s_and_saveexec_b32 s0, vcc_lo
; %bb.7:
	v_mov_b32_e32 v1, 0
	ds_write_b32 v5, v1
; %bb.8:
	s_or_b32 exec_lo, exec_lo, s0
	v_mov_b32_e32 v6, 0
	v_mov_b32_e32 v7, 0
	;; [unrolled: 1-line block ×5, first 2 shown]
	s_and_b32 s0, exec_lo, s10
	s_mov_b32 s11, 0
	s_cselect_b32 s10, s8, 0
	s_mov_b32 s13, exec_lo
	s_waitcnt lgkmcnt(0)
	s_barrier
	buffer_gl0_inv
	v_cmpx_gt_i32_e64 s12, v0
	s_cbranch_execz .LBB326_12
; %bb.9:
	s_load_dwordx4 s[0:3], s[4:5], 0x0
	s_mul_hi_u32 s15, s27, s10
	s_mul_hi_i32 s29, s21, s10
	s_mul_i32 s28, s21, s10
	s_mul_i32 s8, s9, s24
	;; [unrolled: 1-line block ×4, first 2 shown]
	s_add_i32 s15, s10, s15
	s_lshl_b64 s[28:29], s[28:29], 2
	s_ashr_i32 s9, s8, 31
	s_ashr_i32 s25, s24, 31
	;; [unrolled: 1-line block ×3, first 2 shown]
	s_lshr_b32 s14, s15, s14
	s_mov_b32 s34, s17
	s_mul_hi_i32 s21, s14, s20
	s_mul_i32 s20, s14, s20
	v_lshlrev_b32_e32 v2, 3, v0
	v_lshlrev_b32_e32 v1, 2, v0
	v_mov_b32_e32 v10, 0
	v_mov_b32_e32 v11, v0
	s_waitcnt lgkmcnt(0)
	s_add_u32 s15, s2, s28
	s_addc_u32 s16, s3, s29
	s_lshl_b64 s[30:31], s[30:31], 2
	v_mov_b32_e32 v9, 0
	s_add_u32 s14, s15, s30
	s_addc_u32 s15, s16, s31
	s_lshl_b64 s[8:9], s[8:9], 1
	s_ashr_i32 s35, s17, 31
	s_add_i32 s16, s17, s17
	s_lshl_b32 s19, s17, 2
	s_lshl_b64 s[20:21], s[20:21], 1
	s_lshl_b64 s[24:25], s[24:25], 1
	s_add_u32 s0, s0, s8
	s_addc_u32 s1, s1, s9
	s_add_u32 s0, s0, s24
	s_addc_u32 s1, s1, s25
	;; [unrolled: 2-line block ×3, first 2 shown]
	s_lshl_b64 s[8:9], s[34:35], 3
	s_add_u32 s2, s2, s30
	s_addc_u32 s3, s3, s31
	s_add_u32 s2, s2, s28
	s_addc_u32 s3, s3, s29
	v_add_co_u32 v3, s2, s2, v2
	v_add_co_ci_u32_e64 v4, null, s3, 0, s2
	v_add_co_u32 v1, s0, s0, v1
	v_add_co_ci_u32_e64 v2, null, s1, 0, s0
	;; [unrolled: 2-line block ×3, first 2 shown]
	v_mov_b32_e32 v8, 0
	v_mov_b32_e32 v7, 0
	;; [unrolled: 1-line block ×3, first 2 shown]
	s_mul_i32 s1, s17, 3
.LBB326_10:                             ; =>This Inner Loop Header: Depth=1
	v_add_nc_u32_e32 v12, s16, v11
	v_add_nc_u32_e32 v16, s1, v11
	;; [unrolled: 1-line block ×3, first 2 shown]
	v_add_co_u32 v14, s0, v3, s8
	v_ashrrev_i32_e32 v13, 31, v12
	v_ashrrev_i32_e32 v17, 31, v16
	;; [unrolled: 1-line block ×3, first 2 shown]
	v_add_co_ci_u32_e64 v15, null, s9, v4, s0
	v_lshlrev_b64 v[12:13], 3, v[12:13]
	v_lshlrev_b64 v[16:17], 3, v[16:17]
	;; [unrolled: 1-line block ×3, first 2 shown]
	global_load_dword v22, v[1:2], off
	v_add_nc_u32_e32 v11, 0xe0, v11
	v_add_co_u32 v12, s0, s14, v12
	v_add_co_ci_u32_e64 v13, null, s15, v13, s0
	v_add_co_u32 v16, s0, s14, v16
	v_add_co_ci_u32_e64 v17, null, s15, v17, s0
	;; [unrolled: 2-line block ×3, first 2 shown]
	s_clause 0x1
	global_load_dwordx2 v[20:21], v[3:4], off offset:-4
	global_load_dwordx2 v[14:15], v[14:15], off offset:-4
	s_clause 0x2
	global_load_dwordx2 v[12:13], v[12:13], off
	global_load_dwordx2 v[16:17], v[16:17], off
	;; [unrolled: 1-line block ×3, first 2 shown]
	v_add_co_u32 v1, s0, 0x380, v1
	v_add_co_ci_u32_e64 v2, null, 0, v2, s0
	v_add_co_u32 v3, s0, 0x700, v3
	v_add_co_ci_u32_e64 v4, null, 0, v4, s0
	v_cmp_le_i32_e64 s0, s12, v11
	s_or_b32 s11, s0, s11
	s_waitcnt vmcnt(5)
	v_lshlrev_b32_e32 v23, 16, v22
	v_and_b32_e32 v22, 0xffff0000, v22
	s_waitcnt vmcnt(4)
	v_fmac_f32_e32 v10, v20, v23
	s_waitcnt vmcnt(3)
	v_fmac_f32_e32 v9, v14, v23
	s_waitcnt vmcnt(2)
	v_fmac_f32_e32 v8, v12, v23
	s_waitcnt vmcnt(1)
	v_fmac_f32_e32 v7, v16, v23
	s_waitcnt vmcnt(0)
	v_fmac_f32_e32 v6, v18, v23
	v_fmac_f32_e32 v10, v21, v22
	v_fmac_f32_e32 v9, v15, v22
	;; [unrolled: 1-line block ×5, first 2 shown]
	s_andn2_b32 exec_lo, exec_lo, s11
	s_cbranch_execnz .LBB326_10
; %bb.11:
	s_or_b32 exec_lo, exec_lo, s11
.LBB326_12:
	s_or_b32 exec_lo, exec_lo, s13
	v_mbcnt_lo_u32_b32 v2, -1, 0
	v_xor_b32_e32 v1, 16, v2
	v_xor_b32_e32 v3, 8, v2
	v_cmp_gt_i32_e64 s0, 32, v1
	v_cndmask_b32_e64 v1, v2, v1, s0
	v_cmp_gt_i32_e64 s0, 32, v3
	v_lshlrev_b32_e32 v1, 2, v1
	v_cndmask_b32_e64 v3, v2, v3, s0
	ds_bpermute_b32 v4, v1, v10
	v_lshlrev_b32_e32 v3, 2, v3
	s_waitcnt lgkmcnt(0)
	v_add_f32_e32 v10, v10, v4
	v_xor_b32_e32 v4, 4, v2
	ds_bpermute_b32 v11, v3, v10
	v_cmp_gt_i32_e64 s0, 32, v4
	v_cndmask_b32_e64 v4, v2, v4, s0
	v_lshlrev_b32_e32 v4, 2, v4
	s_waitcnt lgkmcnt(0)
	v_add_f32_e32 v11, v10, v11
	v_xor_b32_e32 v10, 2, v2
	ds_bpermute_b32 v12, v4, v11
	v_cmp_gt_i32_e64 s0, 32, v10
	v_cndmask_b32_e64 v10, v2, v10, s0
	;; [unrolled: 7-line block ×3, first 2 shown]
	v_lshlrev_b32_e32 v11, 2, v2
	s_waitcnt lgkmcnt(0)
	v_add_f32_e32 v2, v12, v13
	v_lshrrev_b32_e32 v12, 3, v0
	ds_bpermute_b32 v13, v11, v2
	v_and_b32_e32 v12, 0x7c, v12
	v_add_nc_u32_e32 v12, 0, v12
	s_waitcnt lgkmcnt(0)
	v_add_f32_e32 v2, v2, v13
	ds_write_b32 v12, v2
	s_waitcnt lgkmcnt(0)
	s_barrier
	buffer_gl0_inv
	s_and_saveexec_b32 s0, vcc_lo
	s_cbranch_execz .LBB326_14
; %bb.13:
	ds_read_b32 v2, v5
	s_waitcnt lgkmcnt(0)
	ds_bpermute_b32 v13, v1, v2
	s_waitcnt lgkmcnt(0)
	v_add_f32_e32 v2, v2, v13
	ds_bpermute_b32 v13, v3, v2
	s_waitcnt lgkmcnt(0)
	v_add_f32_e32 v2, v2, v13
	ds_bpermute_b32 v13, v4, v2
	s_waitcnt lgkmcnt(0)
	v_add_f32_e32 v2, v2, v13
	ds_bpermute_b32 v13, v10, v2
	s_waitcnt lgkmcnt(0)
	v_add_f32_e32 v2, v2, v13
	ds_bpermute_b32 v13, v11, v2
	s_waitcnt lgkmcnt(0)
	v_add_f32_e32 v2, v2, v13
.LBB326_14:
	s_or_b32 exec_lo, exec_lo, s0
	ds_bpermute_b32 v13, v1, v9
	s_waitcnt lgkmcnt(0)
	s_barrier
	buffer_gl0_inv
	v_add_f32_e32 v9, v9, v13
	ds_bpermute_b32 v13, v3, v9
	s_waitcnt lgkmcnt(0)
	v_add_f32_e32 v9, v9, v13
	ds_bpermute_b32 v13, v4, v9
	s_waitcnt lgkmcnt(0)
	v_add_f32_e32 v9, v9, v13
	ds_bpermute_b32 v13, v10, v9
	s_waitcnt lgkmcnt(0)
	v_add_f32_e32 v9, v9, v13
	ds_bpermute_b32 v13, v11, v9
	s_waitcnt lgkmcnt(0)
	v_add_f32_e32 v9, v9, v13
	ds_write_b32 v12, v9
	s_waitcnt lgkmcnt(0)
	s_barrier
	buffer_gl0_inv
	s_and_saveexec_b32 s0, vcc_lo
	s_cbranch_execz .LBB326_16
; %bb.15:
	ds_read_b32 v9, v5
	s_waitcnt lgkmcnt(0)
	ds_bpermute_b32 v13, v1, v9
	s_waitcnt lgkmcnt(0)
	v_add_f32_e32 v9, v9, v13
	ds_bpermute_b32 v13, v3, v9
	s_waitcnt lgkmcnt(0)
	v_add_f32_e32 v9, v9, v13
	ds_bpermute_b32 v13, v4, v9
	s_waitcnt lgkmcnt(0)
	v_add_f32_e32 v9, v9, v13
	ds_bpermute_b32 v13, v10, v9
	s_waitcnt lgkmcnt(0)
	v_add_f32_e32 v9, v9, v13
	ds_bpermute_b32 v13, v11, v9
	s_waitcnt lgkmcnt(0)
	v_add_f32_e32 v9, v9, v13
.LBB326_16:
	s_or_b32 exec_lo, exec_lo, s0
	ds_bpermute_b32 v13, v1, v8
	s_waitcnt lgkmcnt(0)
	s_barrier
	buffer_gl0_inv
	v_add_f32_e32 v8, v8, v13
	ds_bpermute_b32 v13, v3, v8
	s_waitcnt lgkmcnt(0)
	v_add_f32_e32 v8, v8, v13
	ds_bpermute_b32 v13, v4, v8
	s_waitcnt lgkmcnt(0)
	v_add_f32_e32 v8, v8, v13
	ds_bpermute_b32 v13, v10, v8
	s_waitcnt lgkmcnt(0)
	v_add_f32_e32 v8, v8, v13
	ds_bpermute_b32 v13, v11, v8
	;; [unrolled: 43-line block ×4, first 2 shown]
	s_waitcnt lgkmcnt(0)
	v_add_f32_e32 v6, v6, v13
	ds_write_b32 v12, v6
	s_waitcnt lgkmcnt(0)
	s_barrier
	buffer_gl0_inv
	s_and_saveexec_b32 s0, vcc_lo
	s_cbranch_execz .LBB326_22
; %bb.21:
	ds_read_b32 v5, v5
	s_waitcnt lgkmcnt(0)
	ds_bpermute_b32 v1, v1, v5
	s_waitcnt lgkmcnt(0)
	v_add_f32_e32 v1, v5, v1
	ds_bpermute_b32 v3, v3, v1
	s_waitcnt lgkmcnt(0)
	v_add_f32_e32 v1, v1, v3
	;; [unrolled: 3-line block ×5, first 2 shown]
.LBB326_22:
	s_or_b32 exec_lo, exec_lo, s0
	s_barrier
	buffer_gl0_inv
	s_mov_b32 s0, exec_lo
	v_cmpx_gt_u32_e32 5, v0
	s_cbranch_execz .LBB326_24
; %bb.23:
	s_load_dwordx2 s[0:1], s[4:5], 0x38
	v_cmp_eq_u32_e32 vcc_lo, 1, v0
	v_mad_u64_u32 v[3:4], null, s18, v0, s[6:7]
	s_mul_hi_i32 s3, s22, s10
	s_mul_i32 s2, s22, s10
	v_cndmask_b32_e32 v1, v2, v9, vcc_lo
	v_cmp_eq_u32_e32 vcc_lo, 2, v0
	s_mul_i32 s4, s26, s7
	s_lshl_b64 s[2:3], s[2:3], 2
	v_ashrrev_i32_e32 v4, 31, v3
	s_ashr_i32 s5, s4, 31
	v_cndmask_b32_e32 v1, v1, v8, vcc_lo
	v_cmp_eq_u32_e32 vcc_lo, 3, v0
	v_cndmask_b32_e32 v5, v1, v7, vcc_lo
	v_lshlrev_b64 v[1:2], 2, v[3:4]
	s_waitcnt lgkmcnt(0)
	s_add_u32 s2, s0, s2
	v_cmp_eq_u32_e32 vcc_lo, 4, v0
	s_addc_u32 s3, s1, s3
	s_lshl_b64 s[0:1], s[4:5], 2
	s_add_u32 s0, s2, s0
	v_cndmask_b32_e32 v3, v5, v6, vcc_lo
	s_addc_u32 s1, s3, s1
	v_add_co_u32 v0, vcc_lo, s0, v1
	v_add_co_ci_u32_e64 v1, null, s1, v2, vcc_lo
	global_store_dword v[0:1], v3, off
.LBB326_24:
	s_endpgm
	.section	.rodata,"a",@progbits
	.p2align	6, 0x0
	.amdhsa_kernel _ZL13mul_mat_vec_fI14__hip_bfloat16fLi5ELi224ELb0ELb0EEvPKT_PKfPKi31ggml_cuda_mm_fusion_args_devicePfi15HIP_vector_typeIjLj3EEiiiSB_iiiSB_iiii
		.amdhsa_group_segment_fixed_size 0
		.amdhsa_private_segment_fixed_size 0
		.amdhsa_kernarg_size 144
		.amdhsa_user_sgpr_count 6
		.amdhsa_user_sgpr_private_segment_buffer 1
		.amdhsa_user_sgpr_dispatch_ptr 0
		.amdhsa_user_sgpr_queue_ptr 0
		.amdhsa_user_sgpr_kernarg_segment_ptr 1
		.amdhsa_user_sgpr_dispatch_id 0
		.amdhsa_user_sgpr_flat_scratch_init 0
		.amdhsa_user_sgpr_private_segment_size 0
		.amdhsa_wavefront_size32 1
		.amdhsa_uses_dynamic_stack 0
		.amdhsa_system_sgpr_private_segment_wavefront_offset 0
		.amdhsa_system_sgpr_workgroup_id_x 1
		.amdhsa_system_sgpr_workgroup_id_y 1
		.amdhsa_system_sgpr_workgroup_id_z 1
		.amdhsa_system_sgpr_workgroup_info 0
		.amdhsa_system_vgpr_workitem_id 0
		.amdhsa_next_free_vgpr 24
		.amdhsa_next_free_sgpr 36
		.amdhsa_reserve_vcc 1
		.amdhsa_reserve_flat_scratch 0
		.amdhsa_float_round_mode_32 0
		.amdhsa_float_round_mode_16_64 0
		.amdhsa_float_denorm_mode_32 3
		.amdhsa_float_denorm_mode_16_64 3
		.amdhsa_dx10_clamp 1
		.amdhsa_ieee_mode 1
		.amdhsa_fp16_overflow 0
		.amdhsa_workgroup_processor_mode 1
		.amdhsa_memory_ordered 1
		.amdhsa_forward_progress 1
		.amdhsa_shared_vgpr_count 0
		.amdhsa_exception_fp_ieee_invalid_op 0
		.amdhsa_exception_fp_denorm_src 0
		.amdhsa_exception_fp_ieee_div_zero 0
		.amdhsa_exception_fp_ieee_overflow 0
		.amdhsa_exception_fp_ieee_underflow 0
		.amdhsa_exception_fp_ieee_inexact 0
		.amdhsa_exception_int_div_zero 0
	.end_amdhsa_kernel
	.section	.text._ZL13mul_mat_vec_fI14__hip_bfloat16fLi5ELi224ELb0ELb0EEvPKT_PKfPKi31ggml_cuda_mm_fusion_args_devicePfi15HIP_vector_typeIjLj3EEiiiSB_iiiSB_iiii,"axG",@progbits,_ZL13mul_mat_vec_fI14__hip_bfloat16fLi5ELi224ELb0ELb0EEvPKT_PKfPKi31ggml_cuda_mm_fusion_args_devicePfi15HIP_vector_typeIjLj3EEiiiSB_iiiSB_iiii,comdat
.Lfunc_end326:
	.size	_ZL13mul_mat_vec_fI14__hip_bfloat16fLi5ELi224ELb0ELb0EEvPKT_PKfPKi31ggml_cuda_mm_fusion_args_devicePfi15HIP_vector_typeIjLj3EEiiiSB_iiiSB_iiii, .Lfunc_end326-_ZL13mul_mat_vec_fI14__hip_bfloat16fLi5ELi224ELb0ELb0EEvPKT_PKfPKi31ggml_cuda_mm_fusion_args_devicePfi15HIP_vector_typeIjLj3EEiiiSB_iiiSB_iiii
                                        ; -- End function
	.set _ZL13mul_mat_vec_fI14__hip_bfloat16fLi5ELi224ELb0ELb0EEvPKT_PKfPKi31ggml_cuda_mm_fusion_args_devicePfi15HIP_vector_typeIjLj3EEiiiSB_iiiSB_iiii.num_vgpr, 24
	.set _ZL13mul_mat_vec_fI14__hip_bfloat16fLi5ELi224ELb0ELb0EEvPKT_PKfPKi31ggml_cuda_mm_fusion_args_devicePfi15HIP_vector_typeIjLj3EEiiiSB_iiiSB_iiii.num_agpr, 0
	.set _ZL13mul_mat_vec_fI14__hip_bfloat16fLi5ELi224ELb0ELb0EEvPKT_PKfPKi31ggml_cuda_mm_fusion_args_devicePfi15HIP_vector_typeIjLj3EEiiiSB_iiiSB_iiii.numbered_sgpr, 36
	.set _ZL13mul_mat_vec_fI14__hip_bfloat16fLi5ELi224ELb0ELb0EEvPKT_PKfPKi31ggml_cuda_mm_fusion_args_devicePfi15HIP_vector_typeIjLj3EEiiiSB_iiiSB_iiii.num_named_barrier, 0
	.set _ZL13mul_mat_vec_fI14__hip_bfloat16fLi5ELi224ELb0ELb0EEvPKT_PKfPKi31ggml_cuda_mm_fusion_args_devicePfi15HIP_vector_typeIjLj3EEiiiSB_iiiSB_iiii.private_seg_size, 0
	.set _ZL13mul_mat_vec_fI14__hip_bfloat16fLi5ELi224ELb0ELb0EEvPKT_PKfPKi31ggml_cuda_mm_fusion_args_devicePfi15HIP_vector_typeIjLj3EEiiiSB_iiiSB_iiii.uses_vcc, 1
	.set _ZL13mul_mat_vec_fI14__hip_bfloat16fLi5ELi224ELb0ELb0EEvPKT_PKfPKi31ggml_cuda_mm_fusion_args_devicePfi15HIP_vector_typeIjLj3EEiiiSB_iiiSB_iiii.uses_flat_scratch, 0
	.set _ZL13mul_mat_vec_fI14__hip_bfloat16fLi5ELi224ELb0ELb0EEvPKT_PKfPKi31ggml_cuda_mm_fusion_args_devicePfi15HIP_vector_typeIjLj3EEiiiSB_iiiSB_iiii.has_dyn_sized_stack, 0
	.set _ZL13mul_mat_vec_fI14__hip_bfloat16fLi5ELi224ELb0ELb0EEvPKT_PKfPKi31ggml_cuda_mm_fusion_args_devicePfi15HIP_vector_typeIjLj3EEiiiSB_iiiSB_iiii.has_recursion, 0
	.set _ZL13mul_mat_vec_fI14__hip_bfloat16fLi5ELi224ELb0ELb0EEvPKT_PKfPKi31ggml_cuda_mm_fusion_args_devicePfi15HIP_vector_typeIjLj3EEiiiSB_iiiSB_iiii.has_indirect_call, 0
	.section	.AMDGPU.csdata,"",@progbits
; Kernel info:
; codeLenInByte = 2216
; TotalNumSgprs: 38
; NumVgprs: 24
; ScratchSize: 0
; MemoryBound: 0
; FloatMode: 240
; IeeeMode: 1
; LDSByteSize: 0 bytes/workgroup (compile time only)
; SGPRBlocks: 0
; VGPRBlocks: 2
; NumSGPRsForWavesPerEU: 38
; NumVGPRsForWavesPerEU: 24
; Occupancy: 16
; WaveLimiterHint : 0
; COMPUTE_PGM_RSRC2:SCRATCH_EN: 0
; COMPUTE_PGM_RSRC2:USER_SGPR: 6
; COMPUTE_PGM_RSRC2:TRAP_HANDLER: 0
; COMPUTE_PGM_RSRC2:TGID_X_EN: 1
; COMPUTE_PGM_RSRC2:TGID_Y_EN: 1
; COMPUTE_PGM_RSRC2:TGID_Z_EN: 1
; COMPUTE_PGM_RSRC2:TIDIG_COMP_CNT: 0
	.section	.text._ZL13mul_mat_vec_fI14__hip_bfloat16fLi5ELi256ELb0ELb0EEvPKT_PKfPKi31ggml_cuda_mm_fusion_args_devicePfi15HIP_vector_typeIjLj3EEiiiSB_iiiSB_iiii,"axG",@progbits,_ZL13mul_mat_vec_fI14__hip_bfloat16fLi5ELi256ELb0ELb0EEvPKT_PKfPKi31ggml_cuda_mm_fusion_args_devicePfi15HIP_vector_typeIjLj3EEiiiSB_iiiSB_iiii,comdat
	.globl	_ZL13mul_mat_vec_fI14__hip_bfloat16fLi5ELi256ELb0ELb0EEvPKT_PKfPKi31ggml_cuda_mm_fusion_args_devicePfi15HIP_vector_typeIjLj3EEiiiSB_iiiSB_iiii ; -- Begin function _ZL13mul_mat_vec_fI14__hip_bfloat16fLi5ELi256ELb0ELb0EEvPKT_PKfPKi31ggml_cuda_mm_fusion_args_devicePfi15HIP_vector_typeIjLj3EEiiiSB_iiiSB_iiii
	.p2align	8
	.type	_ZL13mul_mat_vec_fI14__hip_bfloat16fLi5ELi256ELb0ELb0EEvPKT_PKfPKi31ggml_cuda_mm_fusion_args_devicePfi15HIP_vector_typeIjLj3EEiiiSB_iiiSB_iiii,@function
_ZL13mul_mat_vec_fI14__hip_bfloat16fLi5ELi256ELb0ELb0EEvPKT_PKfPKi31ggml_cuda_mm_fusion_args_devicePfi15HIP_vector_typeIjLj3EEiiiSB_iiiSB_iiii: ; @_ZL13mul_mat_vec_fI14__hip_bfloat16fLi5ELi256ELb0ELb0EEvPKT_PKfPKi31ggml_cuda_mm_fusion_args_devicePfi15HIP_vector_typeIjLj3EEiiiSB_iiiSB_iiii
; %bb.0:
	s_clause 0x2
	s_load_dwordx2 s[0:1], s[4:5], 0x10
	s_load_dwordx8 s[12:19], s[4:5], 0x40
	s_load_dwordx4 s[20:23], s[4:5], 0x80
	s_waitcnt lgkmcnt(0)
	s_cmp_eq_u64 s[0:1], 0
	s_cselect_b32 s10, -1, 0
	s_cmp_lg_u64 s[0:1], 0
	s_cselect_b32 s11, -1, 0
	s_and_b32 vcc_lo, exec_lo, s10
	s_cbranch_vccnz .LBB327_2
; %bb.1:
	s_mul_i32 s2, s23, s8
	s_mov_b32 s3, 0
	s_add_i32 s2, s2, s7
	s_lshl_b64 s[24:25], s[2:3], 2
	s_add_u32 s0, s0, s24
	s_addc_u32 s1, s1, s25
	s_load_dword s9, s[0:1], 0x0
	s_cbranch_execz .LBB327_3
	s_branch .LBB327_4
.LBB327_2:
                                        ; implicit-def: $sgpr9
.LBB327_3:
	s_load_dwordx2 s[0:1], s[4:5], 0x5c
	s_waitcnt lgkmcnt(0)
	s_mul_hi_u32 s0, s0, s7
	s_add_i32 s0, s7, s0
	s_lshr_b32 s9, s0, s1
.LBB327_4:
	s_load_dwordx4 s[24:27], s[4:5], 0x68
	s_andn2_b32 vcc_lo, exec_lo, s11
	s_mov_b32 s19, s7
	s_cbranch_vccnz .LBB327_6
; %bb.5:
	s_mul_hi_u32 s0, s13, s7
	s_add_i32 s0, s7, s0
	s_lshr_b32 s0, s0, s14
	s_mul_i32 s0, s0, s15
	s_sub_i32 s19, s7, s0
.LBB327_6:
	s_load_dword s14, s[4:5], 0x78
	v_cmp_gt_u32_e32 vcc_lo, 32, v0
	v_lshl_add_u32 v5, v0, 2, 0
	s_and_saveexec_b32 s0, vcc_lo
; %bb.7:
	v_mov_b32_e32 v1, 0
	ds_write_b32 v5, v1
; %bb.8:
	s_or_b32 exec_lo, exec_lo, s0
	v_mov_b32_e32 v6, 0
	v_mov_b32_e32 v7, 0
	;; [unrolled: 1-line block ×5, first 2 shown]
	s_and_b32 s0, exec_lo, s10
	s_mov_b32 s11, 0
	s_cselect_b32 s10, s8, 0
	s_mov_b32 s13, exec_lo
	s_waitcnt lgkmcnt(0)
	s_barrier
	buffer_gl0_inv
	v_cmpx_gt_i32_e64 s12, v0
	s_cbranch_execz .LBB327_12
; %bb.9:
	s_load_dwordx4 s[0:3], s[4:5], 0x0
	s_mul_hi_u32 s15, s27, s10
	s_mul_hi_i32 s29, s21, s10
	s_mul_i32 s28, s21, s10
	s_mul_i32 s8, s9, s24
	s_mul_i32 s24, s16, s6
	s_mul_i32 s30, s19, s25
	s_add_i32 s15, s10, s15
	s_lshl_b64 s[28:29], s[28:29], 2
	s_ashr_i32 s9, s8, 31
	s_ashr_i32 s25, s24, 31
	;; [unrolled: 1-line block ×3, first 2 shown]
	s_lshr_b32 s14, s15, s14
	s_mov_b32 s34, s17
	s_mul_hi_i32 s21, s14, s20
	s_mul_i32 s20, s14, s20
	v_lshlrev_b32_e32 v2, 3, v0
	v_lshlrev_b32_e32 v1, 2, v0
	v_mov_b32_e32 v10, 0
	v_mov_b32_e32 v11, v0
	s_waitcnt lgkmcnt(0)
	s_add_u32 s15, s2, s28
	s_addc_u32 s16, s3, s29
	s_lshl_b64 s[30:31], s[30:31], 2
	v_mov_b32_e32 v9, 0
	s_add_u32 s14, s15, s30
	s_addc_u32 s15, s16, s31
	s_lshl_b64 s[8:9], s[8:9], 1
	s_ashr_i32 s35, s17, 31
	s_add_i32 s16, s17, s17
	s_lshl_b32 s19, s17, 2
	s_lshl_b64 s[20:21], s[20:21], 1
	s_lshl_b64 s[24:25], s[24:25], 1
	s_add_u32 s0, s0, s8
	s_addc_u32 s1, s1, s9
	s_add_u32 s0, s0, s24
	s_addc_u32 s1, s1, s25
	;; [unrolled: 2-line block ×3, first 2 shown]
	s_lshl_b64 s[8:9], s[34:35], 3
	s_add_u32 s2, s2, s30
	s_addc_u32 s3, s3, s31
	s_add_u32 s2, s2, s28
	s_addc_u32 s3, s3, s29
	v_add_co_u32 v3, s2, s2, v2
	v_add_co_ci_u32_e64 v4, null, s3, 0, s2
	v_add_co_u32 v1, s0, s0, v1
	v_add_co_ci_u32_e64 v2, null, s1, 0, s0
	;; [unrolled: 2-line block ×3, first 2 shown]
	v_mov_b32_e32 v8, 0
	v_mov_b32_e32 v7, 0
	;; [unrolled: 1-line block ×3, first 2 shown]
	s_mul_i32 s1, s17, 3
.LBB327_10:                             ; =>This Inner Loop Header: Depth=1
	v_add_nc_u32_e32 v12, s16, v11
	v_add_nc_u32_e32 v16, s1, v11
	;; [unrolled: 1-line block ×3, first 2 shown]
	v_add_co_u32 v14, s0, v3, s8
	v_ashrrev_i32_e32 v13, 31, v12
	v_ashrrev_i32_e32 v17, 31, v16
	;; [unrolled: 1-line block ×3, first 2 shown]
	v_add_co_ci_u32_e64 v15, null, s9, v4, s0
	v_lshlrev_b64 v[12:13], 3, v[12:13]
	v_lshlrev_b64 v[16:17], 3, v[16:17]
	;; [unrolled: 1-line block ×3, first 2 shown]
	global_load_dword v22, v[1:2], off
	v_add_nc_u32_e32 v11, 0x100, v11
	v_add_co_u32 v12, s0, s14, v12
	v_add_co_ci_u32_e64 v13, null, s15, v13, s0
	v_add_co_u32 v16, s0, s14, v16
	v_add_co_ci_u32_e64 v17, null, s15, v17, s0
	;; [unrolled: 2-line block ×3, first 2 shown]
	s_clause 0x1
	global_load_dwordx2 v[20:21], v[3:4], off offset:-4
	global_load_dwordx2 v[14:15], v[14:15], off offset:-4
	s_clause 0x2
	global_load_dwordx2 v[12:13], v[12:13], off
	global_load_dwordx2 v[16:17], v[16:17], off
	;; [unrolled: 1-line block ×3, first 2 shown]
	v_add_co_u32 v1, s0, 0x400, v1
	v_add_co_ci_u32_e64 v2, null, 0, v2, s0
	v_add_co_u32 v3, s0, 0x800, v3
	v_add_co_ci_u32_e64 v4, null, 0, v4, s0
	v_cmp_le_i32_e64 s0, s12, v11
	s_or_b32 s11, s0, s11
	s_waitcnt vmcnt(5)
	v_lshlrev_b32_e32 v23, 16, v22
	v_and_b32_e32 v22, 0xffff0000, v22
	s_waitcnt vmcnt(4)
	v_fmac_f32_e32 v10, v20, v23
	s_waitcnt vmcnt(3)
	v_fmac_f32_e32 v9, v14, v23
	;; [unrolled: 2-line block ×5, first 2 shown]
	v_fmac_f32_e32 v10, v21, v22
	v_fmac_f32_e32 v9, v15, v22
	;; [unrolled: 1-line block ×5, first 2 shown]
	s_andn2_b32 exec_lo, exec_lo, s11
	s_cbranch_execnz .LBB327_10
; %bb.11:
	s_or_b32 exec_lo, exec_lo, s11
.LBB327_12:
	s_or_b32 exec_lo, exec_lo, s13
	v_mbcnt_lo_u32_b32 v2, -1, 0
	v_xor_b32_e32 v1, 16, v2
	v_xor_b32_e32 v3, 8, v2
	v_cmp_gt_i32_e64 s0, 32, v1
	v_cndmask_b32_e64 v1, v2, v1, s0
	v_cmp_gt_i32_e64 s0, 32, v3
	v_lshlrev_b32_e32 v1, 2, v1
	v_cndmask_b32_e64 v3, v2, v3, s0
	ds_bpermute_b32 v4, v1, v10
	v_lshlrev_b32_e32 v3, 2, v3
	s_waitcnt lgkmcnt(0)
	v_add_f32_e32 v10, v10, v4
	v_xor_b32_e32 v4, 4, v2
	ds_bpermute_b32 v11, v3, v10
	v_cmp_gt_i32_e64 s0, 32, v4
	v_cndmask_b32_e64 v4, v2, v4, s0
	v_lshlrev_b32_e32 v4, 2, v4
	s_waitcnt lgkmcnt(0)
	v_add_f32_e32 v11, v10, v11
	v_xor_b32_e32 v10, 2, v2
	ds_bpermute_b32 v12, v4, v11
	v_cmp_gt_i32_e64 s0, 32, v10
	v_cndmask_b32_e64 v10, v2, v10, s0
	;; [unrolled: 7-line block ×3, first 2 shown]
	v_lshlrev_b32_e32 v11, 2, v2
	s_waitcnt lgkmcnt(0)
	v_add_f32_e32 v2, v12, v13
	v_lshrrev_b32_e32 v12, 3, v0
	ds_bpermute_b32 v13, v11, v2
	v_and_b32_e32 v12, 0x7c, v12
	v_add_nc_u32_e32 v12, 0, v12
	s_waitcnt lgkmcnt(0)
	v_add_f32_e32 v2, v2, v13
	ds_write_b32 v12, v2
	s_waitcnt lgkmcnt(0)
	s_barrier
	buffer_gl0_inv
	s_and_saveexec_b32 s0, vcc_lo
	s_cbranch_execz .LBB327_14
; %bb.13:
	ds_read_b32 v2, v5
	s_waitcnt lgkmcnt(0)
	ds_bpermute_b32 v13, v1, v2
	s_waitcnt lgkmcnt(0)
	v_add_f32_e32 v2, v2, v13
	ds_bpermute_b32 v13, v3, v2
	s_waitcnt lgkmcnt(0)
	v_add_f32_e32 v2, v2, v13
	ds_bpermute_b32 v13, v4, v2
	s_waitcnt lgkmcnt(0)
	v_add_f32_e32 v2, v2, v13
	ds_bpermute_b32 v13, v10, v2
	s_waitcnt lgkmcnt(0)
	v_add_f32_e32 v2, v2, v13
	ds_bpermute_b32 v13, v11, v2
	s_waitcnt lgkmcnt(0)
	v_add_f32_e32 v2, v2, v13
.LBB327_14:
	s_or_b32 exec_lo, exec_lo, s0
	ds_bpermute_b32 v13, v1, v9
	s_waitcnt lgkmcnt(0)
	s_barrier
	buffer_gl0_inv
	v_add_f32_e32 v9, v9, v13
	ds_bpermute_b32 v13, v3, v9
	s_waitcnt lgkmcnt(0)
	v_add_f32_e32 v9, v9, v13
	ds_bpermute_b32 v13, v4, v9
	s_waitcnt lgkmcnt(0)
	v_add_f32_e32 v9, v9, v13
	ds_bpermute_b32 v13, v10, v9
	s_waitcnt lgkmcnt(0)
	v_add_f32_e32 v9, v9, v13
	ds_bpermute_b32 v13, v11, v9
	s_waitcnt lgkmcnt(0)
	v_add_f32_e32 v9, v9, v13
	ds_write_b32 v12, v9
	s_waitcnt lgkmcnt(0)
	s_barrier
	buffer_gl0_inv
	s_and_saveexec_b32 s0, vcc_lo
	s_cbranch_execz .LBB327_16
; %bb.15:
	ds_read_b32 v9, v5
	s_waitcnt lgkmcnt(0)
	ds_bpermute_b32 v13, v1, v9
	s_waitcnt lgkmcnt(0)
	v_add_f32_e32 v9, v9, v13
	ds_bpermute_b32 v13, v3, v9
	s_waitcnt lgkmcnt(0)
	v_add_f32_e32 v9, v9, v13
	ds_bpermute_b32 v13, v4, v9
	s_waitcnt lgkmcnt(0)
	v_add_f32_e32 v9, v9, v13
	ds_bpermute_b32 v13, v10, v9
	s_waitcnt lgkmcnt(0)
	v_add_f32_e32 v9, v9, v13
	ds_bpermute_b32 v13, v11, v9
	s_waitcnt lgkmcnt(0)
	v_add_f32_e32 v9, v9, v13
.LBB327_16:
	s_or_b32 exec_lo, exec_lo, s0
	ds_bpermute_b32 v13, v1, v8
	s_waitcnt lgkmcnt(0)
	s_barrier
	buffer_gl0_inv
	v_add_f32_e32 v8, v8, v13
	ds_bpermute_b32 v13, v3, v8
	s_waitcnt lgkmcnt(0)
	v_add_f32_e32 v8, v8, v13
	ds_bpermute_b32 v13, v4, v8
	s_waitcnt lgkmcnt(0)
	v_add_f32_e32 v8, v8, v13
	ds_bpermute_b32 v13, v10, v8
	s_waitcnt lgkmcnt(0)
	v_add_f32_e32 v8, v8, v13
	ds_bpermute_b32 v13, v11, v8
	;; [unrolled: 43-line block ×4, first 2 shown]
	s_waitcnt lgkmcnt(0)
	v_add_f32_e32 v6, v6, v13
	ds_write_b32 v12, v6
	s_waitcnt lgkmcnt(0)
	s_barrier
	buffer_gl0_inv
	s_and_saveexec_b32 s0, vcc_lo
	s_cbranch_execz .LBB327_22
; %bb.21:
	ds_read_b32 v5, v5
	s_waitcnt lgkmcnt(0)
	ds_bpermute_b32 v1, v1, v5
	s_waitcnt lgkmcnt(0)
	v_add_f32_e32 v1, v5, v1
	ds_bpermute_b32 v3, v3, v1
	s_waitcnt lgkmcnt(0)
	v_add_f32_e32 v1, v1, v3
	;; [unrolled: 3-line block ×5, first 2 shown]
.LBB327_22:
	s_or_b32 exec_lo, exec_lo, s0
	s_barrier
	buffer_gl0_inv
	s_mov_b32 s0, exec_lo
	v_cmpx_gt_u32_e32 5, v0
	s_cbranch_execz .LBB327_24
; %bb.23:
	s_load_dwordx2 s[0:1], s[4:5], 0x38
	v_cmp_eq_u32_e32 vcc_lo, 1, v0
	v_mad_u64_u32 v[3:4], null, s18, v0, s[6:7]
	s_mul_hi_i32 s3, s22, s10
	s_mul_i32 s2, s22, s10
	v_cndmask_b32_e32 v1, v2, v9, vcc_lo
	v_cmp_eq_u32_e32 vcc_lo, 2, v0
	s_mul_i32 s4, s26, s7
	s_lshl_b64 s[2:3], s[2:3], 2
	v_ashrrev_i32_e32 v4, 31, v3
	s_ashr_i32 s5, s4, 31
	v_cndmask_b32_e32 v1, v1, v8, vcc_lo
	v_cmp_eq_u32_e32 vcc_lo, 3, v0
	v_cndmask_b32_e32 v5, v1, v7, vcc_lo
	v_lshlrev_b64 v[1:2], 2, v[3:4]
	s_waitcnt lgkmcnt(0)
	s_add_u32 s2, s0, s2
	v_cmp_eq_u32_e32 vcc_lo, 4, v0
	s_addc_u32 s3, s1, s3
	s_lshl_b64 s[0:1], s[4:5], 2
	s_add_u32 s0, s2, s0
	v_cndmask_b32_e32 v3, v5, v6, vcc_lo
	s_addc_u32 s1, s3, s1
	v_add_co_u32 v0, vcc_lo, s0, v1
	v_add_co_ci_u32_e64 v1, null, s1, v2, vcc_lo
	global_store_dword v[0:1], v3, off
.LBB327_24:
	s_endpgm
	.section	.rodata,"a",@progbits
	.p2align	6, 0x0
	.amdhsa_kernel _ZL13mul_mat_vec_fI14__hip_bfloat16fLi5ELi256ELb0ELb0EEvPKT_PKfPKi31ggml_cuda_mm_fusion_args_devicePfi15HIP_vector_typeIjLj3EEiiiSB_iiiSB_iiii
		.amdhsa_group_segment_fixed_size 0
		.amdhsa_private_segment_fixed_size 0
		.amdhsa_kernarg_size 144
		.amdhsa_user_sgpr_count 6
		.amdhsa_user_sgpr_private_segment_buffer 1
		.amdhsa_user_sgpr_dispatch_ptr 0
		.amdhsa_user_sgpr_queue_ptr 0
		.amdhsa_user_sgpr_kernarg_segment_ptr 1
		.amdhsa_user_sgpr_dispatch_id 0
		.amdhsa_user_sgpr_flat_scratch_init 0
		.amdhsa_user_sgpr_private_segment_size 0
		.amdhsa_wavefront_size32 1
		.amdhsa_uses_dynamic_stack 0
		.amdhsa_system_sgpr_private_segment_wavefront_offset 0
		.amdhsa_system_sgpr_workgroup_id_x 1
		.amdhsa_system_sgpr_workgroup_id_y 1
		.amdhsa_system_sgpr_workgroup_id_z 1
		.amdhsa_system_sgpr_workgroup_info 0
		.amdhsa_system_vgpr_workitem_id 0
		.amdhsa_next_free_vgpr 24
		.amdhsa_next_free_sgpr 36
		.amdhsa_reserve_vcc 1
		.amdhsa_reserve_flat_scratch 0
		.amdhsa_float_round_mode_32 0
		.amdhsa_float_round_mode_16_64 0
		.amdhsa_float_denorm_mode_32 3
		.amdhsa_float_denorm_mode_16_64 3
		.amdhsa_dx10_clamp 1
		.amdhsa_ieee_mode 1
		.amdhsa_fp16_overflow 0
		.amdhsa_workgroup_processor_mode 1
		.amdhsa_memory_ordered 1
		.amdhsa_forward_progress 1
		.amdhsa_shared_vgpr_count 0
		.amdhsa_exception_fp_ieee_invalid_op 0
		.amdhsa_exception_fp_denorm_src 0
		.amdhsa_exception_fp_ieee_div_zero 0
		.amdhsa_exception_fp_ieee_overflow 0
		.amdhsa_exception_fp_ieee_underflow 0
		.amdhsa_exception_fp_ieee_inexact 0
		.amdhsa_exception_int_div_zero 0
	.end_amdhsa_kernel
	.section	.text._ZL13mul_mat_vec_fI14__hip_bfloat16fLi5ELi256ELb0ELb0EEvPKT_PKfPKi31ggml_cuda_mm_fusion_args_devicePfi15HIP_vector_typeIjLj3EEiiiSB_iiiSB_iiii,"axG",@progbits,_ZL13mul_mat_vec_fI14__hip_bfloat16fLi5ELi256ELb0ELb0EEvPKT_PKfPKi31ggml_cuda_mm_fusion_args_devicePfi15HIP_vector_typeIjLj3EEiiiSB_iiiSB_iiii,comdat
.Lfunc_end327:
	.size	_ZL13mul_mat_vec_fI14__hip_bfloat16fLi5ELi256ELb0ELb0EEvPKT_PKfPKi31ggml_cuda_mm_fusion_args_devicePfi15HIP_vector_typeIjLj3EEiiiSB_iiiSB_iiii, .Lfunc_end327-_ZL13mul_mat_vec_fI14__hip_bfloat16fLi5ELi256ELb0ELb0EEvPKT_PKfPKi31ggml_cuda_mm_fusion_args_devicePfi15HIP_vector_typeIjLj3EEiiiSB_iiiSB_iiii
                                        ; -- End function
	.set _ZL13mul_mat_vec_fI14__hip_bfloat16fLi5ELi256ELb0ELb0EEvPKT_PKfPKi31ggml_cuda_mm_fusion_args_devicePfi15HIP_vector_typeIjLj3EEiiiSB_iiiSB_iiii.num_vgpr, 24
	.set _ZL13mul_mat_vec_fI14__hip_bfloat16fLi5ELi256ELb0ELb0EEvPKT_PKfPKi31ggml_cuda_mm_fusion_args_devicePfi15HIP_vector_typeIjLj3EEiiiSB_iiiSB_iiii.num_agpr, 0
	.set _ZL13mul_mat_vec_fI14__hip_bfloat16fLi5ELi256ELb0ELb0EEvPKT_PKfPKi31ggml_cuda_mm_fusion_args_devicePfi15HIP_vector_typeIjLj3EEiiiSB_iiiSB_iiii.numbered_sgpr, 36
	.set _ZL13mul_mat_vec_fI14__hip_bfloat16fLi5ELi256ELb0ELb0EEvPKT_PKfPKi31ggml_cuda_mm_fusion_args_devicePfi15HIP_vector_typeIjLj3EEiiiSB_iiiSB_iiii.num_named_barrier, 0
	.set _ZL13mul_mat_vec_fI14__hip_bfloat16fLi5ELi256ELb0ELb0EEvPKT_PKfPKi31ggml_cuda_mm_fusion_args_devicePfi15HIP_vector_typeIjLj3EEiiiSB_iiiSB_iiii.private_seg_size, 0
	.set _ZL13mul_mat_vec_fI14__hip_bfloat16fLi5ELi256ELb0ELb0EEvPKT_PKfPKi31ggml_cuda_mm_fusion_args_devicePfi15HIP_vector_typeIjLj3EEiiiSB_iiiSB_iiii.uses_vcc, 1
	.set _ZL13mul_mat_vec_fI14__hip_bfloat16fLi5ELi256ELb0ELb0EEvPKT_PKfPKi31ggml_cuda_mm_fusion_args_devicePfi15HIP_vector_typeIjLj3EEiiiSB_iiiSB_iiii.uses_flat_scratch, 0
	.set _ZL13mul_mat_vec_fI14__hip_bfloat16fLi5ELi256ELb0ELb0EEvPKT_PKfPKi31ggml_cuda_mm_fusion_args_devicePfi15HIP_vector_typeIjLj3EEiiiSB_iiiSB_iiii.has_dyn_sized_stack, 0
	.set _ZL13mul_mat_vec_fI14__hip_bfloat16fLi5ELi256ELb0ELb0EEvPKT_PKfPKi31ggml_cuda_mm_fusion_args_devicePfi15HIP_vector_typeIjLj3EEiiiSB_iiiSB_iiii.has_recursion, 0
	.set _ZL13mul_mat_vec_fI14__hip_bfloat16fLi5ELi256ELb0ELb0EEvPKT_PKfPKi31ggml_cuda_mm_fusion_args_devicePfi15HIP_vector_typeIjLj3EEiiiSB_iiiSB_iiii.has_indirect_call, 0
	.section	.AMDGPU.csdata,"",@progbits
; Kernel info:
; codeLenInByte = 2216
; TotalNumSgprs: 38
; NumVgprs: 24
; ScratchSize: 0
; MemoryBound: 0
; FloatMode: 240
; IeeeMode: 1
; LDSByteSize: 0 bytes/workgroup (compile time only)
; SGPRBlocks: 0
; VGPRBlocks: 2
; NumSGPRsForWavesPerEU: 38
; NumVGPRsForWavesPerEU: 24
; Occupancy: 16
; WaveLimiterHint : 0
; COMPUTE_PGM_RSRC2:SCRATCH_EN: 0
; COMPUTE_PGM_RSRC2:USER_SGPR: 6
; COMPUTE_PGM_RSRC2:TRAP_HANDLER: 0
; COMPUTE_PGM_RSRC2:TGID_X_EN: 1
; COMPUTE_PGM_RSRC2:TGID_Y_EN: 1
; COMPUTE_PGM_RSRC2:TGID_Z_EN: 1
; COMPUTE_PGM_RSRC2:TIDIG_COMP_CNT: 0
	.section	.text._ZL13mul_mat_vec_fI14__hip_bfloat16fLi6ELi32ELb0ELb0EEvPKT_PKfPKi31ggml_cuda_mm_fusion_args_devicePfi15HIP_vector_typeIjLj3EEiiiSB_iiiSB_iiii,"axG",@progbits,_ZL13mul_mat_vec_fI14__hip_bfloat16fLi6ELi32ELb0ELb0EEvPKT_PKfPKi31ggml_cuda_mm_fusion_args_devicePfi15HIP_vector_typeIjLj3EEiiiSB_iiiSB_iiii,comdat
	.globl	_ZL13mul_mat_vec_fI14__hip_bfloat16fLi6ELi32ELb0ELb0EEvPKT_PKfPKi31ggml_cuda_mm_fusion_args_devicePfi15HIP_vector_typeIjLj3EEiiiSB_iiiSB_iiii ; -- Begin function _ZL13mul_mat_vec_fI14__hip_bfloat16fLi6ELi32ELb0ELb0EEvPKT_PKfPKi31ggml_cuda_mm_fusion_args_devicePfi15HIP_vector_typeIjLj3EEiiiSB_iiiSB_iiii
	.p2align	8
	.type	_ZL13mul_mat_vec_fI14__hip_bfloat16fLi6ELi32ELb0ELb0EEvPKT_PKfPKi31ggml_cuda_mm_fusion_args_devicePfi15HIP_vector_typeIjLj3EEiiiSB_iiiSB_iiii,@function
_ZL13mul_mat_vec_fI14__hip_bfloat16fLi6ELi32ELb0ELb0EEvPKT_PKfPKi31ggml_cuda_mm_fusion_args_devicePfi15HIP_vector_typeIjLj3EEiiiSB_iiiSB_iiii: ; @_ZL13mul_mat_vec_fI14__hip_bfloat16fLi6ELi32ELb0ELb0EEvPKT_PKfPKi31ggml_cuda_mm_fusion_args_devicePfi15HIP_vector_typeIjLj3EEiiiSB_iiiSB_iiii
; %bb.0:
	s_clause 0x2
	s_load_dwordx2 s[0:1], s[4:5], 0x10
	s_load_dwordx8 s[12:19], s[4:5], 0x40
	s_load_dwordx4 s[20:23], s[4:5], 0x80
	s_waitcnt lgkmcnt(0)
	s_cmp_eq_u64 s[0:1], 0
	s_cselect_b32 s9, -1, 0
	s_cmp_lg_u64 s[0:1], 0
	s_cselect_b32 s24, -1, 0
	s_and_b32 vcc_lo, exec_lo, s9
	s_cbranch_vccnz .LBB328_2
; %bb.1:
	s_mul_i32 s2, s23, s8
	s_mov_b32 s11, 0
	s_add_i32 s10, s2, s7
	s_lshl_b64 s[2:3], s[10:11], 2
	s_add_u32 s0, s0, s2
	s_addc_u32 s1, s1, s3
	s_load_dword s23, s[0:1], 0x0
	s_load_dwordx4 s[0:3], s[4:5], 0x68
	s_cbranch_execz .LBB328_3
	s_branch .LBB328_4
.LBB328_2:
                                        ; implicit-def: $sgpr23
	s_load_dwordx4 s[0:3], s[4:5], 0x68
.LBB328_3:
	s_load_dwordx2 s[10:11], s[4:5], 0x5c
	s_waitcnt lgkmcnt(0)
	s_mul_hi_u32 s10, s10, s7
	s_add_i32 s10, s7, s10
	s_lshr_b32 s23, s10, s11
.LBB328_4:
	s_load_dword s19, s[4:5], 0x78
	s_andn2_b32 vcc_lo, exec_lo, s24
	s_mov_b32 s24, s7
	s_cbranch_vccnz .LBB328_6
; %bb.5:
	s_mul_hi_u32 s10, s13, s7
	s_add_i32 s10, s7, s10
	s_lshr_b32 s10, s10, s14
	s_mul_i32 s10, s10, s15
	s_sub_i32 s24, s7, s10
.LBB328_6:
	v_mov_b32_e32 v6, 0
	v_mov_b32_e32 v7, 0
	;; [unrolled: 1-line block ×6, first 2 shown]
	s_and_b32 s9, exec_lo, s9
	s_mov_b32 s15, 0
	s_cselect_b32 s13, s8, 0
	s_mov_b32 s14, exec_lo
	v_cmpx_gt_i32_e64 s12, v0
	s_cbranch_execz .LBB328_10
; %bb.7:
	s_load_dwordx4 s[8:11], s[4:5], 0x0
	s_waitcnt lgkmcnt(0)
	s_mul_hi_u32 s3, s3, s13
	s_mul_hi_i32 s29, s21, s13
	s_mul_i32 s28, s21, s13
	s_mul_i32 s0, s23, s0
	;; [unrolled: 1-line block ×4, first 2 shown]
	s_add_i32 s3, s13, s3
	s_lshl_b64 s[28:29], s[28:29], 2
	s_ashr_i32 s1, s0, 31
	s_ashr_i32 s27, s26, 31
	;; [unrolled: 1-line block ×3, first 2 shown]
	s_lshr_b32 s3, s3, s19
	s_mov_b32 s30, s17
	s_mul_hi_i32 s35, s3, s20
	s_mul_i32 s34, s3, s20
	v_lshlrev_b32_e32 v2, 3, v0
	v_lshlrev_b32_e32 v1, 2, v0
	v_mov_b32_e32 v5, 0
	v_mov_b32_e32 v11, v0
	s_add_u32 s16, s10, s28
	s_addc_u32 s19, s11, s29
	s_lshl_b64 s[24:25], s[24:25], 2
	v_mov_b32_e32 v10, 0
	s_add_u32 s3, s16, s24
	s_addc_u32 s16, s19, s25
	s_lshl_b64 s[0:1], s[0:1], 1
	s_ashr_i32 s31, s17, 31
	s_add_i32 s19, s17, s17
	s_lshl_b32 s20, s17, 2
	s_lshl_b64 s[34:35], s[34:35], 1
	s_lshl_b64 s[26:27], s[26:27], 1
	s_add_u32 s0, s8, s0
	s_addc_u32 s1, s9, s1
	s_add_u32 s0, s0, s26
	s_addc_u32 s1, s1, s27
	;; [unrolled: 2-line block ×3, first 2 shown]
	s_lshl_b64 s[0:1], s[30:31], 3
	s_add_u32 s10, s10, s24
	s_addc_u32 s11, s11, s25
	s_add_u32 s10, s10, s28
	s_addc_u32 s11, s11, s29
	v_add_co_u32 v3, s10, s10, v2
	v_add_co_ci_u32_e64 v4, null, s11, 0, s10
	v_add_co_u32 v1, s8, s8, v1
	v_add_co_u32 v3, vcc_lo, v3, 4
	v_add_co_ci_u32_e64 v2, null, s9, 0, s8
	v_add_co_ci_u32_e64 v4, null, 0, v4, vcc_lo
	v_mov_b32_e32 v9, 0
	v_mov_b32_e32 v8, 0
	;; [unrolled: 1-line block ×4, first 2 shown]
	s_mul_i32 s8, s17, 3
	s_mul_i32 s9, s17, 5
.LBB328_8:                              ; =>This Inner Loop Header: Depth=1
	v_add_nc_u32_e32 v14, s19, v11
	v_add_nc_u32_e32 v18, s8, v11
	;; [unrolled: 1-line block ×4, first 2 shown]
	v_add_co_u32 v16, vcc_lo, v3, s0
	v_ashrrev_i32_e32 v15, 31, v14
	v_ashrrev_i32_e32 v19, 31, v18
	;; [unrolled: 1-line block ×4, first 2 shown]
	v_add_co_ci_u32_e64 v17, null, s1, v4, vcc_lo
	v_lshlrev_b64 v[14:15], 3, v[14:15]
	v_lshlrev_b64 v[18:19], 3, v[18:19]
	;; [unrolled: 1-line block ×4, first 2 shown]
	global_load_dword v24, v[1:2], off
	global_load_dwordx2 v[12:13], v[3:4], off offset:-4
	v_add_nc_u32_e32 v11, 32, v11
	v_add_co_u32 v14, vcc_lo, s3, v14
	v_add_co_ci_u32_e64 v15, null, s16, v15, vcc_lo
	v_add_co_u32 v18, vcc_lo, s3, v18
	v_add_co_ci_u32_e64 v19, null, s16, v19, vcc_lo
	v_add_co_u32 v20, vcc_lo, s3, v20
	v_add_co_ci_u32_e64 v21, null, s16, v21, vcc_lo
	v_add_co_u32 v22, vcc_lo, s3, v22
	v_add_co_ci_u32_e64 v23, null, s16, v23, vcc_lo
	global_load_dwordx2 v[16:17], v[16:17], off offset:-4
	s_clause 0x3
	global_load_dwordx2 v[14:15], v[14:15], off
	global_load_dwordx2 v[18:19], v[18:19], off
	;; [unrolled: 1-line block ×4, first 2 shown]
	v_add_co_u32 v1, vcc_lo, 0x80, v1
	v_add_co_ci_u32_e64 v2, null, 0, v2, vcc_lo
	v_add_co_u32 v3, vcc_lo, 0x100, v3
	v_add_co_ci_u32_e64 v4, null, 0, v4, vcc_lo
	v_cmp_le_i32_e32 vcc_lo, s12, v11
	s_or_b32 s15, vcc_lo, s15
	s_waitcnt vmcnt(6)
	v_lshlrev_b32_e32 v25, 16, v24
	v_and_b32_e32 v24, 0xffff0000, v24
	s_waitcnt vmcnt(5)
	v_fmac_f32_e32 v5, v12, v25
	v_fmac_f32_e32 v5, v13, v24
	s_waitcnt vmcnt(4)
	v_fmac_f32_e32 v10, v16, v25
	s_waitcnt vmcnt(3)
	;; [unrolled: 2-line block ×5, first 2 shown]
	v_fmac_f32_e32 v6, v22, v25
	v_fmac_f32_e32 v10, v17, v24
	;; [unrolled: 1-line block ×6, first 2 shown]
	s_andn2_b32 exec_lo, exec_lo, s15
	s_cbranch_execnz .LBB328_8
; %bb.9:
	s_or_b32 exec_lo, exec_lo, s15
.LBB328_10:
	s_or_b32 exec_lo, exec_lo, s14
	v_mbcnt_lo_u32_b32 v1, -1, 0
	s_waitcnt lgkmcnt(0)
	s_mov_b32 s0, exec_lo
	v_xor_b32_e32 v2, 16, v1
	v_xor_b32_e32 v14, 8, v1
	v_cmp_gt_i32_e32 vcc_lo, 32, v2
	v_cndmask_b32_e32 v2, v1, v2, vcc_lo
	v_cmp_gt_i32_e32 vcc_lo, 32, v14
	v_lshlrev_b32_e32 v2, 2, v2
	v_cndmask_b32_e32 v14, v1, v14, vcc_lo
	ds_bpermute_b32 v3, v2, v5
	ds_bpermute_b32 v4, v2, v10
	;; [unrolled: 1-line block ×6, first 2 shown]
	v_lshlrev_b32_e32 v14, 2, v14
	s_waitcnt lgkmcnt(5)
	v_add_f32_e32 v3, v5, v3
	s_waitcnt lgkmcnt(4)
	v_add_f32_e32 v4, v10, v4
	;; [unrolled: 2-line block ×6, first 2 shown]
	ds_bpermute_b32 v6, v14, v3
	ds_bpermute_b32 v9, v14, v4
	ds_bpermute_b32 v10, v14, v5
	ds_bpermute_b32 v11, v14, v8
	ds_bpermute_b32 v12, v14, v7
	ds_bpermute_b32 v13, v14, v2
	v_xor_b32_e32 v14, 4, v1
	v_cmp_gt_i32_e32 vcc_lo, 32, v14
	v_cndmask_b32_e32 v14, v1, v14, vcc_lo
	s_waitcnt lgkmcnt(5)
	v_add_f32_e32 v3, v3, v6
	v_lshlrev_b32_e32 v14, 2, v14
	s_waitcnt lgkmcnt(4)
	v_add_f32_e32 v4, v4, v9
	s_waitcnt lgkmcnt(3)
	v_add_f32_e32 v5, v5, v10
	s_waitcnt lgkmcnt(2)
	v_add_f32_e32 v6, v8, v11
	s_waitcnt lgkmcnt(1)
	v_add_f32_e32 v7, v7, v12
	s_waitcnt lgkmcnt(0)
	v_add_f32_e32 v2, v2, v13
	ds_bpermute_b32 v8, v14, v3
	ds_bpermute_b32 v9, v14, v4
	ds_bpermute_b32 v10, v14, v5
	ds_bpermute_b32 v11, v14, v6
	ds_bpermute_b32 v12, v14, v7
	ds_bpermute_b32 v13, v14, v2
	v_xor_b32_e32 v14, 2, v1
	v_cmp_gt_i32_e32 vcc_lo, 32, v14
	v_cndmask_b32_e32 v14, v1, v14, vcc_lo
	s_waitcnt lgkmcnt(5)
	v_add_f32_e32 v3, v3, v8
	v_lshlrev_b32_e32 v14, 2, v14
	s_waitcnt lgkmcnt(4)
	v_add_f32_e32 v4, v4, v9
	s_waitcnt lgkmcnt(3)
	v_add_f32_e32 v5, v5, v10
	s_waitcnt lgkmcnt(2)
	v_add_f32_e32 v6, v6, v11
	s_waitcnt lgkmcnt(1)
	v_add_f32_e32 v10, v7, v12
	s_waitcnt lgkmcnt(0)
	v_add_f32_e32 v2, v2, v13
	;; [unrolled: 22-line block ×3, first 2 shown]
	ds_bpermute_b32 v10, v14, v7
	ds_bpermute_b32 v11, v14, v8
	;; [unrolled: 1-line block ×6, first 2 shown]
	v_cmpx_gt_u32_e32 6, v0
	s_cbranch_execz .LBB328_12
; %bb.11:
	s_load_dwordx2 s[0:1], s[4:5], 0x38
	s_waitcnt lgkmcnt(0)
	v_add_f32_e32 v10, v7, v10
	v_add_f32_e32 v11, v8, v11
	v_cmp_eq_u32_e32 vcc_lo, 1, v0
	v_mad_u64_u32 v[7:8], null, s18, v0, s[6:7]
	v_add_f32_e32 v9, v9, v12
	v_add_f32_e32 v3, v3, v5
	v_cndmask_b32_e32 v8, v10, v11, vcc_lo
	v_cmp_eq_u32_e32 vcc_lo, 2, v0
	v_add_f32_e32 v4, v4, v6
	s_mul_hi_i32 s5, s22, s13
	s_mul_i32 s4, s22, s13
	s_mul_i32 s2, s2, s7
	v_cndmask_b32_e32 v5, v8, v9, vcc_lo
	v_cmp_eq_u32_e32 vcc_lo, 3, v0
	v_ashrrev_i32_e32 v8, 31, v7
	s_lshl_b64 s[4:5], s[4:5], 2
	s_ashr_i32 s3, s2, 31
	v_cndmask_b32_e32 v3, v5, v3, vcc_lo
	v_cmp_eq_u32_e32 vcc_lo, 4, v0
	v_add_f32_e32 v5, v1, v2
	v_lshlrev_b64 v[1:2], 2, v[7:8]
	s_add_u32 s4, s0, s4
	s_addc_u32 s5, s1, s5
	v_cndmask_b32_e32 v3, v3, v4, vcc_lo
	v_cmp_eq_u32_e32 vcc_lo, 5, v0
	s_lshl_b64 s[0:1], s[2:3], 2
	s_add_u32 s0, s4, s0
	s_addc_u32 s1, s5, s1
	v_cndmask_b32_e32 v3, v3, v5, vcc_lo
	v_add_co_u32 v0, vcc_lo, s0, v1
	v_add_co_ci_u32_e64 v1, null, s1, v2, vcc_lo
	global_store_dword v[0:1], v3, off
.LBB328_12:
	s_endpgm
	.section	.rodata,"a",@progbits
	.p2align	6, 0x0
	.amdhsa_kernel _ZL13mul_mat_vec_fI14__hip_bfloat16fLi6ELi32ELb0ELb0EEvPKT_PKfPKi31ggml_cuda_mm_fusion_args_devicePfi15HIP_vector_typeIjLj3EEiiiSB_iiiSB_iiii
		.amdhsa_group_segment_fixed_size 0
		.amdhsa_private_segment_fixed_size 0
		.amdhsa_kernarg_size 144
		.amdhsa_user_sgpr_count 6
		.amdhsa_user_sgpr_private_segment_buffer 1
		.amdhsa_user_sgpr_dispatch_ptr 0
		.amdhsa_user_sgpr_queue_ptr 0
		.amdhsa_user_sgpr_kernarg_segment_ptr 1
		.amdhsa_user_sgpr_dispatch_id 0
		.amdhsa_user_sgpr_flat_scratch_init 0
		.amdhsa_user_sgpr_private_segment_size 0
		.amdhsa_wavefront_size32 1
		.amdhsa_uses_dynamic_stack 0
		.amdhsa_system_sgpr_private_segment_wavefront_offset 0
		.amdhsa_system_sgpr_workgroup_id_x 1
		.amdhsa_system_sgpr_workgroup_id_y 1
		.amdhsa_system_sgpr_workgroup_id_z 1
		.amdhsa_system_sgpr_workgroup_info 0
		.amdhsa_system_vgpr_workitem_id 0
		.amdhsa_next_free_vgpr 26
		.amdhsa_next_free_sgpr 36
		.amdhsa_reserve_vcc 1
		.amdhsa_reserve_flat_scratch 0
		.amdhsa_float_round_mode_32 0
		.amdhsa_float_round_mode_16_64 0
		.amdhsa_float_denorm_mode_32 3
		.amdhsa_float_denorm_mode_16_64 3
		.amdhsa_dx10_clamp 1
		.amdhsa_ieee_mode 1
		.amdhsa_fp16_overflow 0
		.amdhsa_workgroup_processor_mode 1
		.amdhsa_memory_ordered 1
		.amdhsa_forward_progress 1
		.amdhsa_shared_vgpr_count 0
		.amdhsa_exception_fp_ieee_invalid_op 0
		.amdhsa_exception_fp_denorm_src 0
		.amdhsa_exception_fp_ieee_div_zero 0
		.amdhsa_exception_fp_ieee_overflow 0
		.amdhsa_exception_fp_ieee_underflow 0
		.amdhsa_exception_fp_ieee_inexact 0
		.amdhsa_exception_int_div_zero 0
	.end_amdhsa_kernel
	.section	.text._ZL13mul_mat_vec_fI14__hip_bfloat16fLi6ELi32ELb0ELb0EEvPKT_PKfPKi31ggml_cuda_mm_fusion_args_devicePfi15HIP_vector_typeIjLj3EEiiiSB_iiiSB_iiii,"axG",@progbits,_ZL13mul_mat_vec_fI14__hip_bfloat16fLi6ELi32ELb0ELb0EEvPKT_PKfPKi31ggml_cuda_mm_fusion_args_devicePfi15HIP_vector_typeIjLj3EEiiiSB_iiiSB_iiii,comdat
.Lfunc_end328:
	.size	_ZL13mul_mat_vec_fI14__hip_bfloat16fLi6ELi32ELb0ELb0EEvPKT_PKfPKi31ggml_cuda_mm_fusion_args_devicePfi15HIP_vector_typeIjLj3EEiiiSB_iiiSB_iiii, .Lfunc_end328-_ZL13mul_mat_vec_fI14__hip_bfloat16fLi6ELi32ELb0ELb0EEvPKT_PKfPKi31ggml_cuda_mm_fusion_args_devicePfi15HIP_vector_typeIjLj3EEiiiSB_iiiSB_iiii
                                        ; -- End function
	.set _ZL13mul_mat_vec_fI14__hip_bfloat16fLi6ELi32ELb0ELb0EEvPKT_PKfPKi31ggml_cuda_mm_fusion_args_devicePfi15HIP_vector_typeIjLj3EEiiiSB_iiiSB_iiii.num_vgpr, 26
	.set _ZL13mul_mat_vec_fI14__hip_bfloat16fLi6ELi32ELb0ELb0EEvPKT_PKfPKi31ggml_cuda_mm_fusion_args_devicePfi15HIP_vector_typeIjLj3EEiiiSB_iiiSB_iiii.num_agpr, 0
	.set _ZL13mul_mat_vec_fI14__hip_bfloat16fLi6ELi32ELb0ELb0EEvPKT_PKfPKi31ggml_cuda_mm_fusion_args_devicePfi15HIP_vector_typeIjLj3EEiiiSB_iiiSB_iiii.numbered_sgpr, 36
	.set _ZL13mul_mat_vec_fI14__hip_bfloat16fLi6ELi32ELb0ELb0EEvPKT_PKfPKi31ggml_cuda_mm_fusion_args_devicePfi15HIP_vector_typeIjLj3EEiiiSB_iiiSB_iiii.num_named_barrier, 0
	.set _ZL13mul_mat_vec_fI14__hip_bfloat16fLi6ELi32ELb0ELb0EEvPKT_PKfPKi31ggml_cuda_mm_fusion_args_devicePfi15HIP_vector_typeIjLj3EEiiiSB_iiiSB_iiii.private_seg_size, 0
	.set _ZL13mul_mat_vec_fI14__hip_bfloat16fLi6ELi32ELb0ELb0EEvPKT_PKfPKi31ggml_cuda_mm_fusion_args_devicePfi15HIP_vector_typeIjLj3EEiiiSB_iiiSB_iiii.uses_vcc, 1
	.set _ZL13mul_mat_vec_fI14__hip_bfloat16fLi6ELi32ELb0ELb0EEvPKT_PKfPKi31ggml_cuda_mm_fusion_args_devicePfi15HIP_vector_typeIjLj3EEiiiSB_iiiSB_iiii.uses_flat_scratch, 0
	.set _ZL13mul_mat_vec_fI14__hip_bfloat16fLi6ELi32ELb0ELb0EEvPKT_PKfPKi31ggml_cuda_mm_fusion_args_devicePfi15HIP_vector_typeIjLj3EEiiiSB_iiiSB_iiii.has_dyn_sized_stack, 0
	.set _ZL13mul_mat_vec_fI14__hip_bfloat16fLi6ELi32ELb0ELb0EEvPKT_PKfPKi31ggml_cuda_mm_fusion_args_devicePfi15HIP_vector_typeIjLj3EEiiiSB_iiiSB_iiii.has_recursion, 0
	.set _ZL13mul_mat_vec_fI14__hip_bfloat16fLi6ELi32ELb0ELb0EEvPKT_PKfPKi31ggml_cuda_mm_fusion_args_devicePfi15HIP_vector_typeIjLj3EEiiiSB_iiiSB_iiii.has_indirect_call, 0
	.section	.AMDGPU.csdata,"",@progbits
; Kernel info:
; codeLenInByte = 1540
; TotalNumSgprs: 38
; NumVgprs: 26
; ScratchSize: 0
; MemoryBound: 0
; FloatMode: 240
; IeeeMode: 1
; LDSByteSize: 0 bytes/workgroup (compile time only)
; SGPRBlocks: 0
; VGPRBlocks: 3
; NumSGPRsForWavesPerEU: 38
; NumVGPRsForWavesPerEU: 26
; Occupancy: 16
; WaveLimiterHint : 0
; COMPUTE_PGM_RSRC2:SCRATCH_EN: 0
; COMPUTE_PGM_RSRC2:USER_SGPR: 6
; COMPUTE_PGM_RSRC2:TRAP_HANDLER: 0
; COMPUTE_PGM_RSRC2:TGID_X_EN: 1
; COMPUTE_PGM_RSRC2:TGID_Y_EN: 1
; COMPUTE_PGM_RSRC2:TGID_Z_EN: 1
; COMPUTE_PGM_RSRC2:TIDIG_COMP_CNT: 0
	.section	.text._ZL13mul_mat_vec_fI14__hip_bfloat16fLi6ELi64ELb0ELb0EEvPKT_PKfPKi31ggml_cuda_mm_fusion_args_devicePfi15HIP_vector_typeIjLj3EEiiiSB_iiiSB_iiii,"axG",@progbits,_ZL13mul_mat_vec_fI14__hip_bfloat16fLi6ELi64ELb0ELb0EEvPKT_PKfPKi31ggml_cuda_mm_fusion_args_devicePfi15HIP_vector_typeIjLj3EEiiiSB_iiiSB_iiii,comdat
	.globl	_ZL13mul_mat_vec_fI14__hip_bfloat16fLi6ELi64ELb0ELb0EEvPKT_PKfPKi31ggml_cuda_mm_fusion_args_devicePfi15HIP_vector_typeIjLj3EEiiiSB_iiiSB_iiii ; -- Begin function _ZL13mul_mat_vec_fI14__hip_bfloat16fLi6ELi64ELb0ELb0EEvPKT_PKfPKi31ggml_cuda_mm_fusion_args_devicePfi15HIP_vector_typeIjLj3EEiiiSB_iiiSB_iiii
	.p2align	8
	.type	_ZL13mul_mat_vec_fI14__hip_bfloat16fLi6ELi64ELb0ELb0EEvPKT_PKfPKi31ggml_cuda_mm_fusion_args_devicePfi15HIP_vector_typeIjLj3EEiiiSB_iiiSB_iiii,@function
_ZL13mul_mat_vec_fI14__hip_bfloat16fLi6ELi64ELb0ELb0EEvPKT_PKfPKi31ggml_cuda_mm_fusion_args_devicePfi15HIP_vector_typeIjLj3EEiiiSB_iiiSB_iiii: ; @_ZL13mul_mat_vec_fI14__hip_bfloat16fLi6ELi64ELb0ELb0EEvPKT_PKfPKi31ggml_cuda_mm_fusion_args_devicePfi15HIP_vector_typeIjLj3EEiiiSB_iiiSB_iiii
; %bb.0:
	s_clause 0x2
	s_load_dwordx2 s[0:1], s[4:5], 0x10
	s_load_dwordx8 s[12:19], s[4:5], 0x40
	s_load_dwordx4 s[20:23], s[4:5], 0x80
	s_waitcnt lgkmcnt(0)
	s_cmp_eq_u64 s[0:1], 0
	s_cselect_b32 s10, -1, 0
	s_cmp_lg_u64 s[0:1], 0
	s_cselect_b32 s11, -1, 0
	s_and_b32 vcc_lo, exec_lo, s10
	s_cbranch_vccnz .LBB329_2
; %bb.1:
	s_mul_i32 s2, s23, s8
	s_mov_b32 s3, 0
	s_add_i32 s2, s2, s7
	s_lshl_b64 s[24:25], s[2:3], 2
	s_add_u32 s0, s0, s24
	s_addc_u32 s1, s1, s25
	s_load_dword s9, s[0:1], 0x0
	s_cbranch_execz .LBB329_3
	s_branch .LBB329_4
.LBB329_2:
                                        ; implicit-def: $sgpr9
.LBB329_3:
	s_load_dwordx2 s[0:1], s[4:5], 0x5c
	s_waitcnt lgkmcnt(0)
	s_mul_hi_u32 s0, s0, s7
	s_add_i32 s0, s7, s0
	s_lshr_b32 s9, s0, s1
.LBB329_4:
	s_load_dwordx4 s[24:27], s[4:5], 0x68
	s_andn2_b32 vcc_lo, exec_lo, s11
	s_mov_b32 s19, s7
	s_cbranch_vccnz .LBB329_6
; %bb.5:
	s_mul_hi_u32 s0, s13, s7
	s_add_i32 s0, s7, s0
	s_lshr_b32 s0, s0, s14
	s_mul_i32 s0, s0, s15
	s_sub_i32 s19, s7, s0
.LBB329_6:
	s_load_dword s14, s[4:5], 0x78
	v_cmp_gt_u32_e32 vcc_lo, 32, v0
	v_lshl_add_u32 v5, v0, 2, 0
	s_and_saveexec_b32 s0, vcc_lo
; %bb.7:
	v_mov_b32_e32 v1, 0
	ds_write_b32 v5, v1
; %bb.8:
	s_or_b32 exec_lo, exec_lo, s0
	v_mov_b32_e32 v6, 0
	v_mov_b32_e32 v7, 0
	;; [unrolled: 1-line block ×6, first 2 shown]
	s_and_b32 s0, exec_lo, s10
	s_mov_b32 s11, 0
	s_cselect_b32 s10, s8, 0
	s_mov_b32 s13, exec_lo
	s_waitcnt lgkmcnt(0)
	s_barrier
	buffer_gl0_inv
	v_cmpx_gt_i32_e64 s12, v0
	s_cbranch_execz .LBB329_12
; %bb.9:
	s_load_dwordx4 s[0:3], s[4:5], 0x0
	s_mul_hi_u32 s15, s27, s10
	s_mul_hi_i32 s29, s21, s10
	s_mul_i32 s28, s21, s10
	s_mul_i32 s8, s9, s24
	;; [unrolled: 1-line block ×4, first 2 shown]
	s_add_i32 s15, s10, s15
	s_lshl_b64 s[28:29], s[28:29], 2
	s_ashr_i32 s9, s8, 31
	s_ashr_i32 s25, s24, 31
	;; [unrolled: 1-line block ×3, first 2 shown]
	s_lshr_b32 s14, s15, s14
	s_mov_b32 s34, s17
	s_mul_hi_i32 s21, s14, s20
	s_mul_i32 s20, s14, s20
	v_lshlrev_b32_e32 v2, 3, v0
	v_lshlrev_b32_e32 v1, 2, v0
	v_mov_b32_e32 v11, 0
	v_mov_b32_e32 v12, v0
	s_waitcnt lgkmcnt(0)
	s_add_u32 s15, s2, s28
	s_addc_u32 s16, s3, s29
	s_lshl_b64 s[30:31], s[30:31], 2
	v_mov_b32_e32 v10, 0
	s_add_u32 s14, s15, s30
	s_addc_u32 s15, s16, s31
	s_lshl_b64 s[8:9], s[8:9], 1
	s_ashr_i32 s35, s17, 31
	s_add_i32 s16, s17, s17
	s_lshl_b32 s19, s17, 2
	s_lshl_b64 s[20:21], s[20:21], 1
	s_lshl_b64 s[24:25], s[24:25], 1
	s_add_u32 s0, s0, s8
	s_addc_u32 s1, s1, s9
	s_add_u32 s0, s0, s24
	s_addc_u32 s1, s1, s25
	s_add_u32 s0, s0, s20
	s_addc_u32 s1, s1, s21
	s_lshl_b64 s[8:9], s[34:35], 3
	s_add_u32 s2, s2, s30
	s_addc_u32 s3, s3, s31
	s_add_u32 s2, s2, s28
	s_addc_u32 s3, s3, s29
	v_add_co_u32 v3, s2, s2, v2
	v_add_co_ci_u32_e64 v4, null, s3, 0, s2
	v_add_co_u32 v1, s0, s0, v1
	v_add_co_ci_u32_e64 v2, null, s1, 0, s0
	;; [unrolled: 2-line block ×3, first 2 shown]
	v_mov_b32_e32 v9, 0
	v_mov_b32_e32 v8, 0
	;; [unrolled: 1-line block ×4, first 2 shown]
	s_mul_i32 s1, s17, 3
	s_mul_i32 s2, s17, 5
.LBB329_10:                             ; =>This Inner Loop Header: Depth=1
	v_add_nc_u32_e32 v15, s16, v12
	v_add_nc_u32_e32 v19, s1, v12
	;; [unrolled: 1-line block ×4, first 2 shown]
	v_add_co_u32 v17, s0, v3, s8
	v_ashrrev_i32_e32 v16, 31, v15
	v_ashrrev_i32_e32 v20, 31, v19
	;; [unrolled: 1-line block ×4, first 2 shown]
	v_add_co_ci_u32_e64 v18, null, s9, v4, s0
	v_lshlrev_b64 v[15:16], 3, v[15:16]
	v_lshlrev_b64 v[19:20], 3, v[19:20]
	;; [unrolled: 1-line block ×4, first 2 shown]
	global_load_dword v25, v[1:2], off
	global_load_dwordx2 v[13:14], v[3:4], off offset:-4
	v_add_nc_u32_e32 v12, 64, v12
	v_add_co_u32 v15, s0, s14, v15
	v_add_co_ci_u32_e64 v16, null, s15, v16, s0
	v_add_co_u32 v19, s0, s14, v19
	v_add_co_ci_u32_e64 v20, null, s15, v20, s0
	;; [unrolled: 2-line block ×4, first 2 shown]
	global_load_dwordx2 v[17:18], v[17:18], off offset:-4
	s_clause 0x3
	global_load_dwordx2 v[15:16], v[15:16], off
	global_load_dwordx2 v[19:20], v[19:20], off
	;; [unrolled: 1-line block ×4, first 2 shown]
	v_add_co_u32 v1, s0, 0x100, v1
	v_add_co_ci_u32_e64 v2, null, 0, v2, s0
	v_add_co_u32 v3, s0, 0x200, v3
	v_add_co_ci_u32_e64 v4, null, 0, v4, s0
	v_cmp_le_i32_e64 s0, s12, v12
	s_or_b32 s11, s0, s11
	s_waitcnt vmcnt(6)
	v_lshlrev_b32_e32 v26, 16, v25
	v_and_b32_e32 v25, 0xffff0000, v25
	s_waitcnt vmcnt(5)
	v_fmac_f32_e32 v11, v13, v26
	v_fmac_f32_e32 v11, v14, v25
	s_waitcnt vmcnt(4)
	v_fmac_f32_e32 v10, v17, v26
	s_waitcnt vmcnt(3)
	;; [unrolled: 2-line block ×5, first 2 shown]
	v_fmac_f32_e32 v6, v23, v26
	v_fmac_f32_e32 v10, v18, v25
	;; [unrolled: 1-line block ×6, first 2 shown]
	s_andn2_b32 exec_lo, exec_lo, s11
	s_cbranch_execnz .LBB329_10
; %bb.11:
	s_or_b32 exec_lo, exec_lo, s11
.LBB329_12:
	s_or_b32 exec_lo, exec_lo, s13
	v_mbcnt_lo_u32_b32 v2, -1, 0
	v_xor_b32_e32 v1, 16, v2
	v_xor_b32_e32 v3, 8, v2
	v_cmp_gt_i32_e64 s0, 32, v1
	v_cndmask_b32_e64 v1, v2, v1, s0
	v_cmp_gt_i32_e64 s0, 32, v3
	v_lshlrev_b32_e32 v1, 2, v1
	v_cndmask_b32_e64 v3, v2, v3, s0
	ds_bpermute_b32 v4, v1, v11
	v_lshlrev_b32_e32 v3, 2, v3
	s_waitcnt lgkmcnt(0)
	v_add_f32_e32 v11, v11, v4
	v_xor_b32_e32 v4, 4, v2
	ds_bpermute_b32 v12, v3, v11
	v_cmp_gt_i32_e64 s0, 32, v4
	v_cndmask_b32_e64 v4, v2, v4, s0
	v_lshlrev_b32_e32 v4, 2, v4
	s_waitcnt lgkmcnt(0)
	v_add_f32_e32 v12, v11, v12
	v_xor_b32_e32 v11, 2, v2
	ds_bpermute_b32 v13, v4, v12
	v_cmp_gt_i32_e64 s0, 32, v11
	v_cndmask_b32_e64 v11, v2, v11, s0
	;; [unrolled: 7-line block ×3, first 2 shown]
	v_lshlrev_b32_e32 v12, 2, v2
	s_waitcnt lgkmcnt(0)
	v_add_f32_e32 v2, v13, v14
	v_lshrrev_b32_e32 v13, 3, v0
	ds_bpermute_b32 v14, v12, v2
	v_and_b32_e32 v13, 0x7c, v13
	v_add_nc_u32_e32 v13, 0, v13
	s_waitcnt lgkmcnt(0)
	v_add_f32_e32 v2, v2, v14
	ds_write_b32 v13, v2
	s_waitcnt lgkmcnt(0)
	s_barrier
	buffer_gl0_inv
	s_and_saveexec_b32 s0, vcc_lo
	s_cbranch_execz .LBB329_14
; %bb.13:
	ds_read_b32 v2, v5
	s_waitcnt lgkmcnt(0)
	ds_bpermute_b32 v14, v1, v2
	s_waitcnt lgkmcnt(0)
	v_add_f32_e32 v2, v2, v14
	ds_bpermute_b32 v14, v3, v2
	s_waitcnt lgkmcnt(0)
	v_add_f32_e32 v2, v2, v14
	ds_bpermute_b32 v14, v4, v2
	s_waitcnt lgkmcnt(0)
	v_add_f32_e32 v2, v2, v14
	ds_bpermute_b32 v14, v11, v2
	s_waitcnt lgkmcnt(0)
	v_add_f32_e32 v2, v2, v14
	ds_bpermute_b32 v14, v12, v2
	s_waitcnt lgkmcnt(0)
	v_add_f32_e32 v2, v2, v14
.LBB329_14:
	s_or_b32 exec_lo, exec_lo, s0
	ds_bpermute_b32 v14, v1, v10
	s_waitcnt lgkmcnt(0)
	s_barrier
	buffer_gl0_inv
	v_add_f32_e32 v10, v10, v14
	ds_bpermute_b32 v14, v3, v10
	s_waitcnt lgkmcnt(0)
	v_add_f32_e32 v10, v10, v14
	ds_bpermute_b32 v14, v4, v10
	s_waitcnt lgkmcnt(0)
	v_add_f32_e32 v10, v10, v14
	ds_bpermute_b32 v14, v11, v10
	s_waitcnt lgkmcnt(0)
	v_add_f32_e32 v10, v10, v14
	ds_bpermute_b32 v14, v12, v10
	s_waitcnt lgkmcnt(0)
	v_add_f32_e32 v10, v10, v14
	ds_write_b32 v13, v10
	s_waitcnt lgkmcnt(0)
	s_barrier
	buffer_gl0_inv
	s_and_saveexec_b32 s0, vcc_lo
	s_cbranch_execz .LBB329_16
; %bb.15:
	ds_read_b32 v10, v5
	s_waitcnt lgkmcnt(0)
	ds_bpermute_b32 v14, v1, v10
	s_waitcnt lgkmcnt(0)
	v_add_f32_e32 v10, v10, v14
	ds_bpermute_b32 v14, v3, v10
	s_waitcnt lgkmcnt(0)
	v_add_f32_e32 v10, v10, v14
	ds_bpermute_b32 v14, v4, v10
	s_waitcnt lgkmcnt(0)
	v_add_f32_e32 v10, v10, v14
	ds_bpermute_b32 v14, v11, v10
	s_waitcnt lgkmcnt(0)
	v_add_f32_e32 v10, v10, v14
	ds_bpermute_b32 v14, v12, v10
	s_waitcnt lgkmcnt(0)
	v_add_f32_e32 v10, v10, v14
.LBB329_16:
	s_or_b32 exec_lo, exec_lo, s0
	ds_bpermute_b32 v14, v1, v9
	s_waitcnt lgkmcnt(0)
	s_barrier
	buffer_gl0_inv
	v_add_f32_e32 v9, v9, v14
	ds_bpermute_b32 v14, v3, v9
	s_waitcnt lgkmcnt(0)
	v_add_f32_e32 v9, v9, v14
	ds_bpermute_b32 v14, v4, v9
	s_waitcnt lgkmcnt(0)
	v_add_f32_e32 v9, v9, v14
	ds_bpermute_b32 v14, v11, v9
	s_waitcnt lgkmcnt(0)
	v_add_f32_e32 v9, v9, v14
	ds_bpermute_b32 v14, v12, v9
	;; [unrolled: 43-line block ×5, first 2 shown]
	s_waitcnt lgkmcnt(0)
	v_add_f32_e32 v6, v6, v14
	ds_write_b32 v13, v6
	s_waitcnt lgkmcnt(0)
	s_barrier
	buffer_gl0_inv
	s_and_saveexec_b32 s0, vcc_lo
	s_cbranch_execz .LBB329_24
; %bb.23:
	ds_read_b32 v5, v5
	s_waitcnt lgkmcnt(0)
	ds_bpermute_b32 v1, v1, v5
	s_waitcnt lgkmcnt(0)
	v_add_f32_e32 v1, v5, v1
	ds_bpermute_b32 v3, v3, v1
	s_waitcnt lgkmcnt(0)
	v_add_f32_e32 v1, v1, v3
	;; [unrolled: 3-line block ×5, first 2 shown]
.LBB329_24:
	s_or_b32 exec_lo, exec_lo, s0
	s_barrier
	buffer_gl0_inv
	s_mov_b32 s0, exec_lo
	v_cmpx_gt_u32_e32 6, v0
	s_cbranch_execz .LBB329_26
; %bb.25:
	s_load_dwordx2 s[0:1], s[4:5], 0x38
	v_cmp_eq_u32_e32 vcc_lo, 1, v0
	s_mul_hi_i32 s3, s22, s10
	s_mul_i32 s2, s22, s10
	s_mul_i32 s4, s26, s7
	s_lshl_b64 s[2:3], s[2:3], 2
	v_cndmask_b32_e32 v3, v2, v10, vcc_lo
	v_cmp_eq_u32_e32 vcc_lo, 2, v0
	v_mad_u64_u32 v[1:2], null, s18, v0, s[6:7]
	s_ashr_i32 s5, s4, 31
	v_cndmask_b32_e32 v3, v3, v9, vcc_lo
	v_cmp_eq_u32_e32 vcc_lo, 3, v0
	v_ashrrev_i32_e32 v2, 31, v1
	v_cndmask_b32_e32 v3, v3, v8, vcc_lo
	v_cmp_eq_u32_e32 vcc_lo, 4, v0
	s_waitcnt lgkmcnt(0)
	s_add_u32 s2, s0, s2
	v_lshlrev_b64 v[1:2], 2, v[1:2]
	s_addc_u32 s3, s1, s3
	s_lshl_b64 s[0:1], s[4:5], 2
	v_cndmask_b32_e32 v3, v3, v7, vcc_lo
	v_cmp_eq_u32_e32 vcc_lo, 5, v0
	s_add_u32 s0, s2, s0
	s_addc_u32 s1, s3, s1
	v_cndmask_b32_e32 v3, v3, v6, vcc_lo
	v_add_co_u32 v0, vcc_lo, s0, v1
	v_add_co_ci_u32_e64 v1, null, s1, v2, vcc_lo
	global_store_dword v[0:1], v3, off
.LBB329_26:
	s_endpgm
	.section	.rodata,"a",@progbits
	.p2align	6, 0x0
	.amdhsa_kernel _ZL13mul_mat_vec_fI14__hip_bfloat16fLi6ELi64ELb0ELb0EEvPKT_PKfPKi31ggml_cuda_mm_fusion_args_devicePfi15HIP_vector_typeIjLj3EEiiiSB_iiiSB_iiii
		.amdhsa_group_segment_fixed_size 0
		.amdhsa_private_segment_fixed_size 0
		.amdhsa_kernarg_size 144
		.amdhsa_user_sgpr_count 6
		.amdhsa_user_sgpr_private_segment_buffer 1
		.amdhsa_user_sgpr_dispatch_ptr 0
		.amdhsa_user_sgpr_queue_ptr 0
		.amdhsa_user_sgpr_kernarg_segment_ptr 1
		.amdhsa_user_sgpr_dispatch_id 0
		.amdhsa_user_sgpr_flat_scratch_init 0
		.amdhsa_user_sgpr_private_segment_size 0
		.amdhsa_wavefront_size32 1
		.amdhsa_uses_dynamic_stack 0
		.amdhsa_system_sgpr_private_segment_wavefront_offset 0
		.amdhsa_system_sgpr_workgroup_id_x 1
		.amdhsa_system_sgpr_workgroup_id_y 1
		.amdhsa_system_sgpr_workgroup_id_z 1
		.amdhsa_system_sgpr_workgroup_info 0
		.amdhsa_system_vgpr_workitem_id 0
		.amdhsa_next_free_vgpr 27
		.amdhsa_next_free_sgpr 36
		.amdhsa_reserve_vcc 1
		.amdhsa_reserve_flat_scratch 0
		.amdhsa_float_round_mode_32 0
		.amdhsa_float_round_mode_16_64 0
		.amdhsa_float_denorm_mode_32 3
		.amdhsa_float_denorm_mode_16_64 3
		.amdhsa_dx10_clamp 1
		.amdhsa_ieee_mode 1
		.amdhsa_fp16_overflow 0
		.amdhsa_workgroup_processor_mode 1
		.amdhsa_memory_ordered 1
		.amdhsa_forward_progress 1
		.amdhsa_shared_vgpr_count 0
		.amdhsa_exception_fp_ieee_invalid_op 0
		.amdhsa_exception_fp_denorm_src 0
		.amdhsa_exception_fp_ieee_div_zero 0
		.amdhsa_exception_fp_ieee_overflow 0
		.amdhsa_exception_fp_ieee_underflow 0
		.amdhsa_exception_fp_ieee_inexact 0
		.amdhsa_exception_int_div_zero 0
	.end_amdhsa_kernel
	.section	.text._ZL13mul_mat_vec_fI14__hip_bfloat16fLi6ELi64ELb0ELb0EEvPKT_PKfPKi31ggml_cuda_mm_fusion_args_devicePfi15HIP_vector_typeIjLj3EEiiiSB_iiiSB_iiii,"axG",@progbits,_ZL13mul_mat_vec_fI14__hip_bfloat16fLi6ELi64ELb0ELb0EEvPKT_PKfPKi31ggml_cuda_mm_fusion_args_devicePfi15HIP_vector_typeIjLj3EEiiiSB_iiiSB_iiii,comdat
.Lfunc_end329:
	.size	_ZL13mul_mat_vec_fI14__hip_bfloat16fLi6ELi64ELb0ELb0EEvPKT_PKfPKi31ggml_cuda_mm_fusion_args_devicePfi15HIP_vector_typeIjLj3EEiiiSB_iiiSB_iiii, .Lfunc_end329-_ZL13mul_mat_vec_fI14__hip_bfloat16fLi6ELi64ELb0ELb0EEvPKT_PKfPKi31ggml_cuda_mm_fusion_args_devicePfi15HIP_vector_typeIjLj3EEiiiSB_iiiSB_iiii
                                        ; -- End function
	.set _ZL13mul_mat_vec_fI14__hip_bfloat16fLi6ELi64ELb0ELb0EEvPKT_PKfPKi31ggml_cuda_mm_fusion_args_devicePfi15HIP_vector_typeIjLj3EEiiiSB_iiiSB_iiii.num_vgpr, 27
	.set _ZL13mul_mat_vec_fI14__hip_bfloat16fLi6ELi64ELb0ELb0EEvPKT_PKfPKi31ggml_cuda_mm_fusion_args_devicePfi15HIP_vector_typeIjLj3EEiiiSB_iiiSB_iiii.num_agpr, 0
	.set _ZL13mul_mat_vec_fI14__hip_bfloat16fLi6ELi64ELb0ELb0EEvPKT_PKfPKi31ggml_cuda_mm_fusion_args_devicePfi15HIP_vector_typeIjLj3EEiiiSB_iiiSB_iiii.numbered_sgpr, 36
	.set _ZL13mul_mat_vec_fI14__hip_bfloat16fLi6ELi64ELb0ELb0EEvPKT_PKfPKi31ggml_cuda_mm_fusion_args_devicePfi15HIP_vector_typeIjLj3EEiiiSB_iiiSB_iiii.num_named_barrier, 0
	.set _ZL13mul_mat_vec_fI14__hip_bfloat16fLi6ELi64ELb0ELb0EEvPKT_PKfPKi31ggml_cuda_mm_fusion_args_devicePfi15HIP_vector_typeIjLj3EEiiiSB_iiiSB_iiii.private_seg_size, 0
	.set _ZL13mul_mat_vec_fI14__hip_bfloat16fLi6ELi64ELb0ELb0EEvPKT_PKfPKi31ggml_cuda_mm_fusion_args_devicePfi15HIP_vector_typeIjLj3EEiiiSB_iiiSB_iiii.uses_vcc, 1
	.set _ZL13mul_mat_vec_fI14__hip_bfloat16fLi6ELi64ELb0ELb0EEvPKT_PKfPKi31ggml_cuda_mm_fusion_args_devicePfi15HIP_vector_typeIjLj3EEiiiSB_iiiSB_iiii.uses_flat_scratch, 0
	.set _ZL13mul_mat_vec_fI14__hip_bfloat16fLi6ELi64ELb0ELb0EEvPKT_PKfPKi31ggml_cuda_mm_fusion_args_devicePfi15HIP_vector_typeIjLj3EEiiiSB_iiiSB_iiii.has_dyn_sized_stack, 0
	.set _ZL13mul_mat_vec_fI14__hip_bfloat16fLi6ELi64ELb0ELb0EEvPKT_PKfPKi31ggml_cuda_mm_fusion_args_devicePfi15HIP_vector_typeIjLj3EEiiiSB_iiiSB_iiii.has_recursion, 0
	.set _ZL13mul_mat_vec_fI14__hip_bfloat16fLi6ELi64ELb0ELb0EEvPKT_PKfPKi31ggml_cuda_mm_fusion_args_devicePfi15HIP_vector_typeIjLj3EEiiiSB_iiiSB_iiii.has_indirect_call, 0
	.section	.AMDGPU.csdata,"",@progbits
; Kernel info:
; codeLenInByte = 2500
; TotalNumSgprs: 38
; NumVgprs: 27
; ScratchSize: 0
; MemoryBound: 0
; FloatMode: 240
; IeeeMode: 1
; LDSByteSize: 0 bytes/workgroup (compile time only)
; SGPRBlocks: 0
; VGPRBlocks: 3
; NumSGPRsForWavesPerEU: 38
; NumVGPRsForWavesPerEU: 27
; Occupancy: 16
; WaveLimiterHint : 0
; COMPUTE_PGM_RSRC2:SCRATCH_EN: 0
; COMPUTE_PGM_RSRC2:USER_SGPR: 6
; COMPUTE_PGM_RSRC2:TRAP_HANDLER: 0
; COMPUTE_PGM_RSRC2:TGID_X_EN: 1
; COMPUTE_PGM_RSRC2:TGID_Y_EN: 1
; COMPUTE_PGM_RSRC2:TGID_Z_EN: 1
; COMPUTE_PGM_RSRC2:TIDIG_COMP_CNT: 0
	.section	.text._ZL13mul_mat_vec_fI14__hip_bfloat16fLi6ELi96ELb0ELb0EEvPKT_PKfPKi31ggml_cuda_mm_fusion_args_devicePfi15HIP_vector_typeIjLj3EEiiiSB_iiiSB_iiii,"axG",@progbits,_ZL13mul_mat_vec_fI14__hip_bfloat16fLi6ELi96ELb0ELb0EEvPKT_PKfPKi31ggml_cuda_mm_fusion_args_devicePfi15HIP_vector_typeIjLj3EEiiiSB_iiiSB_iiii,comdat
	.globl	_ZL13mul_mat_vec_fI14__hip_bfloat16fLi6ELi96ELb0ELb0EEvPKT_PKfPKi31ggml_cuda_mm_fusion_args_devicePfi15HIP_vector_typeIjLj3EEiiiSB_iiiSB_iiii ; -- Begin function _ZL13mul_mat_vec_fI14__hip_bfloat16fLi6ELi96ELb0ELb0EEvPKT_PKfPKi31ggml_cuda_mm_fusion_args_devicePfi15HIP_vector_typeIjLj3EEiiiSB_iiiSB_iiii
	.p2align	8
	.type	_ZL13mul_mat_vec_fI14__hip_bfloat16fLi6ELi96ELb0ELb0EEvPKT_PKfPKi31ggml_cuda_mm_fusion_args_devicePfi15HIP_vector_typeIjLj3EEiiiSB_iiiSB_iiii,@function
_ZL13mul_mat_vec_fI14__hip_bfloat16fLi6ELi96ELb0ELb0EEvPKT_PKfPKi31ggml_cuda_mm_fusion_args_devicePfi15HIP_vector_typeIjLj3EEiiiSB_iiiSB_iiii: ; @_ZL13mul_mat_vec_fI14__hip_bfloat16fLi6ELi96ELb0ELb0EEvPKT_PKfPKi31ggml_cuda_mm_fusion_args_devicePfi15HIP_vector_typeIjLj3EEiiiSB_iiiSB_iiii
; %bb.0:
	s_clause 0x2
	s_load_dwordx2 s[0:1], s[4:5], 0x10
	s_load_dwordx8 s[12:19], s[4:5], 0x40
	s_load_dwordx4 s[20:23], s[4:5], 0x80
	s_waitcnt lgkmcnt(0)
	s_cmp_eq_u64 s[0:1], 0
	s_cselect_b32 s10, -1, 0
	s_cmp_lg_u64 s[0:1], 0
	s_cselect_b32 s11, -1, 0
	s_and_b32 vcc_lo, exec_lo, s10
	s_cbranch_vccnz .LBB330_2
; %bb.1:
	s_mul_i32 s2, s23, s8
	s_mov_b32 s3, 0
	s_add_i32 s2, s2, s7
	s_lshl_b64 s[24:25], s[2:3], 2
	s_add_u32 s0, s0, s24
	s_addc_u32 s1, s1, s25
	s_load_dword s9, s[0:1], 0x0
	s_cbranch_execz .LBB330_3
	s_branch .LBB330_4
.LBB330_2:
                                        ; implicit-def: $sgpr9
.LBB330_3:
	s_load_dwordx2 s[0:1], s[4:5], 0x5c
	s_waitcnt lgkmcnt(0)
	s_mul_hi_u32 s0, s0, s7
	s_add_i32 s0, s7, s0
	s_lshr_b32 s9, s0, s1
.LBB330_4:
	s_load_dwordx4 s[24:27], s[4:5], 0x68
	s_andn2_b32 vcc_lo, exec_lo, s11
	s_mov_b32 s19, s7
	s_cbranch_vccnz .LBB330_6
; %bb.5:
	s_mul_hi_u32 s0, s13, s7
	s_add_i32 s0, s7, s0
	s_lshr_b32 s0, s0, s14
	s_mul_i32 s0, s0, s15
	s_sub_i32 s19, s7, s0
.LBB330_6:
	s_load_dword s14, s[4:5], 0x78
	v_cmp_gt_u32_e32 vcc_lo, 32, v0
	v_lshl_add_u32 v5, v0, 2, 0
	s_and_saveexec_b32 s0, vcc_lo
; %bb.7:
	v_mov_b32_e32 v1, 0
	ds_write_b32 v5, v1
; %bb.8:
	s_or_b32 exec_lo, exec_lo, s0
	v_mov_b32_e32 v6, 0
	v_mov_b32_e32 v7, 0
	;; [unrolled: 1-line block ×6, first 2 shown]
	s_and_b32 s0, exec_lo, s10
	s_mov_b32 s11, 0
	s_cselect_b32 s10, s8, 0
	s_mov_b32 s13, exec_lo
	s_waitcnt lgkmcnt(0)
	s_barrier
	buffer_gl0_inv
	v_cmpx_gt_i32_e64 s12, v0
	s_cbranch_execz .LBB330_12
; %bb.9:
	s_load_dwordx4 s[0:3], s[4:5], 0x0
	s_mul_hi_u32 s15, s27, s10
	s_mul_hi_i32 s29, s21, s10
	s_mul_i32 s28, s21, s10
	s_mul_i32 s8, s9, s24
	s_mul_i32 s24, s16, s6
	s_mul_i32 s30, s19, s25
	s_add_i32 s15, s10, s15
	s_lshl_b64 s[28:29], s[28:29], 2
	s_ashr_i32 s9, s8, 31
	s_ashr_i32 s25, s24, 31
	;; [unrolled: 1-line block ×3, first 2 shown]
	s_lshr_b32 s14, s15, s14
	s_mov_b32 s34, s17
	s_mul_hi_i32 s21, s14, s20
	s_mul_i32 s20, s14, s20
	v_lshlrev_b32_e32 v2, 3, v0
	v_lshlrev_b32_e32 v1, 2, v0
	v_mov_b32_e32 v11, 0
	v_mov_b32_e32 v12, v0
	s_waitcnt lgkmcnt(0)
	s_add_u32 s15, s2, s28
	s_addc_u32 s16, s3, s29
	s_lshl_b64 s[30:31], s[30:31], 2
	v_mov_b32_e32 v10, 0
	s_add_u32 s14, s15, s30
	s_addc_u32 s15, s16, s31
	s_lshl_b64 s[8:9], s[8:9], 1
	s_ashr_i32 s35, s17, 31
	s_add_i32 s16, s17, s17
	s_lshl_b32 s19, s17, 2
	s_lshl_b64 s[20:21], s[20:21], 1
	s_lshl_b64 s[24:25], s[24:25], 1
	s_add_u32 s0, s0, s8
	s_addc_u32 s1, s1, s9
	s_add_u32 s0, s0, s24
	s_addc_u32 s1, s1, s25
	;; [unrolled: 2-line block ×3, first 2 shown]
	s_lshl_b64 s[8:9], s[34:35], 3
	s_add_u32 s2, s2, s30
	s_addc_u32 s3, s3, s31
	s_add_u32 s2, s2, s28
	s_addc_u32 s3, s3, s29
	v_add_co_u32 v3, s2, s2, v2
	v_add_co_ci_u32_e64 v4, null, s3, 0, s2
	v_add_co_u32 v1, s0, s0, v1
	v_add_co_ci_u32_e64 v2, null, s1, 0, s0
	;; [unrolled: 2-line block ×3, first 2 shown]
	v_mov_b32_e32 v9, 0
	v_mov_b32_e32 v8, 0
	;; [unrolled: 1-line block ×4, first 2 shown]
	s_mul_i32 s1, s17, 3
	s_mul_i32 s2, s17, 5
.LBB330_10:                             ; =>This Inner Loop Header: Depth=1
	v_add_nc_u32_e32 v15, s16, v12
	v_add_nc_u32_e32 v19, s1, v12
	v_add_nc_u32_e32 v21, s19, v12
	v_add_nc_u32_e32 v23, s2, v12
	v_add_co_u32 v17, s0, v3, s8
	v_ashrrev_i32_e32 v16, 31, v15
	v_ashrrev_i32_e32 v20, 31, v19
	;; [unrolled: 1-line block ×4, first 2 shown]
	v_add_co_ci_u32_e64 v18, null, s9, v4, s0
	v_lshlrev_b64 v[15:16], 3, v[15:16]
	v_lshlrev_b64 v[19:20], 3, v[19:20]
	;; [unrolled: 1-line block ×4, first 2 shown]
	global_load_dword v25, v[1:2], off
	global_load_dwordx2 v[13:14], v[3:4], off offset:-4
	v_add_nc_u32_e32 v12, 0x60, v12
	v_add_co_u32 v15, s0, s14, v15
	v_add_co_ci_u32_e64 v16, null, s15, v16, s0
	v_add_co_u32 v19, s0, s14, v19
	v_add_co_ci_u32_e64 v20, null, s15, v20, s0
	;; [unrolled: 2-line block ×4, first 2 shown]
	global_load_dwordx2 v[17:18], v[17:18], off offset:-4
	s_clause 0x3
	global_load_dwordx2 v[15:16], v[15:16], off
	global_load_dwordx2 v[19:20], v[19:20], off
	;; [unrolled: 1-line block ×4, first 2 shown]
	v_add_co_u32 v1, s0, 0x180, v1
	v_add_co_ci_u32_e64 v2, null, 0, v2, s0
	v_add_co_u32 v3, s0, 0x300, v3
	v_add_co_ci_u32_e64 v4, null, 0, v4, s0
	v_cmp_le_i32_e64 s0, s12, v12
	s_or_b32 s11, s0, s11
	s_waitcnt vmcnt(6)
	v_lshlrev_b32_e32 v26, 16, v25
	v_and_b32_e32 v25, 0xffff0000, v25
	s_waitcnt vmcnt(5)
	v_fmac_f32_e32 v11, v13, v26
	v_fmac_f32_e32 v11, v14, v25
	s_waitcnt vmcnt(4)
	v_fmac_f32_e32 v10, v17, v26
	s_waitcnt vmcnt(3)
	;; [unrolled: 2-line block ×5, first 2 shown]
	v_fmac_f32_e32 v6, v23, v26
	v_fmac_f32_e32 v10, v18, v25
	;; [unrolled: 1-line block ×6, first 2 shown]
	s_andn2_b32 exec_lo, exec_lo, s11
	s_cbranch_execnz .LBB330_10
; %bb.11:
	s_or_b32 exec_lo, exec_lo, s11
.LBB330_12:
	s_or_b32 exec_lo, exec_lo, s13
	v_mbcnt_lo_u32_b32 v2, -1, 0
	v_xor_b32_e32 v1, 16, v2
	v_xor_b32_e32 v3, 8, v2
	v_cmp_gt_i32_e64 s0, 32, v1
	v_cndmask_b32_e64 v1, v2, v1, s0
	v_cmp_gt_i32_e64 s0, 32, v3
	v_lshlrev_b32_e32 v1, 2, v1
	v_cndmask_b32_e64 v3, v2, v3, s0
	ds_bpermute_b32 v4, v1, v11
	v_lshlrev_b32_e32 v3, 2, v3
	s_waitcnt lgkmcnt(0)
	v_add_f32_e32 v11, v11, v4
	v_xor_b32_e32 v4, 4, v2
	ds_bpermute_b32 v12, v3, v11
	v_cmp_gt_i32_e64 s0, 32, v4
	v_cndmask_b32_e64 v4, v2, v4, s0
	v_lshlrev_b32_e32 v4, 2, v4
	s_waitcnt lgkmcnt(0)
	v_add_f32_e32 v12, v11, v12
	v_xor_b32_e32 v11, 2, v2
	ds_bpermute_b32 v13, v4, v12
	v_cmp_gt_i32_e64 s0, 32, v11
	v_cndmask_b32_e64 v11, v2, v11, s0
	;; [unrolled: 7-line block ×3, first 2 shown]
	v_lshlrev_b32_e32 v12, 2, v2
	s_waitcnt lgkmcnt(0)
	v_add_f32_e32 v2, v13, v14
	v_lshrrev_b32_e32 v13, 3, v0
	ds_bpermute_b32 v14, v12, v2
	v_and_b32_e32 v13, 0x7c, v13
	v_add_nc_u32_e32 v13, 0, v13
	s_waitcnt lgkmcnt(0)
	v_add_f32_e32 v2, v2, v14
	ds_write_b32 v13, v2
	s_waitcnt lgkmcnt(0)
	s_barrier
	buffer_gl0_inv
	s_and_saveexec_b32 s0, vcc_lo
	s_cbranch_execz .LBB330_14
; %bb.13:
	ds_read_b32 v2, v5
	s_waitcnt lgkmcnt(0)
	ds_bpermute_b32 v14, v1, v2
	s_waitcnt lgkmcnt(0)
	v_add_f32_e32 v2, v2, v14
	ds_bpermute_b32 v14, v3, v2
	s_waitcnt lgkmcnt(0)
	v_add_f32_e32 v2, v2, v14
	ds_bpermute_b32 v14, v4, v2
	s_waitcnt lgkmcnt(0)
	v_add_f32_e32 v2, v2, v14
	ds_bpermute_b32 v14, v11, v2
	s_waitcnt lgkmcnt(0)
	v_add_f32_e32 v2, v2, v14
	ds_bpermute_b32 v14, v12, v2
	s_waitcnt lgkmcnt(0)
	v_add_f32_e32 v2, v2, v14
.LBB330_14:
	s_or_b32 exec_lo, exec_lo, s0
	ds_bpermute_b32 v14, v1, v10
	s_waitcnt lgkmcnt(0)
	s_barrier
	buffer_gl0_inv
	v_add_f32_e32 v10, v10, v14
	ds_bpermute_b32 v14, v3, v10
	s_waitcnt lgkmcnt(0)
	v_add_f32_e32 v10, v10, v14
	ds_bpermute_b32 v14, v4, v10
	s_waitcnt lgkmcnt(0)
	v_add_f32_e32 v10, v10, v14
	ds_bpermute_b32 v14, v11, v10
	s_waitcnt lgkmcnt(0)
	v_add_f32_e32 v10, v10, v14
	ds_bpermute_b32 v14, v12, v10
	s_waitcnt lgkmcnt(0)
	v_add_f32_e32 v10, v10, v14
	ds_write_b32 v13, v10
	s_waitcnt lgkmcnt(0)
	s_barrier
	buffer_gl0_inv
	s_and_saveexec_b32 s0, vcc_lo
	s_cbranch_execz .LBB330_16
; %bb.15:
	ds_read_b32 v10, v5
	s_waitcnt lgkmcnt(0)
	ds_bpermute_b32 v14, v1, v10
	s_waitcnt lgkmcnt(0)
	v_add_f32_e32 v10, v10, v14
	ds_bpermute_b32 v14, v3, v10
	s_waitcnt lgkmcnt(0)
	v_add_f32_e32 v10, v10, v14
	ds_bpermute_b32 v14, v4, v10
	s_waitcnt lgkmcnt(0)
	v_add_f32_e32 v10, v10, v14
	ds_bpermute_b32 v14, v11, v10
	s_waitcnt lgkmcnt(0)
	v_add_f32_e32 v10, v10, v14
	ds_bpermute_b32 v14, v12, v10
	s_waitcnt lgkmcnt(0)
	v_add_f32_e32 v10, v10, v14
.LBB330_16:
	s_or_b32 exec_lo, exec_lo, s0
	ds_bpermute_b32 v14, v1, v9
	s_waitcnt lgkmcnt(0)
	s_barrier
	buffer_gl0_inv
	v_add_f32_e32 v9, v9, v14
	ds_bpermute_b32 v14, v3, v9
	s_waitcnt lgkmcnt(0)
	v_add_f32_e32 v9, v9, v14
	ds_bpermute_b32 v14, v4, v9
	s_waitcnt lgkmcnt(0)
	v_add_f32_e32 v9, v9, v14
	ds_bpermute_b32 v14, v11, v9
	s_waitcnt lgkmcnt(0)
	v_add_f32_e32 v9, v9, v14
	ds_bpermute_b32 v14, v12, v9
	s_waitcnt lgkmcnt(0)
	v_add_f32_e32 v9, v9, v14
	ds_write_b32 v13, v9
	s_waitcnt lgkmcnt(0)
	s_barrier
	buffer_gl0_inv
	s_and_saveexec_b32 s0, vcc_lo
	s_cbranch_execz .LBB330_18
; %bb.17:
	ds_read_b32 v9, v5
	s_waitcnt lgkmcnt(0)
	ds_bpermute_b32 v14, v1, v9
	s_waitcnt lgkmcnt(0)
	v_add_f32_e32 v9, v9, v14
	ds_bpermute_b32 v14, v3, v9
	s_waitcnt lgkmcnt(0)
	v_add_f32_e32 v9, v9, v14
	ds_bpermute_b32 v14, v4, v9
	s_waitcnt lgkmcnt(0)
	v_add_f32_e32 v9, v9, v14
	ds_bpermute_b32 v14, v11, v9
	s_waitcnt lgkmcnt(0)
	v_add_f32_e32 v9, v9, v14
	ds_bpermute_b32 v14, v12, v9
	s_waitcnt lgkmcnt(0)
	v_add_f32_e32 v9, v9, v14
.LBB330_18:
	s_or_b32 exec_lo, exec_lo, s0
	ds_bpermute_b32 v14, v1, v8
	s_waitcnt lgkmcnt(0)
	s_barrier
	buffer_gl0_inv
	v_add_f32_e32 v8, v8, v14
	ds_bpermute_b32 v14, v3, v8
	s_waitcnt lgkmcnt(0)
	v_add_f32_e32 v8, v8, v14
	ds_bpermute_b32 v14, v4, v8
	s_waitcnt lgkmcnt(0)
	v_add_f32_e32 v8, v8, v14
	ds_bpermute_b32 v14, v11, v8
	s_waitcnt lgkmcnt(0)
	v_add_f32_e32 v8, v8, v14
	ds_bpermute_b32 v14, v12, v8
	s_waitcnt lgkmcnt(0)
	v_add_f32_e32 v8, v8, v14
	ds_write_b32 v13, v8
	s_waitcnt lgkmcnt(0)
	s_barrier
	buffer_gl0_inv
	s_and_saveexec_b32 s0, vcc_lo
	s_cbranch_execz .LBB330_20
; %bb.19:
	ds_read_b32 v8, v5
	s_waitcnt lgkmcnt(0)
	ds_bpermute_b32 v14, v1, v8
	s_waitcnt lgkmcnt(0)
	v_add_f32_e32 v8, v8, v14
	ds_bpermute_b32 v14, v3, v8
	s_waitcnt lgkmcnt(0)
	v_add_f32_e32 v8, v8, v14
	ds_bpermute_b32 v14, v4, v8
	s_waitcnt lgkmcnt(0)
	v_add_f32_e32 v8, v8, v14
	ds_bpermute_b32 v14, v11, v8
	s_waitcnt lgkmcnt(0)
	v_add_f32_e32 v8, v8, v14
	ds_bpermute_b32 v14, v12, v8
	s_waitcnt lgkmcnt(0)
	v_add_f32_e32 v8, v8, v14
.LBB330_20:
	s_or_b32 exec_lo, exec_lo, s0
	ds_bpermute_b32 v14, v1, v7
	s_waitcnt lgkmcnt(0)
	s_barrier
	buffer_gl0_inv
	v_add_f32_e32 v7, v7, v14
	ds_bpermute_b32 v14, v3, v7
	s_waitcnt lgkmcnt(0)
	v_add_f32_e32 v7, v7, v14
	ds_bpermute_b32 v14, v4, v7
	s_waitcnt lgkmcnt(0)
	v_add_f32_e32 v7, v7, v14
	ds_bpermute_b32 v14, v11, v7
	s_waitcnt lgkmcnt(0)
	v_add_f32_e32 v7, v7, v14
	ds_bpermute_b32 v14, v12, v7
	s_waitcnt lgkmcnt(0)
	v_add_f32_e32 v7, v7, v14
	ds_write_b32 v13, v7
	s_waitcnt lgkmcnt(0)
	s_barrier
	buffer_gl0_inv
	s_and_saveexec_b32 s0, vcc_lo
	s_cbranch_execz .LBB330_22
; %bb.21:
	ds_read_b32 v7, v5
	s_waitcnt lgkmcnt(0)
	ds_bpermute_b32 v14, v1, v7
	s_waitcnt lgkmcnt(0)
	v_add_f32_e32 v7, v7, v14
	ds_bpermute_b32 v14, v3, v7
	s_waitcnt lgkmcnt(0)
	v_add_f32_e32 v7, v7, v14
	ds_bpermute_b32 v14, v4, v7
	s_waitcnt lgkmcnt(0)
	v_add_f32_e32 v7, v7, v14
	ds_bpermute_b32 v14, v11, v7
	s_waitcnt lgkmcnt(0)
	v_add_f32_e32 v7, v7, v14
	ds_bpermute_b32 v14, v12, v7
	s_waitcnt lgkmcnt(0)
	v_add_f32_e32 v7, v7, v14
.LBB330_22:
	s_or_b32 exec_lo, exec_lo, s0
	ds_bpermute_b32 v14, v1, v6
	s_waitcnt lgkmcnt(0)
	s_barrier
	buffer_gl0_inv
	v_add_f32_e32 v6, v6, v14
	ds_bpermute_b32 v14, v3, v6
	s_waitcnt lgkmcnt(0)
	v_add_f32_e32 v6, v6, v14
	ds_bpermute_b32 v14, v4, v6
	s_waitcnt lgkmcnt(0)
	v_add_f32_e32 v6, v6, v14
	ds_bpermute_b32 v14, v11, v6
	s_waitcnt lgkmcnt(0)
	v_add_f32_e32 v6, v6, v14
	ds_bpermute_b32 v14, v12, v6
	s_waitcnt lgkmcnt(0)
	v_add_f32_e32 v6, v6, v14
	ds_write_b32 v13, v6
	s_waitcnt lgkmcnt(0)
	s_barrier
	buffer_gl0_inv
	s_and_saveexec_b32 s0, vcc_lo
	s_cbranch_execz .LBB330_24
; %bb.23:
	ds_read_b32 v5, v5
	s_waitcnt lgkmcnt(0)
	ds_bpermute_b32 v1, v1, v5
	s_waitcnt lgkmcnt(0)
	v_add_f32_e32 v1, v5, v1
	ds_bpermute_b32 v3, v3, v1
	s_waitcnt lgkmcnt(0)
	v_add_f32_e32 v1, v1, v3
	;; [unrolled: 3-line block ×5, first 2 shown]
.LBB330_24:
	s_or_b32 exec_lo, exec_lo, s0
	s_barrier
	buffer_gl0_inv
	s_mov_b32 s0, exec_lo
	v_cmpx_gt_u32_e32 6, v0
	s_cbranch_execz .LBB330_26
; %bb.25:
	s_load_dwordx2 s[0:1], s[4:5], 0x38
	v_cmp_eq_u32_e32 vcc_lo, 1, v0
	s_mul_hi_i32 s3, s22, s10
	s_mul_i32 s2, s22, s10
	s_mul_i32 s4, s26, s7
	s_lshl_b64 s[2:3], s[2:3], 2
	v_cndmask_b32_e32 v3, v2, v10, vcc_lo
	v_cmp_eq_u32_e32 vcc_lo, 2, v0
	v_mad_u64_u32 v[1:2], null, s18, v0, s[6:7]
	s_ashr_i32 s5, s4, 31
	v_cndmask_b32_e32 v3, v3, v9, vcc_lo
	v_cmp_eq_u32_e32 vcc_lo, 3, v0
	v_ashrrev_i32_e32 v2, 31, v1
	v_cndmask_b32_e32 v3, v3, v8, vcc_lo
	v_cmp_eq_u32_e32 vcc_lo, 4, v0
	s_waitcnt lgkmcnt(0)
	s_add_u32 s2, s0, s2
	v_lshlrev_b64 v[1:2], 2, v[1:2]
	s_addc_u32 s3, s1, s3
	s_lshl_b64 s[0:1], s[4:5], 2
	v_cndmask_b32_e32 v3, v3, v7, vcc_lo
	v_cmp_eq_u32_e32 vcc_lo, 5, v0
	s_add_u32 s0, s2, s0
	s_addc_u32 s1, s3, s1
	v_cndmask_b32_e32 v3, v3, v6, vcc_lo
	v_add_co_u32 v0, vcc_lo, s0, v1
	v_add_co_ci_u32_e64 v1, null, s1, v2, vcc_lo
	global_store_dword v[0:1], v3, off
.LBB330_26:
	s_endpgm
	.section	.rodata,"a",@progbits
	.p2align	6, 0x0
	.amdhsa_kernel _ZL13mul_mat_vec_fI14__hip_bfloat16fLi6ELi96ELb0ELb0EEvPKT_PKfPKi31ggml_cuda_mm_fusion_args_devicePfi15HIP_vector_typeIjLj3EEiiiSB_iiiSB_iiii
		.amdhsa_group_segment_fixed_size 0
		.amdhsa_private_segment_fixed_size 0
		.amdhsa_kernarg_size 144
		.amdhsa_user_sgpr_count 6
		.amdhsa_user_sgpr_private_segment_buffer 1
		.amdhsa_user_sgpr_dispatch_ptr 0
		.amdhsa_user_sgpr_queue_ptr 0
		.amdhsa_user_sgpr_kernarg_segment_ptr 1
		.amdhsa_user_sgpr_dispatch_id 0
		.amdhsa_user_sgpr_flat_scratch_init 0
		.amdhsa_user_sgpr_private_segment_size 0
		.amdhsa_wavefront_size32 1
		.amdhsa_uses_dynamic_stack 0
		.amdhsa_system_sgpr_private_segment_wavefront_offset 0
		.amdhsa_system_sgpr_workgroup_id_x 1
		.amdhsa_system_sgpr_workgroup_id_y 1
		.amdhsa_system_sgpr_workgroup_id_z 1
		.amdhsa_system_sgpr_workgroup_info 0
		.amdhsa_system_vgpr_workitem_id 0
		.amdhsa_next_free_vgpr 27
		.amdhsa_next_free_sgpr 36
		.amdhsa_reserve_vcc 1
		.amdhsa_reserve_flat_scratch 0
		.amdhsa_float_round_mode_32 0
		.amdhsa_float_round_mode_16_64 0
		.amdhsa_float_denorm_mode_32 3
		.amdhsa_float_denorm_mode_16_64 3
		.amdhsa_dx10_clamp 1
		.amdhsa_ieee_mode 1
		.amdhsa_fp16_overflow 0
		.amdhsa_workgroup_processor_mode 1
		.amdhsa_memory_ordered 1
		.amdhsa_forward_progress 1
		.amdhsa_shared_vgpr_count 0
		.amdhsa_exception_fp_ieee_invalid_op 0
		.amdhsa_exception_fp_denorm_src 0
		.amdhsa_exception_fp_ieee_div_zero 0
		.amdhsa_exception_fp_ieee_overflow 0
		.amdhsa_exception_fp_ieee_underflow 0
		.amdhsa_exception_fp_ieee_inexact 0
		.amdhsa_exception_int_div_zero 0
	.end_amdhsa_kernel
	.section	.text._ZL13mul_mat_vec_fI14__hip_bfloat16fLi6ELi96ELb0ELb0EEvPKT_PKfPKi31ggml_cuda_mm_fusion_args_devicePfi15HIP_vector_typeIjLj3EEiiiSB_iiiSB_iiii,"axG",@progbits,_ZL13mul_mat_vec_fI14__hip_bfloat16fLi6ELi96ELb0ELb0EEvPKT_PKfPKi31ggml_cuda_mm_fusion_args_devicePfi15HIP_vector_typeIjLj3EEiiiSB_iiiSB_iiii,comdat
.Lfunc_end330:
	.size	_ZL13mul_mat_vec_fI14__hip_bfloat16fLi6ELi96ELb0ELb0EEvPKT_PKfPKi31ggml_cuda_mm_fusion_args_devicePfi15HIP_vector_typeIjLj3EEiiiSB_iiiSB_iiii, .Lfunc_end330-_ZL13mul_mat_vec_fI14__hip_bfloat16fLi6ELi96ELb0ELb0EEvPKT_PKfPKi31ggml_cuda_mm_fusion_args_devicePfi15HIP_vector_typeIjLj3EEiiiSB_iiiSB_iiii
                                        ; -- End function
	.set _ZL13mul_mat_vec_fI14__hip_bfloat16fLi6ELi96ELb0ELb0EEvPKT_PKfPKi31ggml_cuda_mm_fusion_args_devicePfi15HIP_vector_typeIjLj3EEiiiSB_iiiSB_iiii.num_vgpr, 27
	.set _ZL13mul_mat_vec_fI14__hip_bfloat16fLi6ELi96ELb0ELb0EEvPKT_PKfPKi31ggml_cuda_mm_fusion_args_devicePfi15HIP_vector_typeIjLj3EEiiiSB_iiiSB_iiii.num_agpr, 0
	.set _ZL13mul_mat_vec_fI14__hip_bfloat16fLi6ELi96ELb0ELb0EEvPKT_PKfPKi31ggml_cuda_mm_fusion_args_devicePfi15HIP_vector_typeIjLj3EEiiiSB_iiiSB_iiii.numbered_sgpr, 36
	.set _ZL13mul_mat_vec_fI14__hip_bfloat16fLi6ELi96ELb0ELb0EEvPKT_PKfPKi31ggml_cuda_mm_fusion_args_devicePfi15HIP_vector_typeIjLj3EEiiiSB_iiiSB_iiii.num_named_barrier, 0
	.set _ZL13mul_mat_vec_fI14__hip_bfloat16fLi6ELi96ELb0ELb0EEvPKT_PKfPKi31ggml_cuda_mm_fusion_args_devicePfi15HIP_vector_typeIjLj3EEiiiSB_iiiSB_iiii.private_seg_size, 0
	.set _ZL13mul_mat_vec_fI14__hip_bfloat16fLi6ELi96ELb0ELb0EEvPKT_PKfPKi31ggml_cuda_mm_fusion_args_devicePfi15HIP_vector_typeIjLj3EEiiiSB_iiiSB_iiii.uses_vcc, 1
	.set _ZL13mul_mat_vec_fI14__hip_bfloat16fLi6ELi96ELb0ELb0EEvPKT_PKfPKi31ggml_cuda_mm_fusion_args_devicePfi15HIP_vector_typeIjLj3EEiiiSB_iiiSB_iiii.uses_flat_scratch, 0
	.set _ZL13mul_mat_vec_fI14__hip_bfloat16fLi6ELi96ELb0ELb0EEvPKT_PKfPKi31ggml_cuda_mm_fusion_args_devicePfi15HIP_vector_typeIjLj3EEiiiSB_iiiSB_iiii.has_dyn_sized_stack, 0
	.set _ZL13mul_mat_vec_fI14__hip_bfloat16fLi6ELi96ELb0ELb0EEvPKT_PKfPKi31ggml_cuda_mm_fusion_args_devicePfi15HIP_vector_typeIjLj3EEiiiSB_iiiSB_iiii.has_recursion, 0
	.set _ZL13mul_mat_vec_fI14__hip_bfloat16fLi6ELi96ELb0ELb0EEvPKT_PKfPKi31ggml_cuda_mm_fusion_args_devicePfi15HIP_vector_typeIjLj3EEiiiSB_iiiSB_iiii.has_indirect_call, 0
	.section	.AMDGPU.csdata,"",@progbits
; Kernel info:
; codeLenInByte = 2504
; TotalNumSgprs: 38
; NumVgprs: 27
; ScratchSize: 0
; MemoryBound: 0
; FloatMode: 240
; IeeeMode: 1
; LDSByteSize: 0 bytes/workgroup (compile time only)
; SGPRBlocks: 0
; VGPRBlocks: 3
; NumSGPRsForWavesPerEU: 38
; NumVGPRsForWavesPerEU: 27
; Occupancy: 16
; WaveLimiterHint : 0
; COMPUTE_PGM_RSRC2:SCRATCH_EN: 0
; COMPUTE_PGM_RSRC2:USER_SGPR: 6
; COMPUTE_PGM_RSRC2:TRAP_HANDLER: 0
; COMPUTE_PGM_RSRC2:TGID_X_EN: 1
; COMPUTE_PGM_RSRC2:TGID_Y_EN: 1
; COMPUTE_PGM_RSRC2:TGID_Z_EN: 1
; COMPUTE_PGM_RSRC2:TIDIG_COMP_CNT: 0
	.section	.text._ZL13mul_mat_vec_fI14__hip_bfloat16fLi6ELi128ELb0ELb0EEvPKT_PKfPKi31ggml_cuda_mm_fusion_args_devicePfi15HIP_vector_typeIjLj3EEiiiSB_iiiSB_iiii,"axG",@progbits,_ZL13mul_mat_vec_fI14__hip_bfloat16fLi6ELi128ELb0ELb0EEvPKT_PKfPKi31ggml_cuda_mm_fusion_args_devicePfi15HIP_vector_typeIjLj3EEiiiSB_iiiSB_iiii,comdat
	.globl	_ZL13mul_mat_vec_fI14__hip_bfloat16fLi6ELi128ELb0ELb0EEvPKT_PKfPKi31ggml_cuda_mm_fusion_args_devicePfi15HIP_vector_typeIjLj3EEiiiSB_iiiSB_iiii ; -- Begin function _ZL13mul_mat_vec_fI14__hip_bfloat16fLi6ELi128ELb0ELb0EEvPKT_PKfPKi31ggml_cuda_mm_fusion_args_devicePfi15HIP_vector_typeIjLj3EEiiiSB_iiiSB_iiii
	.p2align	8
	.type	_ZL13mul_mat_vec_fI14__hip_bfloat16fLi6ELi128ELb0ELb0EEvPKT_PKfPKi31ggml_cuda_mm_fusion_args_devicePfi15HIP_vector_typeIjLj3EEiiiSB_iiiSB_iiii,@function
_ZL13mul_mat_vec_fI14__hip_bfloat16fLi6ELi128ELb0ELb0EEvPKT_PKfPKi31ggml_cuda_mm_fusion_args_devicePfi15HIP_vector_typeIjLj3EEiiiSB_iiiSB_iiii: ; @_ZL13mul_mat_vec_fI14__hip_bfloat16fLi6ELi128ELb0ELb0EEvPKT_PKfPKi31ggml_cuda_mm_fusion_args_devicePfi15HIP_vector_typeIjLj3EEiiiSB_iiiSB_iiii
; %bb.0:
	s_clause 0x2
	s_load_dwordx2 s[0:1], s[4:5], 0x10
	s_load_dwordx8 s[12:19], s[4:5], 0x40
	s_load_dwordx4 s[20:23], s[4:5], 0x80
	s_waitcnt lgkmcnt(0)
	s_cmp_eq_u64 s[0:1], 0
	s_cselect_b32 s10, -1, 0
	s_cmp_lg_u64 s[0:1], 0
	s_cselect_b32 s11, -1, 0
	s_and_b32 vcc_lo, exec_lo, s10
	s_cbranch_vccnz .LBB331_2
; %bb.1:
	s_mul_i32 s2, s23, s8
	s_mov_b32 s3, 0
	s_add_i32 s2, s2, s7
	s_lshl_b64 s[24:25], s[2:3], 2
	s_add_u32 s0, s0, s24
	s_addc_u32 s1, s1, s25
	s_load_dword s9, s[0:1], 0x0
	s_cbranch_execz .LBB331_3
	s_branch .LBB331_4
.LBB331_2:
                                        ; implicit-def: $sgpr9
.LBB331_3:
	s_load_dwordx2 s[0:1], s[4:5], 0x5c
	s_waitcnt lgkmcnt(0)
	s_mul_hi_u32 s0, s0, s7
	s_add_i32 s0, s7, s0
	s_lshr_b32 s9, s0, s1
.LBB331_4:
	s_load_dwordx4 s[24:27], s[4:5], 0x68
	s_andn2_b32 vcc_lo, exec_lo, s11
	s_mov_b32 s19, s7
	s_cbranch_vccnz .LBB331_6
; %bb.5:
	s_mul_hi_u32 s0, s13, s7
	s_add_i32 s0, s7, s0
	s_lshr_b32 s0, s0, s14
	s_mul_i32 s0, s0, s15
	s_sub_i32 s19, s7, s0
.LBB331_6:
	s_load_dword s14, s[4:5], 0x78
	v_cmp_gt_u32_e32 vcc_lo, 32, v0
	v_lshl_add_u32 v5, v0, 2, 0
	s_and_saveexec_b32 s0, vcc_lo
; %bb.7:
	v_mov_b32_e32 v1, 0
	ds_write_b32 v5, v1
; %bb.8:
	s_or_b32 exec_lo, exec_lo, s0
	v_mov_b32_e32 v6, 0
	v_mov_b32_e32 v7, 0
	;; [unrolled: 1-line block ×6, first 2 shown]
	s_and_b32 s0, exec_lo, s10
	s_mov_b32 s11, 0
	s_cselect_b32 s10, s8, 0
	s_mov_b32 s13, exec_lo
	s_waitcnt lgkmcnt(0)
	s_barrier
	buffer_gl0_inv
	v_cmpx_gt_i32_e64 s12, v0
	s_cbranch_execz .LBB331_12
; %bb.9:
	s_load_dwordx4 s[0:3], s[4:5], 0x0
	s_mul_hi_u32 s15, s27, s10
	s_mul_hi_i32 s29, s21, s10
	s_mul_i32 s28, s21, s10
	s_mul_i32 s8, s9, s24
	;; [unrolled: 1-line block ×4, first 2 shown]
	s_add_i32 s15, s10, s15
	s_lshl_b64 s[28:29], s[28:29], 2
	s_ashr_i32 s9, s8, 31
	s_ashr_i32 s25, s24, 31
	;; [unrolled: 1-line block ×3, first 2 shown]
	s_lshr_b32 s14, s15, s14
	s_mov_b32 s34, s17
	s_mul_hi_i32 s21, s14, s20
	s_mul_i32 s20, s14, s20
	v_lshlrev_b32_e32 v2, 3, v0
	v_lshlrev_b32_e32 v1, 2, v0
	v_mov_b32_e32 v11, 0
	v_mov_b32_e32 v12, v0
	s_waitcnt lgkmcnt(0)
	s_add_u32 s15, s2, s28
	s_addc_u32 s16, s3, s29
	s_lshl_b64 s[30:31], s[30:31], 2
	v_mov_b32_e32 v10, 0
	s_add_u32 s14, s15, s30
	s_addc_u32 s15, s16, s31
	s_lshl_b64 s[8:9], s[8:9], 1
	s_ashr_i32 s35, s17, 31
	s_add_i32 s16, s17, s17
	s_lshl_b32 s19, s17, 2
	s_lshl_b64 s[20:21], s[20:21], 1
	s_lshl_b64 s[24:25], s[24:25], 1
	s_add_u32 s0, s0, s8
	s_addc_u32 s1, s1, s9
	s_add_u32 s0, s0, s24
	s_addc_u32 s1, s1, s25
	;; [unrolled: 2-line block ×3, first 2 shown]
	s_lshl_b64 s[8:9], s[34:35], 3
	s_add_u32 s2, s2, s30
	s_addc_u32 s3, s3, s31
	s_add_u32 s2, s2, s28
	s_addc_u32 s3, s3, s29
	v_add_co_u32 v3, s2, s2, v2
	v_add_co_ci_u32_e64 v4, null, s3, 0, s2
	v_add_co_u32 v1, s0, s0, v1
	v_add_co_ci_u32_e64 v2, null, s1, 0, s0
	;; [unrolled: 2-line block ×3, first 2 shown]
	v_mov_b32_e32 v9, 0
	v_mov_b32_e32 v8, 0
	;; [unrolled: 1-line block ×4, first 2 shown]
	s_mul_i32 s1, s17, 3
	s_mul_i32 s2, s17, 5
.LBB331_10:                             ; =>This Inner Loop Header: Depth=1
	v_add_nc_u32_e32 v15, s16, v12
	v_add_nc_u32_e32 v19, s1, v12
	;; [unrolled: 1-line block ×4, first 2 shown]
	v_add_co_u32 v17, s0, v3, s8
	v_ashrrev_i32_e32 v16, 31, v15
	v_ashrrev_i32_e32 v20, 31, v19
	;; [unrolled: 1-line block ×4, first 2 shown]
	v_add_co_ci_u32_e64 v18, null, s9, v4, s0
	v_lshlrev_b64 v[15:16], 3, v[15:16]
	v_lshlrev_b64 v[19:20], 3, v[19:20]
	;; [unrolled: 1-line block ×4, first 2 shown]
	global_load_dword v25, v[1:2], off
	global_load_dwordx2 v[13:14], v[3:4], off offset:-4
	v_add_nc_u32_e32 v12, 0x80, v12
	v_add_co_u32 v15, s0, s14, v15
	v_add_co_ci_u32_e64 v16, null, s15, v16, s0
	v_add_co_u32 v19, s0, s14, v19
	v_add_co_ci_u32_e64 v20, null, s15, v20, s0
	;; [unrolled: 2-line block ×4, first 2 shown]
	global_load_dwordx2 v[17:18], v[17:18], off offset:-4
	s_clause 0x3
	global_load_dwordx2 v[15:16], v[15:16], off
	global_load_dwordx2 v[19:20], v[19:20], off
	;; [unrolled: 1-line block ×4, first 2 shown]
	v_add_co_u32 v1, s0, 0x200, v1
	v_add_co_ci_u32_e64 v2, null, 0, v2, s0
	v_add_co_u32 v3, s0, 0x400, v3
	v_add_co_ci_u32_e64 v4, null, 0, v4, s0
	v_cmp_le_i32_e64 s0, s12, v12
	s_or_b32 s11, s0, s11
	s_waitcnt vmcnt(6)
	v_lshlrev_b32_e32 v26, 16, v25
	v_and_b32_e32 v25, 0xffff0000, v25
	s_waitcnt vmcnt(5)
	v_fmac_f32_e32 v11, v13, v26
	v_fmac_f32_e32 v11, v14, v25
	s_waitcnt vmcnt(4)
	v_fmac_f32_e32 v10, v17, v26
	s_waitcnt vmcnt(3)
	;; [unrolled: 2-line block ×5, first 2 shown]
	v_fmac_f32_e32 v6, v23, v26
	v_fmac_f32_e32 v10, v18, v25
	;; [unrolled: 1-line block ×6, first 2 shown]
	s_andn2_b32 exec_lo, exec_lo, s11
	s_cbranch_execnz .LBB331_10
; %bb.11:
	s_or_b32 exec_lo, exec_lo, s11
.LBB331_12:
	s_or_b32 exec_lo, exec_lo, s13
	v_mbcnt_lo_u32_b32 v2, -1, 0
	v_xor_b32_e32 v1, 16, v2
	v_xor_b32_e32 v3, 8, v2
	v_cmp_gt_i32_e64 s0, 32, v1
	v_cndmask_b32_e64 v1, v2, v1, s0
	v_cmp_gt_i32_e64 s0, 32, v3
	v_lshlrev_b32_e32 v1, 2, v1
	v_cndmask_b32_e64 v3, v2, v3, s0
	ds_bpermute_b32 v4, v1, v11
	v_lshlrev_b32_e32 v3, 2, v3
	s_waitcnt lgkmcnt(0)
	v_add_f32_e32 v11, v11, v4
	v_xor_b32_e32 v4, 4, v2
	ds_bpermute_b32 v12, v3, v11
	v_cmp_gt_i32_e64 s0, 32, v4
	v_cndmask_b32_e64 v4, v2, v4, s0
	v_lshlrev_b32_e32 v4, 2, v4
	s_waitcnt lgkmcnt(0)
	v_add_f32_e32 v12, v11, v12
	v_xor_b32_e32 v11, 2, v2
	ds_bpermute_b32 v13, v4, v12
	v_cmp_gt_i32_e64 s0, 32, v11
	v_cndmask_b32_e64 v11, v2, v11, s0
	;; [unrolled: 7-line block ×3, first 2 shown]
	v_lshlrev_b32_e32 v12, 2, v2
	s_waitcnt lgkmcnt(0)
	v_add_f32_e32 v2, v13, v14
	v_lshrrev_b32_e32 v13, 3, v0
	ds_bpermute_b32 v14, v12, v2
	v_and_b32_e32 v13, 0x7c, v13
	v_add_nc_u32_e32 v13, 0, v13
	s_waitcnt lgkmcnt(0)
	v_add_f32_e32 v2, v2, v14
	ds_write_b32 v13, v2
	s_waitcnt lgkmcnt(0)
	s_barrier
	buffer_gl0_inv
	s_and_saveexec_b32 s0, vcc_lo
	s_cbranch_execz .LBB331_14
; %bb.13:
	ds_read_b32 v2, v5
	s_waitcnt lgkmcnt(0)
	ds_bpermute_b32 v14, v1, v2
	s_waitcnt lgkmcnt(0)
	v_add_f32_e32 v2, v2, v14
	ds_bpermute_b32 v14, v3, v2
	s_waitcnt lgkmcnt(0)
	v_add_f32_e32 v2, v2, v14
	ds_bpermute_b32 v14, v4, v2
	s_waitcnt lgkmcnt(0)
	v_add_f32_e32 v2, v2, v14
	ds_bpermute_b32 v14, v11, v2
	s_waitcnt lgkmcnt(0)
	v_add_f32_e32 v2, v2, v14
	ds_bpermute_b32 v14, v12, v2
	s_waitcnt lgkmcnt(0)
	v_add_f32_e32 v2, v2, v14
.LBB331_14:
	s_or_b32 exec_lo, exec_lo, s0
	ds_bpermute_b32 v14, v1, v10
	s_waitcnt lgkmcnt(0)
	s_barrier
	buffer_gl0_inv
	v_add_f32_e32 v10, v10, v14
	ds_bpermute_b32 v14, v3, v10
	s_waitcnt lgkmcnt(0)
	v_add_f32_e32 v10, v10, v14
	ds_bpermute_b32 v14, v4, v10
	s_waitcnt lgkmcnt(0)
	v_add_f32_e32 v10, v10, v14
	ds_bpermute_b32 v14, v11, v10
	s_waitcnt lgkmcnt(0)
	v_add_f32_e32 v10, v10, v14
	ds_bpermute_b32 v14, v12, v10
	s_waitcnt lgkmcnt(0)
	v_add_f32_e32 v10, v10, v14
	ds_write_b32 v13, v10
	s_waitcnt lgkmcnt(0)
	s_barrier
	buffer_gl0_inv
	s_and_saveexec_b32 s0, vcc_lo
	s_cbranch_execz .LBB331_16
; %bb.15:
	ds_read_b32 v10, v5
	s_waitcnt lgkmcnt(0)
	ds_bpermute_b32 v14, v1, v10
	s_waitcnt lgkmcnt(0)
	v_add_f32_e32 v10, v10, v14
	ds_bpermute_b32 v14, v3, v10
	s_waitcnt lgkmcnt(0)
	v_add_f32_e32 v10, v10, v14
	ds_bpermute_b32 v14, v4, v10
	s_waitcnt lgkmcnt(0)
	v_add_f32_e32 v10, v10, v14
	ds_bpermute_b32 v14, v11, v10
	s_waitcnt lgkmcnt(0)
	v_add_f32_e32 v10, v10, v14
	ds_bpermute_b32 v14, v12, v10
	s_waitcnt lgkmcnt(0)
	v_add_f32_e32 v10, v10, v14
.LBB331_16:
	s_or_b32 exec_lo, exec_lo, s0
	ds_bpermute_b32 v14, v1, v9
	s_waitcnt lgkmcnt(0)
	s_barrier
	buffer_gl0_inv
	v_add_f32_e32 v9, v9, v14
	ds_bpermute_b32 v14, v3, v9
	s_waitcnt lgkmcnt(0)
	v_add_f32_e32 v9, v9, v14
	ds_bpermute_b32 v14, v4, v9
	s_waitcnt lgkmcnt(0)
	v_add_f32_e32 v9, v9, v14
	ds_bpermute_b32 v14, v11, v9
	s_waitcnt lgkmcnt(0)
	v_add_f32_e32 v9, v9, v14
	ds_bpermute_b32 v14, v12, v9
	;; [unrolled: 43-line block ×5, first 2 shown]
	s_waitcnt lgkmcnt(0)
	v_add_f32_e32 v6, v6, v14
	ds_write_b32 v13, v6
	s_waitcnt lgkmcnt(0)
	s_barrier
	buffer_gl0_inv
	s_and_saveexec_b32 s0, vcc_lo
	s_cbranch_execz .LBB331_24
; %bb.23:
	ds_read_b32 v5, v5
	s_waitcnt lgkmcnt(0)
	ds_bpermute_b32 v1, v1, v5
	s_waitcnt lgkmcnt(0)
	v_add_f32_e32 v1, v5, v1
	ds_bpermute_b32 v3, v3, v1
	s_waitcnt lgkmcnt(0)
	v_add_f32_e32 v1, v1, v3
	;; [unrolled: 3-line block ×5, first 2 shown]
.LBB331_24:
	s_or_b32 exec_lo, exec_lo, s0
	s_barrier
	buffer_gl0_inv
	s_mov_b32 s0, exec_lo
	v_cmpx_gt_u32_e32 6, v0
	s_cbranch_execz .LBB331_26
; %bb.25:
	s_load_dwordx2 s[0:1], s[4:5], 0x38
	v_cmp_eq_u32_e32 vcc_lo, 1, v0
	s_mul_hi_i32 s3, s22, s10
	s_mul_i32 s2, s22, s10
	s_mul_i32 s4, s26, s7
	s_lshl_b64 s[2:3], s[2:3], 2
	v_cndmask_b32_e32 v3, v2, v10, vcc_lo
	v_cmp_eq_u32_e32 vcc_lo, 2, v0
	v_mad_u64_u32 v[1:2], null, s18, v0, s[6:7]
	s_ashr_i32 s5, s4, 31
	v_cndmask_b32_e32 v3, v3, v9, vcc_lo
	v_cmp_eq_u32_e32 vcc_lo, 3, v0
	v_ashrrev_i32_e32 v2, 31, v1
	v_cndmask_b32_e32 v3, v3, v8, vcc_lo
	v_cmp_eq_u32_e32 vcc_lo, 4, v0
	s_waitcnt lgkmcnt(0)
	s_add_u32 s2, s0, s2
	v_lshlrev_b64 v[1:2], 2, v[1:2]
	s_addc_u32 s3, s1, s3
	s_lshl_b64 s[0:1], s[4:5], 2
	v_cndmask_b32_e32 v3, v3, v7, vcc_lo
	v_cmp_eq_u32_e32 vcc_lo, 5, v0
	s_add_u32 s0, s2, s0
	s_addc_u32 s1, s3, s1
	v_cndmask_b32_e32 v3, v3, v6, vcc_lo
	v_add_co_u32 v0, vcc_lo, s0, v1
	v_add_co_ci_u32_e64 v1, null, s1, v2, vcc_lo
	global_store_dword v[0:1], v3, off
.LBB331_26:
	s_endpgm
	.section	.rodata,"a",@progbits
	.p2align	6, 0x0
	.amdhsa_kernel _ZL13mul_mat_vec_fI14__hip_bfloat16fLi6ELi128ELb0ELb0EEvPKT_PKfPKi31ggml_cuda_mm_fusion_args_devicePfi15HIP_vector_typeIjLj3EEiiiSB_iiiSB_iiii
		.amdhsa_group_segment_fixed_size 0
		.amdhsa_private_segment_fixed_size 0
		.amdhsa_kernarg_size 144
		.amdhsa_user_sgpr_count 6
		.amdhsa_user_sgpr_private_segment_buffer 1
		.amdhsa_user_sgpr_dispatch_ptr 0
		.amdhsa_user_sgpr_queue_ptr 0
		.amdhsa_user_sgpr_kernarg_segment_ptr 1
		.amdhsa_user_sgpr_dispatch_id 0
		.amdhsa_user_sgpr_flat_scratch_init 0
		.amdhsa_user_sgpr_private_segment_size 0
		.amdhsa_wavefront_size32 1
		.amdhsa_uses_dynamic_stack 0
		.amdhsa_system_sgpr_private_segment_wavefront_offset 0
		.amdhsa_system_sgpr_workgroup_id_x 1
		.amdhsa_system_sgpr_workgroup_id_y 1
		.amdhsa_system_sgpr_workgroup_id_z 1
		.amdhsa_system_sgpr_workgroup_info 0
		.amdhsa_system_vgpr_workitem_id 0
		.amdhsa_next_free_vgpr 27
		.amdhsa_next_free_sgpr 36
		.amdhsa_reserve_vcc 1
		.amdhsa_reserve_flat_scratch 0
		.amdhsa_float_round_mode_32 0
		.amdhsa_float_round_mode_16_64 0
		.amdhsa_float_denorm_mode_32 3
		.amdhsa_float_denorm_mode_16_64 3
		.amdhsa_dx10_clamp 1
		.amdhsa_ieee_mode 1
		.amdhsa_fp16_overflow 0
		.amdhsa_workgroup_processor_mode 1
		.amdhsa_memory_ordered 1
		.amdhsa_forward_progress 1
		.amdhsa_shared_vgpr_count 0
		.amdhsa_exception_fp_ieee_invalid_op 0
		.amdhsa_exception_fp_denorm_src 0
		.amdhsa_exception_fp_ieee_div_zero 0
		.amdhsa_exception_fp_ieee_overflow 0
		.amdhsa_exception_fp_ieee_underflow 0
		.amdhsa_exception_fp_ieee_inexact 0
		.amdhsa_exception_int_div_zero 0
	.end_amdhsa_kernel
	.section	.text._ZL13mul_mat_vec_fI14__hip_bfloat16fLi6ELi128ELb0ELb0EEvPKT_PKfPKi31ggml_cuda_mm_fusion_args_devicePfi15HIP_vector_typeIjLj3EEiiiSB_iiiSB_iiii,"axG",@progbits,_ZL13mul_mat_vec_fI14__hip_bfloat16fLi6ELi128ELb0ELb0EEvPKT_PKfPKi31ggml_cuda_mm_fusion_args_devicePfi15HIP_vector_typeIjLj3EEiiiSB_iiiSB_iiii,comdat
.Lfunc_end331:
	.size	_ZL13mul_mat_vec_fI14__hip_bfloat16fLi6ELi128ELb0ELb0EEvPKT_PKfPKi31ggml_cuda_mm_fusion_args_devicePfi15HIP_vector_typeIjLj3EEiiiSB_iiiSB_iiii, .Lfunc_end331-_ZL13mul_mat_vec_fI14__hip_bfloat16fLi6ELi128ELb0ELb0EEvPKT_PKfPKi31ggml_cuda_mm_fusion_args_devicePfi15HIP_vector_typeIjLj3EEiiiSB_iiiSB_iiii
                                        ; -- End function
	.set _ZL13mul_mat_vec_fI14__hip_bfloat16fLi6ELi128ELb0ELb0EEvPKT_PKfPKi31ggml_cuda_mm_fusion_args_devicePfi15HIP_vector_typeIjLj3EEiiiSB_iiiSB_iiii.num_vgpr, 27
	.set _ZL13mul_mat_vec_fI14__hip_bfloat16fLi6ELi128ELb0ELb0EEvPKT_PKfPKi31ggml_cuda_mm_fusion_args_devicePfi15HIP_vector_typeIjLj3EEiiiSB_iiiSB_iiii.num_agpr, 0
	.set _ZL13mul_mat_vec_fI14__hip_bfloat16fLi6ELi128ELb0ELb0EEvPKT_PKfPKi31ggml_cuda_mm_fusion_args_devicePfi15HIP_vector_typeIjLj3EEiiiSB_iiiSB_iiii.numbered_sgpr, 36
	.set _ZL13mul_mat_vec_fI14__hip_bfloat16fLi6ELi128ELb0ELb0EEvPKT_PKfPKi31ggml_cuda_mm_fusion_args_devicePfi15HIP_vector_typeIjLj3EEiiiSB_iiiSB_iiii.num_named_barrier, 0
	.set _ZL13mul_mat_vec_fI14__hip_bfloat16fLi6ELi128ELb0ELb0EEvPKT_PKfPKi31ggml_cuda_mm_fusion_args_devicePfi15HIP_vector_typeIjLj3EEiiiSB_iiiSB_iiii.private_seg_size, 0
	.set _ZL13mul_mat_vec_fI14__hip_bfloat16fLi6ELi128ELb0ELb0EEvPKT_PKfPKi31ggml_cuda_mm_fusion_args_devicePfi15HIP_vector_typeIjLj3EEiiiSB_iiiSB_iiii.uses_vcc, 1
	.set _ZL13mul_mat_vec_fI14__hip_bfloat16fLi6ELi128ELb0ELb0EEvPKT_PKfPKi31ggml_cuda_mm_fusion_args_devicePfi15HIP_vector_typeIjLj3EEiiiSB_iiiSB_iiii.uses_flat_scratch, 0
	.set _ZL13mul_mat_vec_fI14__hip_bfloat16fLi6ELi128ELb0ELb0EEvPKT_PKfPKi31ggml_cuda_mm_fusion_args_devicePfi15HIP_vector_typeIjLj3EEiiiSB_iiiSB_iiii.has_dyn_sized_stack, 0
	.set _ZL13mul_mat_vec_fI14__hip_bfloat16fLi6ELi128ELb0ELb0EEvPKT_PKfPKi31ggml_cuda_mm_fusion_args_devicePfi15HIP_vector_typeIjLj3EEiiiSB_iiiSB_iiii.has_recursion, 0
	.set _ZL13mul_mat_vec_fI14__hip_bfloat16fLi6ELi128ELb0ELb0EEvPKT_PKfPKi31ggml_cuda_mm_fusion_args_devicePfi15HIP_vector_typeIjLj3EEiiiSB_iiiSB_iiii.has_indirect_call, 0
	.section	.AMDGPU.csdata,"",@progbits
; Kernel info:
; codeLenInByte = 2504
; TotalNumSgprs: 38
; NumVgprs: 27
; ScratchSize: 0
; MemoryBound: 0
; FloatMode: 240
; IeeeMode: 1
; LDSByteSize: 0 bytes/workgroup (compile time only)
; SGPRBlocks: 0
; VGPRBlocks: 3
; NumSGPRsForWavesPerEU: 38
; NumVGPRsForWavesPerEU: 27
; Occupancy: 16
; WaveLimiterHint : 0
; COMPUTE_PGM_RSRC2:SCRATCH_EN: 0
; COMPUTE_PGM_RSRC2:USER_SGPR: 6
; COMPUTE_PGM_RSRC2:TRAP_HANDLER: 0
; COMPUTE_PGM_RSRC2:TGID_X_EN: 1
; COMPUTE_PGM_RSRC2:TGID_Y_EN: 1
; COMPUTE_PGM_RSRC2:TGID_Z_EN: 1
; COMPUTE_PGM_RSRC2:TIDIG_COMP_CNT: 0
	.section	.text._ZL13mul_mat_vec_fI14__hip_bfloat16fLi6ELi160ELb0ELb0EEvPKT_PKfPKi31ggml_cuda_mm_fusion_args_devicePfi15HIP_vector_typeIjLj3EEiiiSB_iiiSB_iiii,"axG",@progbits,_ZL13mul_mat_vec_fI14__hip_bfloat16fLi6ELi160ELb0ELb0EEvPKT_PKfPKi31ggml_cuda_mm_fusion_args_devicePfi15HIP_vector_typeIjLj3EEiiiSB_iiiSB_iiii,comdat
	.globl	_ZL13mul_mat_vec_fI14__hip_bfloat16fLi6ELi160ELb0ELb0EEvPKT_PKfPKi31ggml_cuda_mm_fusion_args_devicePfi15HIP_vector_typeIjLj3EEiiiSB_iiiSB_iiii ; -- Begin function _ZL13mul_mat_vec_fI14__hip_bfloat16fLi6ELi160ELb0ELb0EEvPKT_PKfPKi31ggml_cuda_mm_fusion_args_devicePfi15HIP_vector_typeIjLj3EEiiiSB_iiiSB_iiii
	.p2align	8
	.type	_ZL13mul_mat_vec_fI14__hip_bfloat16fLi6ELi160ELb0ELb0EEvPKT_PKfPKi31ggml_cuda_mm_fusion_args_devicePfi15HIP_vector_typeIjLj3EEiiiSB_iiiSB_iiii,@function
_ZL13mul_mat_vec_fI14__hip_bfloat16fLi6ELi160ELb0ELb0EEvPKT_PKfPKi31ggml_cuda_mm_fusion_args_devicePfi15HIP_vector_typeIjLj3EEiiiSB_iiiSB_iiii: ; @_ZL13mul_mat_vec_fI14__hip_bfloat16fLi6ELi160ELb0ELb0EEvPKT_PKfPKi31ggml_cuda_mm_fusion_args_devicePfi15HIP_vector_typeIjLj3EEiiiSB_iiiSB_iiii
; %bb.0:
	s_clause 0x2
	s_load_dwordx2 s[0:1], s[4:5], 0x10
	s_load_dwordx8 s[12:19], s[4:5], 0x40
	s_load_dwordx4 s[20:23], s[4:5], 0x80
	s_waitcnt lgkmcnt(0)
	s_cmp_eq_u64 s[0:1], 0
	s_cselect_b32 s10, -1, 0
	s_cmp_lg_u64 s[0:1], 0
	s_cselect_b32 s11, -1, 0
	s_and_b32 vcc_lo, exec_lo, s10
	s_cbranch_vccnz .LBB332_2
; %bb.1:
	s_mul_i32 s2, s23, s8
	s_mov_b32 s3, 0
	s_add_i32 s2, s2, s7
	s_lshl_b64 s[24:25], s[2:3], 2
	s_add_u32 s0, s0, s24
	s_addc_u32 s1, s1, s25
	s_load_dword s9, s[0:1], 0x0
	s_cbranch_execz .LBB332_3
	s_branch .LBB332_4
.LBB332_2:
                                        ; implicit-def: $sgpr9
.LBB332_3:
	s_load_dwordx2 s[0:1], s[4:5], 0x5c
	s_waitcnt lgkmcnt(0)
	s_mul_hi_u32 s0, s0, s7
	s_add_i32 s0, s7, s0
	s_lshr_b32 s9, s0, s1
.LBB332_4:
	s_load_dwordx4 s[24:27], s[4:5], 0x68
	s_andn2_b32 vcc_lo, exec_lo, s11
	s_mov_b32 s19, s7
	s_cbranch_vccnz .LBB332_6
; %bb.5:
	s_mul_hi_u32 s0, s13, s7
	s_add_i32 s0, s7, s0
	s_lshr_b32 s0, s0, s14
	s_mul_i32 s0, s0, s15
	s_sub_i32 s19, s7, s0
.LBB332_6:
	s_load_dword s14, s[4:5], 0x78
	v_cmp_gt_u32_e32 vcc_lo, 32, v0
	v_lshl_add_u32 v5, v0, 2, 0
	s_and_saveexec_b32 s0, vcc_lo
; %bb.7:
	v_mov_b32_e32 v1, 0
	ds_write_b32 v5, v1
; %bb.8:
	s_or_b32 exec_lo, exec_lo, s0
	v_mov_b32_e32 v6, 0
	v_mov_b32_e32 v7, 0
	;; [unrolled: 1-line block ×6, first 2 shown]
	s_and_b32 s0, exec_lo, s10
	s_mov_b32 s11, 0
	s_cselect_b32 s10, s8, 0
	s_mov_b32 s13, exec_lo
	s_waitcnt lgkmcnt(0)
	s_barrier
	buffer_gl0_inv
	v_cmpx_gt_i32_e64 s12, v0
	s_cbranch_execz .LBB332_12
; %bb.9:
	s_load_dwordx4 s[0:3], s[4:5], 0x0
	s_mul_hi_u32 s15, s27, s10
	s_mul_hi_i32 s29, s21, s10
	s_mul_i32 s28, s21, s10
	s_mul_i32 s8, s9, s24
	;; [unrolled: 1-line block ×4, first 2 shown]
	s_add_i32 s15, s10, s15
	s_lshl_b64 s[28:29], s[28:29], 2
	s_ashr_i32 s9, s8, 31
	s_ashr_i32 s25, s24, 31
	;; [unrolled: 1-line block ×3, first 2 shown]
	s_lshr_b32 s14, s15, s14
	s_mov_b32 s34, s17
	s_mul_hi_i32 s21, s14, s20
	s_mul_i32 s20, s14, s20
	v_lshlrev_b32_e32 v2, 3, v0
	v_lshlrev_b32_e32 v1, 2, v0
	v_mov_b32_e32 v11, 0
	v_mov_b32_e32 v12, v0
	s_waitcnt lgkmcnt(0)
	s_add_u32 s15, s2, s28
	s_addc_u32 s16, s3, s29
	s_lshl_b64 s[30:31], s[30:31], 2
	v_mov_b32_e32 v10, 0
	s_add_u32 s14, s15, s30
	s_addc_u32 s15, s16, s31
	s_lshl_b64 s[8:9], s[8:9], 1
	s_ashr_i32 s35, s17, 31
	s_add_i32 s16, s17, s17
	s_lshl_b32 s19, s17, 2
	s_lshl_b64 s[20:21], s[20:21], 1
	s_lshl_b64 s[24:25], s[24:25], 1
	s_add_u32 s0, s0, s8
	s_addc_u32 s1, s1, s9
	s_add_u32 s0, s0, s24
	s_addc_u32 s1, s1, s25
	;; [unrolled: 2-line block ×3, first 2 shown]
	s_lshl_b64 s[8:9], s[34:35], 3
	s_add_u32 s2, s2, s30
	s_addc_u32 s3, s3, s31
	s_add_u32 s2, s2, s28
	s_addc_u32 s3, s3, s29
	v_add_co_u32 v3, s2, s2, v2
	v_add_co_ci_u32_e64 v4, null, s3, 0, s2
	v_add_co_u32 v1, s0, s0, v1
	v_add_co_ci_u32_e64 v2, null, s1, 0, s0
	;; [unrolled: 2-line block ×3, first 2 shown]
	v_mov_b32_e32 v9, 0
	v_mov_b32_e32 v8, 0
	;; [unrolled: 1-line block ×4, first 2 shown]
	s_mul_i32 s1, s17, 3
	s_mul_i32 s2, s17, 5
.LBB332_10:                             ; =>This Inner Loop Header: Depth=1
	v_add_nc_u32_e32 v15, s16, v12
	v_add_nc_u32_e32 v19, s1, v12
	;; [unrolled: 1-line block ×4, first 2 shown]
	v_add_co_u32 v17, s0, v3, s8
	v_ashrrev_i32_e32 v16, 31, v15
	v_ashrrev_i32_e32 v20, 31, v19
	;; [unrolled: 1-line block ×4, first 2 shown]
	v_add_co_ci_u32_e64 v18, null, s9, v4, s0
	v_lshlrev_b64 v[15:16], 3, v[15:16]
	v_lshlrev_b64 v[19:20], 3, v[19:20]
	v_lshlrev_b64 v[21:22], 3, v[21:22]
	v_lshlrev_b64 v[23:24], 3, v[23:24]
	global_load_dword v25, v[1:2], off
	global_load_dwordx2 v[13:14], v[3:4], off offset:-4
	v_add_nc_u32_e32 v12, 0xa0, v12
	v_add_co_u32 v15, s0, s14, v15
	v_add_co_ci_u32_e64 v16, null, s15, v16, s0
	v_add_co_u32 v19, s0, s14, v19
	v_add_co_ci_u32_e64 v20, null, s15, v20, s0
	;; [unrolled: 2-line block ×4, first 2 shown]
	global_load_dwordx2 v[17:18], v[17:18], off offset:-4
	s_clause 0x3
	global_load_dwordx2 v[15:16], v[15:16], off
	global_load_dwordx2 v[19:20], v[19:20], off
	;; [unrolled: 1-line block ×4, first 2 shown]
	v_add_co_u32 v1, s0, 0x280, v1
	v_add_co_ci_u32_e64 v2, null, 0, v2, s0
	v_add_co_u32 v3, s0, 0x500, v3
	v_add_co_ci_u32_e64 v4, null, 0, v4, s0
	v_cmp_le_i32_e64 s0, s12, v12
	s_or_b32 s11, s0, s11
	s_waitcnt vmcnt(6)
	v_lshlrev_b32_e32 v26, 16, v25
	v_and_b32_e32 v25, 0xffff0000, v25
	s_waitcnt vmcnt(5)
	v_fmac_f32_e32 v11, v13, v26
	v_fmac_f32_e32 v11, v14, v25
	s_waitcnt vmcnt(4)
	v_fmac_f32_e32 v10, v17, v26
	s_waitcnt vmcnt(3)
	;; [unrolled: 2-line block ×5, first 2 shown]
	v_fmac_f32_e32 v6, v23, v26
	v_fmac_f32_e32 v10, v18, v25
	v_fmac_f32_e32 v9, v16, v25
	v_fmac_f32_e32 v8, v20, v25
	v_fmac_f32_e32 v7, v22, v25
	v_fmac_f32_e32 v6, v24, v25
	s_andn2_b32 exec_lo, exec_lo, s11
	s_cbranch_execnz .LBB332_10
; %bb.11:
	s_or_b32 exec_lo, exec_lo, s11
.LBB332_12:
	s_or_b32 exec_lo, exec_lo, s13
	v_mbcnt_lo_u32_b32 v2, -1, 0
	v_xor_b32_e32 v1, 16, v2
	v_xor_b32_e32 v3, 8, v2
	v_cmp_gt_i32_e64 s0, 32, v1
	v_cndmask_b32_e64 v1, v2, v1, s0
	v_cmp_gt_i32_e64 s0, 32, v3
	v_lshlrev_b32_e32 v1, 2, v1
	v_cndmask_b32_e64 v3, v2, v3, s0
	ds_bpermute_b32 v4, v1, v11
	v_lshlrev_b32_e32 v3, 2, v3
	s_waitcnt lgkmcnt(0)
	v_add_f32_e32 v11, v11, v4
	v_xor_b32_e32 v4, 4, v2
	ds_bpermute_b32 v12, v3, v11
	v_cmp_gt_i32_e64 s0, 32, v4
	v_cndmask_b32_e64 v4, v2, v4, s0
	v_lshlrev_b32_e32 v4, 2, v4
	s_waitcnt lgkmcnt(0)
	v_add_f32_e32 v12, v11, v12
	v_xor_b32_e32 v11, 2, v2
	ds_bpermute_b32 v13, v4, v12
	v_cmp_gt_i32_e64 s0, 32, v11
	v_cndmask_b32_e64 v11, v2, v11, s0
	;; [unrolled: 7-line block ×3, first 2 shown]
	v_lshlrev_b32_e32 v12, 2, v2
	s_waitcnt lgkmcnt(0)
	v_add_f32_e32 v2, v13, v14
	v_lshrrev_b32_e32 v13, 3, v0
	ds_bpermute_b32 v14, v12, v2
	v_and_b32_e32 v13, 0x7c, v13
	v_add_nc_u32_e32 v13, 0, v13
	s_waitcnt lgkmcnt(0)
	v_add_f32_e32 v2, v2, v14
	ds_write_b32 v13, v2
	s_waitcnt lgkmcnt(0)
	s_barrier
	buffer_gl0_inv
	s_and_saveexec_b32 s0, vcc_lo
	s_cbranch_execz .LBB332_14
; %bb.13:
	ds_read_b32 v2, v5
	s_waitcnt lgkmcnt(0)
	ds_bpermute_b32 v14, v1, v2
	s_waitcnt lgkmcnt(0)
	v_add_f32_e32 v2, v2, v14
	ds_bpermute_b32 v14, v3, v2
	s_waitcnt lgkmcnt(0)
	v_add_f32_e32 v2, v2, v14
	ds_bpermute_b32 v14, v4, v2
	s_waitcnt lgkmcnt(0)
	v_add_f32_e32 v2, v2, v14
	ds_bpermute_b32 v14, v11, v2
	s_waitcnt lgkmcnt(0)
	v_add_f32_e32 v2, v2, v14
	ds_bpermute_b32 v14, v12, v2
	s_waitcnt lgkmcnt(0)
	v_add_f32_e32 v2, v2, v14
.LBB332_14:
	s_or_b32 exec_lo, exec_lo, s0
	ds_bpermute_b32 v14, v1, v10
	s_waitcnt lgkmcnt(0)
	s_barrier
	buffer_gl0_inv
	v_add_f32_e32 v10, v10, v14
	ds_bpermute_b32 v14, v3, v10
	s_waitcnt lgkmcnt(0)
	v_add_f32_e32 v10, v10, v14
	ds_bpermute_b32 v14, v4, v10
	s_waitcnt lgkmcnt(0)
	v_add_f32_e32 v10, v10, v14
	ds_bpermute_b32 v14, v11, v10
	s_waitcnt lgkmcnt(0)
	v_add_f32_e32 v10, v10, v14
	ds_bpermute_b32 v14, v12, v10
	s_waitcnt lgkmcnt(0)
	v_add_f32_e32 v10, v10, v14
	ds_write_b32 v13, v10
	s_waitcnt lgkmcnt(0)
	s_barrier
	buffer_gl0_inv
	s_and_saveexec_b32 s0, vcc_lo
	s_cbranch_execz .LBB332_16
; %bb.15:
	ds_read_b32 v10, v5
	s_waitcnt lgkmcnt(0)
	ds_bpermute_b32 v14, v1, v10
	s_waitcnt lgkmcnt(0)
	v_add_f32_e32 v10, v10, v14
	ds_bpermute_b32 v14, v3, v10
	s_waitcnt lgkmcnt(0)
	v_add_f32_e32 v10, v10, v14
	ds_bpermute_b32 v14, v4, v10
	s_waitcnt lgkmcnt(0)
	v_add_f32_e32 v10, v10, v14
	ds_bpermute_b32 v14, v11, v10
	s_waitcnt lgkmcnt(0)
	v_add_f32_e32 v10, v10, v14
	ds_bpermute_b32 v14, v12, v10
	s_waitcnt lgkmcnt(0)
	v_add_f32_e32 v10, v10, v14
.LBB332_16:
	s_or_b32 exec_lo, exec_lo, s0
	ds_bpermute_b32 v14, v1, v9
	s_waitcnt lgkmcnt(0)
	s_barrier
	buffer_gl0_inv
	v_add_f32_e32 v9, v9, v14
	ds_bpermute_b32 v14, v3, v9
	s_waitcnt lgkmcnt(0)
	v_add_f32_e32 v9, v9, v14
	ds_bpermute_b32 v14, v4, v9
	s_waitcnt lgkmcnt(0)
	v_add_f32_e32 v9, v9, v14
	ds_bpermute_b32 v14, v11, v9
	s_waitcnt lgkmcnt(0)
	v_add_f32_e32 v9, v9, v14
	ds_bpermute_b32 v14, v12, v9
	s_waitcnt lgkmcnt(0)
	v_add_f32_e32 v9, v9, v14
	ds_write_b32 v13, v9
	s_waitcnt lgkmcnt(0)
	s_barrier
	buffer_gl0_inv
	s_and_saveexec_b32 s0, vcc_lo
	s_cbranch_execz .LBB332_18
; %bb.17:
	ds_read_b32 v9, v5
	s_waitcnt lgkmcnt(0)
	ds_bpermute_b32 v14, v1, v9
	s_waitcnt lgkmcnt(0)
	v_add_f32_e32 v9, v9, v14
	ds_bpermute_b32 v14, v3, v9
	s_waitcnt lgkmcnt(0)
	v_add_f32_e32 v9, v9, v14
	ds_bpermute_b32 v14, v4, v9
	s_waitcnt lgkmcnt(0)
	v_add_f32_e32 v9, v9, v14
	ds_bpermute_b32 v14, v11, v9
	s_waitcnt lgkmcnt(0)
	v_add_f32_e32 v9, v9, v14
	ds_bpermute_b32 v14, v12, v9
	s_waitcnt lgkmcnt(0)
	v_add_f32_e32 v9, v9, v14
.LBB332_18:
	s_or_b32 exec_lo, exec_lo, s0
	ds_bpermute_b32 v14, v1, v8
	s_waitcnt lgkmcnt(0)
	s_barrier
	buffer_gl0_inv
	v_add_f32_e32 v8, v8, v14
	ds_bpermute_b32 v14, v3, v8
	s_waitcnt lgkmcnt(0)
	v_add_f32_e32 v8, v8, v14
	ds_bpermute_b32 v14, v4, v8
	s_waitcnt lgkmcnt(0)
	v_add_f32_e32 v8, v8, v14
	ds_bpermute_b32 v14, v11, v8
	s_waitcnt lgkmcnt(0)
	v_add_f32_e32 v8, v8, v14
	ds_bpermute_b32 v14, v12, v8
	s_waitcnt lgkmcnt(0)
	v_add_f32_e32 v8, v8, v14
	ds_write_b32 v13, v8
	s_waitcnt lgkmcnt(0)
	s_barrier
	buffer_gl0_inv
	s_and_saveexec_b32 s0, vcc_lo
	s_cbranch_execz .LBB332_20
; %bb.19:
	ds_read_b32 v8, v5
	s_waitcnt lgkmcnt(0)
	ds_bpermute_b32 v14, v1, v8
	s_waitcnt lgkmcnt(0)
	v_add_f32_e32 v8, v8, v14
	ds_bpermute_b32 v14, v3, v8
	s_waitcnt lgkmcnt(0)
	v_add_f32_e32 v8, v8, v14
	ds_bpermute_b32 v14, v4, v8
	s_waitcnt lgkmcnt(0)
	v_add_f32_e32 v8, v8, v14
	ds_bpermute_b32 v14, v11, v8
	s_waitcnt lgkmcnt(0)
	v_add_f32_e32 v8, v8, v14
	ds_bpermute_b32 v14, v12, v8
	s_waitcnt lgkmcnt(0)
	v_add_f32_e32 v8, v8, v14
.LBB332_20:
	s_or_b32 exec_lo, exec_lo, s0
	ds_bpermute_b32 v14, v1, v7
	s_waitcnt lgkmcnt(0)
	s_barrier
	buffer_gl0_inv
	v_add_f32_e32 v7, v7, v14
	ds_bpermute_b32 v14, v3, v7
	s_waitcnt lgkmcnt(0)
	v_add_f32_e32 v7, v7, v14
	ds_bpermute_b32 v14, v4, v7
	s_waitcnt lgkmcnt(0)
	v_add_f32_e32 v7, v7, v14
	ds_bpermute_b32 v14, v11, v7
	s_waitcnt lgkmcnt(0)
	v_add_f32_e32 v7, v7, v14
	ds_bpermute_b32 v14, v12, v7
	s_waitcnt lgkmcnt(0)
	v_add_f32_e32 v7, v7, v14
	ds_write_b32 v13, v7
	s_waitcnt lgkmcnt(0)
	s_barrier
	buffer_gl0_inv
	s_and_saveexec_b32 s0, vcc_lo
	s_cbranch_execz .LBB332_22
; %bb.21:
	ds_read_b32 v7, v5
	s_waitcnt lgkmcnt(0)
	ds_bpermute_b32 v14, v1, v7
	s_waitcnt lgkmcnt(0)
	v_add_f32_e32 v7, v7, v14
	ds_bpermute_b32 v14, v3, v7
	s_waitcnt lgkmcnt(0)
	v_add_f32_e32 v7, v7, v14
	ds_bpermute_b32 v14, v4, v7
	s_waitcnt lgkmcnt(0)
	v_add_f32_e32 v7, v7, v14
	ds_bpermute_b32 v14, v11, v7
	s_waitcnt lgkmcnt(0)
	v_add_f32_e32 v7, v7, v14
	ds_bpermute_b32 v14, v12, v7
	s_waitcnt lgkmcnt(0)
	v_add_f32_e32 v7, v7, v14
.LBB332_22:
	s_or_b32 exec_lo, exec_lo, s0
	ds_bpermute_b32 v14, v1, v6
	s_waitcnt lgkmcnt(0)
	s_barrier
	buffer_gl0_inv
	v_add_f32_e32 v6, v6, v14
	ds_bpermute_b32 v14, v3, v6
	s_waitcnt lgkmcnt(0)
	v_add_f32_e32 v6, v6, v14
	ds_bpermute_b32 v14, v4, v6
	s_waitcnt lgkmcnt(0)
	v_add_f32_e32 v6, v6, v14
	ds_bpermute_b32 v14, v11, v6
	s_waitcnt lgkmcnt(0)
	v_add_f32_e32 v6, v6, v14
	ds_bpermute_b32 v14, v12, v6
	s_waitcnt lgkmcnt(0)
	v_add_f32_e32 v6, v6, v14
	ds_write_b32 v13, v6
	s_waitcnt lgkmcnt(0)
	s_barrier
	buffer_gl0_inv
	s_and_saveexec_b32 s0, vcc_lo
	s_cbranch_execz .LBB332_24
; %bb.23:
	ds_read_b32 v5, v5
	s_waitcnt lgkmcnt(0)
	ds_bpermute_b32 v1, v1, v5
	s_waitcnt lgkmcnt(0)
	v_add_f32_e32 v1, v5, v1
	ds_bpermute_b32 v3, v3, v1
	s_waitcnt lgkmcnt(0)
	v_add_f32_e32 v1, v1, v3
	;; [unrolled: 3-line block ×5, first 2 shown]
.LBB332_24:
	s_or_b32 exec_lo, exec_lo, s0
	s_barrier
	buffer_gl0_inv
	s_mov_b32 s0, exec_lo
	v_cmpx_gt_u32_e32 6, v0
	s_cbranch_execz .LBB332_26
; %bb.25:
	s_load_dwordx2 s[0:1], s[4:5], 0x38
	v_cmp_eq_u32_e32 vcc_lo, 1, v0
	s_mul_hi_i32 s3, s22, s10
	s_mul_i32 s2, s22, s10
	s_mul_i32 s4, s26, s7
	s_lshl_b64 s[2:3], s[2:3], 2
	v_cndmask_b32_e32 v3, v2, v10, vcc_lo
	v_cmp_eq_u32_e32 vcc_lo, 2, v0
	v_mad_u64_u32 v[1:2], null, s18, v0, s[6:7]
	s_ashr_i32 s5, s4, 31
	v_cndmask_b32_e32 v3, v3, v9, vcc_lo
	v_cmp_eq_u32_e32 vcc_lo, 3, v0
	v_ashrrev_i32_e32 v2, 31, v1
	v_cndmask_b32_e32 v3, v3, v8, vcc_lo
	v_cmp_eq_u32_e32 vcc_lo, 4, v0
	s_waitcnt lgkmcnt(0)
	s_add_u32 s2, s0, s2
	v_lshlrev_b64 v[1:2], 2, v[1:2]
	s_addc_u32 s3, s1, s3
	s_lshl_b64 s[0:1], s[4:5], 2
	v_cndmask_b32_e32 v3, v3, v7, vcc_lo
	v_cmp_eq_u32_e32 vcc_lo, 5, v0
	s_add_u32 s0, s2, s0
	s_addc_u32 s1, s3, s1
	v_cndmask_b32_e32 v3, v3, v6, vcc_lo
	v_add_co_u32 v0, vcc_lo, s0, v1
	v_add_co_ci_u32_e64 v1, null, s1, v2, vcc_lo
	global_store_dword v[0:1], v3, off
.LBB332_26:
	s_endpgm
	.section	.rodata,"a",@progbits
	.p2align	6, 0x0
	.amdhsa_kernel _ZL13mul_mat_vec_fI14__hip_bfloat16fLi6ELi160ELb0ELb0EEvPKT_PKfPKi31ggml_cuda_mm_fusion_args_devicePfi15HIP_vector_typeIjLj3EEiiiSB_iiiSB_iiii
		.amdhsa_group_segment_fixed_size 0
		.amdhsa_private_segment_fixed_size 0
		.amdhsa_kernarg_size 144
		.amdhsa_user_sgpr_count 6
		.amdhsa_user_sgpr_private_segment_buffer 1
		.amdhsa_user_sgpr_dispatch_ptr 0
		.amdhsa_user_sgpr_queue_ptr 0
		.amdhsa_user_sgpr_kernarg_segment_ptr 1
		.amdhsa_user_sgpr_dispatch_id 0
		.amdhsa_user_sgpr_flat_scratch_init 0
		.amdhsa_user_sgpr_private_segment_size 0
		.amdhsa_wavefront_size32 1
		.amdhsa_uses_dynamic_stack 0
		.amdhsa_system_sgpr_private_segment_wavefront_offset 0
		.amdhsa_system_sgpr_workgroup_id_x 1
		.amdhsa_system_sgpr_workgroup_id_y 1
		.amdhsa_system_sgpr_workgroup_id_z 1
		.amdhsa_system_sgpr_workgroup_info 0
		.amdhsa_system_vgpr_workitem_id 0
		.amdhsa_next_free_vgpr 27
		.amdhsa_next_free_sgpr 36
		.amdhsa_reserve_vcc 1
		.amdhsa_reserve_flat_scratch 0
		.amdhsa_float_round_mode_32 0
		.amdhsa_float_round_mode_16_64 0
		.amdhsa_float_denorm_mode_32 3
		.amdhsa_float_denorm_mode_16_64 3
		.amdhsa_dx10_clamp 1
		.amdhsa_ieee_mode 1
		.amdhsa_fp16_overflow 0
		.amdhsa_workgroup_processor_mode 1
		.amdhsa_memory_ordered 1
		.amdhsa_forward_progress 1
		.amdhsa_shared_vgpr_count 0
		.amdhsa_exception_fp_ieee_invalid_op 0
		.amdhsa_exception_fp_denorm_src 0
		.amdhsa_exception_fp_ieee_div_zero 0
		.amdhsa_exception_fp_ieee_overflow 0
		.amdhsa_exception_fp_ieee_underflow 0
		.amdhsa_exception_fp_ieee_inexact 0
		.amdhsa_exception_int_div_zero 0
	.end_amdhsa_kernel
	.section	.text._ZL13mul_mat_vec_fI14__hip_bfloat16fLi6ELi160ELb0ELb0EEvPKT_PKfPKi31ggml_cuda_mm_fusion_args_devicePfi15HIP_vector_typeIjLj3EEiiiSB_iiiSB_iiii,"axG",@progbits,_ZL13mul_mat_vec_fI14__hip_bfloat16fLi6ELi160ELb0ELb0EEvPKT_PKfPKi31ggml_cuda_mm_fusion_args_devicePfi15HIP_vector_typeIjLj3EEiiiSB_iiiSB_iiii,comdat
.Lfunc_end332:
	.size	_ZL13mul_mat_vec_fI14__hip_bfloat16fLi6ELi160ELb0ELb0EEvPKT_PKfPKi31ggml_cuda_mm_fusion_args_devicePfi15HIP_vector_typeIjLj3EEiiiSB_iiiSB_iiii, .Lfunc_end332-_ZL13mul_mat_vec_fI14__hip_bfloat16fLi6ELi160ELb0ELb0EEvPKT_PKfPKi31ggml_cuda_mm_fusion_args_devicePfi15HIP_vector_typeIjLj3EEiiiSB_iiiSB_iiii
                                        ; -- End function
	.set _ZL13mul_mat_vec_fI14__hip_bfloat16fLi6ELi160ELb0ELb0EEvPKT_PKfPKi31ggml_cuda_mm_fusion_args_devicePfi15HIP_vector_typeIjLj3EEiiiSB_iiiSB_iiii.num_vgpr, 27
	.set _ZL13mul_mat_vec_fI14__hip_bfloat16fLi6ELi160ELb0ELb0EEvPKT_PKfPKi31ggml_cuda_mm_fusion_args_devicePfi15HIP_vector_typeIjLj3EEiiiSB_iiiSB_iiii.num_agpr, 0
	.set _ZL13mul_mat_vec_fI14__hip_bfloat16fLi6ELi160ELb0ELb0EEvPKT_PKfPKi31ggml_cuda_mm_fusion_args_devicePfi15HIP_vector_typeIjLj3EEiiiSB_iiiSB_iiii.numbered_sgpr, 36
	.set _ZL13mul_mat_vec_fI14__hip_bfloat16fLi6ELi160ELb0ELb0EEvPKT_PKfPKi31ggml_cuda_mm_fusion_args_devicePfi15HIP_vector_typeIjLj3EEiiiSB_iiiSB_iiii.num_named_barrier, 0
	.set _ZL13mul_mat_vec_fI14__hip_bfloat16fLi6ELi160ELb0ELb0EEvPKT_PKfPKi31ggml_cuda_mm_fusion_args_devicePfi15HIP_vector_typeIjLj3EEiiiSB_iiiSB_iiii.private_seg_size, 0
	.set _ZL13mul_mat_vec_fI14__hip_bfloat16fLi6ELi160ELb0ELb0EEvPKT_PKfPKi31ggml_cuda_mm_fusion_args_devicePfi15HIP_vector_typeIjLj3EEiiiSB_iiiSB_iiii.uses_vcc, 1
	.set _ZL13mul_mat_vec_fI14__hip_bfloat16fLi6ELi160ELb0ELb0EEvPKT_PKfPKi31ggml_cuda_mm_fusion_args_devicePfi15HIP_vector_typeIjLj3EEiiiSB_iiiSB_iiii.uses_flat_scratch, 0
	.set _ZL13mul_mat_vec_fI14__hip_bfloat16fLi6ELi160ELb0ELb0EEvPKT_PKfPKi31ggml_cuda_mm_fusion_args_devicePfi15HIP_vector_typeIjLj3EEiiiSB_iiiSB_iiii.has_dyn_sized_stack, 0
	.set _ZL13mul_mat_vec_fI14__hip_bfloat16fLi6ELi160ELb0ELb0EEvPKT_PKfPKi31ggml_cuda_mm_fusion_args_devicePfi15HIP_vector_typeIjLj3EEiiiSB_iiiSB_iiii.has_recursion, 0
	.set _ZL13mul_mat_vec_fI14__hip_bfloat16fLi6ELi160ELb0ELb0EEvPKT_PKfPKi31ggml_cuda_mm_fusion_args_devicePfi15HIP_vector_typeIjLj3EEiiiSB_iiiSB_iiii.has_indirect_call, 0
	.section	.AMDGPU.csdata,"",@progbits
; Kernel info:
; codeLenInByte = 2504
; TotalNumSgprs: 38
; NumVgprs: 27
; ScratchSize: 0
; MemoryBound: 0
; FloatMode: 240
; IeeeMode: 1
; LDSByteSize: 0 bytes/workgroup (compile time only)
; SGPRBlocks: 0
; VGPRBlocks: 3
; NumSGPRsForWavesPerEU: 38
; NumVGPRsForWavesPerEU: 27
; Occupancy: 16
; WaveLimiterHint : 0
; COMPUTE_PGM_RSRC2:SCRATCH_EN: 0
; COMPUTE_PGM_RSRC2:USER_SGPR: 6
; COMPUTE_PGM_RSRC2:TRAP_HANDLER: 0
; COMPUTE_PGM_RSRC2:TGID_X_EN: 1
; COMPUTE_PGM_RSRC2:TGID_Y_EN: 1
; COMPUTE_PGM_RSRC2:TGID_Z_EN: 1
; COMPUTE_PGM_RSRC2:TIDIG_COMP_CNT: 0
	.section	.text._ZL13mul_mat_vec_fI14__hip_bfloat16fLi6ELi192ELb0ELb0EEvPKT_PKfPKi31ggml_cuda_mm_fusion_args_devicePfi15HIP_vector_typeIjLj3EEiiiSB_iiiSB_iiii,"axG",@progbits,_ZL13mul_mat_vec_fI14__hip_bfloat16fLi6ELi192ELb0ELb0EEvPKT_PKfPKi31ggml_cuda_mm_fusion_args_devicePfi15HIP_vector_typeIjLj3EEiiiSB_iiiSB_iiii,comdat
	.globl	_ZL13mul_mat_vec_fI14__hip_bfloat16fLi6ELi192ELb0ELb0EEvPKT_PKfPKi31ggml_cuda_mm_fusion_args_devicePfi15HIP_vector_typeIjLj3EEiiiSB_iiiSB_iiii ; -- Begin function _ZL13mul_mat_vec_fI14__hip_bfloat16fLi6ELi192ELb0ELb0EEvPKT_PKfPKi31ggml_cuda_mm_fusion_args_devicePfi15HIP_vector_typeIjLj3EEiiiSB_iiiSB_iiii
	.p2align	8
	.type	_ZL13mul_mat_vec_fI14__hip_bfloat16fLi6ELi192ELb0ELb0EEvPKT_PKfPKi31ggml_cuda_mm_fusion_args_devicePfi15HIP_vector_typeIjLj3EEiiiSB_iiiSB_iiii,@function
_ZL13mul_mat_vec_fI14__hip_bfloat16fLi6ELi192ELb0ELb0EEvPKT_PKfPKi31ggml_cuda_mm_fusion_args_devicePfi15HIP_vector_typeIjLj3EEiiiSB_iiiSB_iiii: ; @_ZL13mul_mat_vec_fI14__hip_bfloat16fLi6ELi192ELb0ELb0EEvPKT_PKfPKi31ggml_cuda_mm_fusion_args_devicePfi15HIP_vector_typeIjLj3EEiiiSB_iiiSB_iiii
; %bb.0:
	s_clause 0x2
	s_load_dwordx2 s[0:1], s[4:5], 0x10
	s_load_dwordx8 s[12:19], s[4:5], 0x40
	s_load_dwordx4 s[20:23], s[4:5], 0x80
	s_waitcnt lgkmcnt(0)
	s_cmp_eq_u64 s[0:1], 0
	s_cselect_b32 s10, -1, 0
	s_cmp_lg_u64 s[0:1], 0
	s_cselect_b32 s11, -1, 0
	s_and_b32 vcc_lo, exec_lo, s10
	s_cbranch_vccnz .LBB333_2
; %bb.1:
	s_mul_i32 s2, s23, s8
	s_mov_b32 s3, 0
	s_add_i32 s2, s2, s7
	s_lshl_b64 s[24:25], s[2:3], 2
	s_add_u32 s0, s0, s24
	s_addc_u32 s1, s1, s25
	s_load_dword s9, s[0:1], 0x0
	s_cbranch_execz .LBB333_3
	s_branch .LBB333_4
.LBB333_2:
                                        ; implicit-def: $sgpr9
.LBB333_3:
	s_load_dwordx2 s[0:1], s[4:5], 0x5c
	s_waitcnt lgkmcnt(0)
	s_mul_hi_u32 s0, s0, s7
	s_add_i32 s0, s7, s0
	s_lshr_b32 s9, s0, s1
.LBB333_4:
	s_load_dwordx4 s[24:27], s[4:5], 0x68
	s_andn2_b32 vcc_lo, exec_lo, s11
	s_mov_b32 s19, s7
	s_cbranch_vccnz .LBB333_6
; %bb.5:
	s_mul_hi_u32 s0, s13, s7
	s_add_i32 s0, s7, s0
	s_lshr_b32 s0, s0, s14
	s_mul_i32 s0, s0, s15
	s_sub_i32 s19, s7, s0
.LBB333_6:
	s_load_dword s14, s[4:5], 0x78
	v_cmp_gt_u32_e32 vcc_lo, 32, v0
	v_lshl_add_u32 v5, v0, 2, 0
	s_and_saveexec_b32 s0, vcc_lo
; %bb.7:
	v_mov_b32_e32 v1, 0
	ds_write_b32 v5, v1
; %bb.8:
	s_or_b32 exec_lo, exec_lo, s0
	v_mov_b32_e32 v6, 0
	v_mov_b32_e32 v7, 0
	;; [unrolled: 1-line block ×6, first 2 shown]
	s_and_b32 s0, exec_lo, s10
	s_mov_b32 s11, 0
	s_cselect_b32 s10, s8, 0
	s_mov_b32 s13, exec_lo
	s_waitcnt lgkmcnt(0)
	s_barrier
	buffer_gl0_inv
	v_cmpx_gt_i32_e64 s12, v0
	s_cbranch_execz .LBB333_12
; %bb.9:
	s_load_dwordx4 s[0:3], s[4:5], 0x0
	s_mul_hi_u32 s15, s27, s10
	s_mul_hi_i32 s29, s21, s10
	s_mul_i32 s28, s21, s10
	s_mul_i32 s8, s9, s24
	;; [unrolled: 1-line block ×4, first 2 shown]
	s_add_i32 s15, s10, s15
	s_lshl_b64 s[28:29], s[28:29], 2
	s_ashr_i32 s9, s8, 31
	s_ashr_i32 s25, s24, 31
	;; [unrolled: 1-line block ×3, first 2 shown]
	s_lshr_b32 s14, s15, s14
	s_mov_b32 s34, s17
	s_mul_hi_i32 s21, s14, s20
	s_mul_i32 s20, s14, s20
	v_lshlrev_b32_e32 v2, 3, v0
	v_lshlrev_b32_e32 v1, 2, v0
	v_mov_b32_e32 v11, 0
	v_mov_b32_e32 v12, v0
	s_waitcnt lgkmcnt(0)
	s_add_u32 s15, s2, s28
	s_addc_u32 s16, s3, s29
	s_lshl_b64 s[30:31], s[30:31], 2
	v_mov_b32_e32 v10, 0
	s_add_u32 s14, s15, s30
	s_addc_u32 s15, s16, s31
	s_lshl_b64 s[8:9], s[8:9], 1
	s_ashr_i32 s35, s17, 31
	s_add_i32 s16, s17, s17
	s_lshl_b32 s19, s17, 2
	s_lshl_b64 s[20:21], s[20:21], 1
	s_lshl_b64 s[24:25], s[24:25], 1
	s_add_u32 s0, s0, s8
	s_addc_u32 s1, s1, s9
	s_add_u32 s0, s0, s24
	s_addc_u32 s1, s1, s25
	;; [unrolled: 2-line block ×3, first 2 shown]
	s_lshl_b64 s[8:9], s[34:35], 3
	s_add_u32 s2, s2, s30
	s_addc_u32 s3, s3, s31
	s_add_u32 s2, s2, s28
	s_addc_u32 s3, s3, s29
	v_add_co_u32 v3, s2, s2, v2
	v_add_co_ci_u32_e64 v4, null, s3, 0, s2
	v_add_co_u32 v1, s0, s0, v1
	v_add_co_ci_u32_e64 v2, null, s1, 0, s0
	v_add_co_u32 v3, s0, v3, 4
	v_add_co_ci_u32_e64 v4, null, 0, v4, s0
	v_mov_b32_e32 v9, 0
	v_mov_b32_e32 v8, 0
	;; [unrolled: 1-line block ×4, first 2 shown]
	s_mul_i32 s1, s17, 3
	s_mul_i32 s2, s17, 5
.LBB333_10:                             ; =>This Inner Loop Header: Depth=1
	v_add_nc_u32_e32 v15, s16, v12
	v_add_nc_u32_e32 v19, s1, v12
	;; [unrolled: 1-line block ×4, first 2 shown]
	v_add_co_u32 v17, s0, v3, s8
	v_ashrrev_i32_e32 v16, 31, v15
	v_ashrrev_i32_e32 v20, 31, v19
	;; [unrolled: 1-line block ×4, first 2 shown]
	v_add_co_ci_u32_e64 v18, null, s9, v4, s0
	v_lshlrev_b64 v[15:16], 3, v[15:16]
	v_lshlrev_b64 v[19:20], 3, v[19:20]
	;; [unrolled: 1-line block ×4, first 2 shown]
	global_load_dword v25, v[1:2], off
	global_load_dwordx2 v[13:14], v[3:4], off offset:-4
	v_add_nc_u32_e32 v12, 0xc0, v12
	v_add_co_u32 v15, s0, s14, v15
	v_add_co_ci_u32_e64 v16, null, s15, v16, s0
	v_add_co_u32 v19, s0, s14, v19
	v_add_co_ci_u32_e64 v20, null, s15, v20, s0
	v_add_co_u32 v21, s0, s14, v21
	v_add_co_ci_u32_e64 v22, null, s15, v22, s0
	v_add_co_u32 v23, s0, s14, v23
	v_add_co_ci_u32_e64 v24, null, s15, v24, s0
	global_load_dwordx2 v[17:18], v[17:18], off offset:-4
	s_clause 0x3
	global_load_dwordx2 v[15:16], v[15:16], off
	global_load_dwordx2 v[19:20], v[19:20], off
	;; [unrolled: 1-line block ×4, first 2 shown]
	v_add_co_u32 v1, s0, 0x300, v1
	v_add_co_ci_u32_e64 v2, null, 0, v2, s0
	v_add_co_u32 v3, s0, 0x600, v3
	v_add_co_ci_u32_e64 v4, null, 0, v4, s0
	v_cmp_le_i32_e64 s0, s12, v12
	s_or_b32 s11, s0, s11
	s_waitcnt vmcnt(6)
	v_lshlrev_b32_e32 v26, 16, v25
	v_and_b32_e32 v25, 0xffff0000, v25
	s_waitcnt vmcnt(5)
	v_fmac_f32_e32 v11, v13, v26
	v_fmac_f32_e32 v11, v14, v25
	s_waitcnt vmcnt(4)
	v_fmac_f32_e32 v10, v17, v26
	s_waitcnt vmcnt(3)
	;; [unrolled: 2-line block ×5, first 2 shown]
	v_fmac_f32_e32 v6, v23, v26
	v_fmac_f32_e32 v10, v18, v25
	v_fmac_f32_e32 v9, v16, v25
	v_fmac_f32_e32 v8, v20, v25
	v_fmac_f32_e32 v7, v22, v25
	v_fmac_f32_e32 v6, v24, v25
	s_andn2_b32 exec_lo, exec_lo, s11
	s_cbranch_execnz .LBB333_10
; %bb.11:
	s_or_b32 exec_lo, exec_lo, s11
.LBB333_12:
	s_or_b32 exec_lo, exec_lo, s13
	v_mbcnt_lo_u32_b32 v2, -1, 0
	v_xor_b32_e32 v1, 16, v2
	v_xor_b32_e32 v3, 8, v2
	v_cmp_gt_i32_e64 s0, 32, v1
	v_cndmask_b32_e64 v1, v2, v1, s0
	v_cmp_gt_i32_e64 s0, 32, v3
	v_lshlrev_b32_e32 v1, 2, v1
	v_cndmask_b32_e64 v3, v2, v3, s0
	ds_bpermute_b32 v4, v1, v11
	v_lshlrev_b32_e32 v3, 2, v3
	s_waitcnt lgkmcnt(0)
	v_add_f32_e32 v11, v11, v4
	v_xor_b32_e32 v4, 4, v2
	ds_bpermute_b32 v12, v3, v11
	v_cmp_gt_i32_e64 s0, 32, v4
	v_cndmask_b32_e64 v4, v2, v4, s0
	v_lshlrev_b32_e32 v4, 2, v4
	s_waitcnt lgkmcnt(0)
	v_add_f32_e32 v12, v11, v12
	v_xor_b32_e32 v11, 2, v2
	ds_bpermute_b32 v13, v4, v12
	v_cmp_gt_i32_e64 s0, 32, v11
	v_cndmask_b32_e64 v11, v2, v11, s0
	;; [unrolled: 7-line block ×3, first 2 shown]
	v_lshlrev_b32_e32 v12, 2, v2
	s_waitcnt lgkmcnt(0)
	v_add_f32_e32 v2, v13, v14
	v_lshrrev_b32_e32 v13, 3, v0
	ds_bpermute_b32 v14, v12, v2
	v_and_b32_e32 v13, 0x7c, v13
	v_add_nc_u32_e32 v13, 0, v13
	s_waitcnt lgkmcnt(0)
	v_add_f32_e32 v2, v2, v14
	ds_write_b32 v13, v2
	s_waitcnt lgkmcnt(0)
	s_barrier
	buffer_gl0_inv
	s_and_saveexec_b32 s0, vcc_lo
	s_cbranch_execz .LBB333_14
; %bb.13:
	ds_read_b32 v2, v5
	s_waitcnt lgkmcnt(0)
	ds_bpermute_b32 v14, v1, v2
	s_waitcnt lgkmcnt(0)
	v_add_f32_e32 v2, v2, v14
	ds_bpermute_b32 v14, v3, v2
	s_waitcnt lgkmcnt(0)
	v_add_f32_e32 v2, v2, v14
	ds_bpermute_b32 v14, v4, v2
	s_waitcnt lgkmcnt(0)
	v_add_f32_e32 v2, v2, v14
	ds_bpermute_b32 v14, v11, v2
	s_waitcnt lgkmcnt(0)
	v_add_f32_e32 v2, v2, v14
	ds_bpermute_b32 v14, v12, v2
	s_waitcnt lgkmcnt(0)
	v_add_f32_e32 v2, v2, v14
.LBB333_14:
	s_or_b32 exec_lo, exec_lo, s0
	ds_bpermute_b32 v14, v1, v10
	s_waitcnt lgkmcnt(0)
	s_barrier
	buffer_gl0_inv
	v_add_f32_e32 v10, v10, v14
	ds_bpermute_b32 v14, v3, v10
	s_waitcnt lgkmcnt(0)
	v_add_f32_e32 v10, v10, v14
	ds_bpermute_b32 v14, v4, v10
	s_waitcnt lgkmcnt(0)
	v_add_f32_e32 v10, v10, v14
	ds_bpermute_b32 v14, v11, v10
	s_waitcnt lgkmcnt(0)
	v_add_f32_e32 v10, v10, v14
	ds_bpermute_b32 v14, v12, v10
	s_waitcnt lgkmcnt(0)
	v_add_f32_e32 v10, v10, v14
	ds_write_b32 v13, v10
	s_waitcnt lgkmcnt(0)
	s_barrier
	buffer_gl0_inv
	s_and_saveexec_b32 s0, vcc_lo
	s_cbranch_execz .LBB333_16
; %bb.15:
	ds_read_b32 v10, v5
	s_waitcnt lgkmcnt(0)
	ds_bpermute_b32 v14, v1, v10
	s_waitcnt lgkmcnt(0)
	v_add_f32_e32 v10, v10, v14
	ds_bpermute_b32 v14, v3, v10
	s_waitcnt lgkmcnt(0)
	v_add_f32_e32 v10, v10, v14
	ds_bpermute_b32 v14, v4, v10
	s_waitcnt lgkmcnt(0)
	v_add_f32_e32 v10, v10, v14
	ds_bpermute_b32 v14, v11, v10
	s_waitcnt lgkmcnt(0)
	v_add_f32_e32 v10, v10, v14
	ds_bpermute_b32 v14, v12, v10
	s_waitcnt lgkmcnt(0)
	v_add_f32_e32 v10, v10, v14
.LBB333_16:
	s_or_b32 exec_lo, exec_lo, s0
	ds_bpermute_b32 v14, v1, v9
	s_waitcnt lgkmcnt(0)
	s_barrier
	buffer_gl0_inv
	v_add_f32_e32 v9, v9, v14
	ds_bpermute_b32 v14, v3, v9
	s_waitcnt lgkmcnt(0)
	v_add_f32_e32 v9, v9, v14
	ds_bpermute_b32 v14, v4, v9
	s_waitcnt lgkmcnt(0)
	v_add_f32_e32 v9, v9, v14
	ds_bpermute_b32 v14, v11, v9
	s_waitcnt lgkmcnt(0)
	v_add_f32_e32 v9, v9, v14
	ds_bpermute_b32 v14, v12, v9
	;; [unrolled: 43-line block ×5, first 2 shown]
	s_waitcnt lgkmcnt(0)
	v_add_f32_e32 v6, v6, v14
	ds_write_b32 v13, v6
	s_waitcnt lgkmcnt(0)
	s_barrier
	buffer_gl0_inv
	s_and_saveexec_b32 s0, vcc_lo
	s_cbranch_execz .LBB333_24
; %bb.23:
	ds_read_b32 v5, v5
	s_waitcnt lgkmcnt(0)
	ds_bpermute_b32 v1, v1, v5
	s_waitcnt lgkmcnt(0)
	v_add_f32_e32 v1, v5, v1
	ds_bpermute_b32 v3, v3, v1
	s_waitcnt lgkmcnt(0)
	v_add_f32_e32 v1, v1, v3
	ds_bpermute_b32 v3, v4, v1
	s_waitcnt lgkmcnt(0)
	v_add_f32_e32 v1, v1, v3
	ds_bpermute_b32 v3, v11, v1
	s_waitcnt lgkmcnt(0)
	v_add_f32_e32 v1, v1, v3
	ds_bpermute_b32 v3, v12, v1
	s_waitcnt lgkmcnt(0)
	v_add_f32_e32 v6, v1, v3
.LBB333_24:
	s_or_b32 exec_lo, exec_lo, s0
	s_barrier
	buffer_gl0_inv
	s_mov_b32 s0, exec_lo
	v_cmpx_gt_u32_e32 6, v0
	s_cbranch_execz .LBB333_26
; %bb.25:
	s_load_dwordx2 s[0:1], s[4:5], 0x38
	v_cmp_eq_u32_e32 vcc_lo, 1, v0
	s_mul_hi_i32 s3, s22, s10
	s_mul_i32 s2, s22, s10
	s_mul_i32 s4, s26, s7
	s_lshl_b64 s[2:3], s[2:3], 2
	v_cndmask_b32_e32 v3, v2, v10, vcc_lo
	v_cmp_eq_u32_e32 vcc_lo, 2, v0
	v_mad_u64_u32 v[1:2], null, s18, v0, s[6:7]
	s_ashr_i32 s5, s4, 31
	v_cndmask_b32_e32 v3, v3, v9, vcc_lo
	v_cmp_eq_u32_e32 vcc_lo, 3, v0
	v_ashrrev_i32_e32 v2, 31, v1
	v_cndmask_b32_e32 v3, v3, v8, vcc_lo
	v_cmp_eq_u32_e32 vcc_lo, 4, v0
	s_waitcnt lgkmcnt(0)
	s_add_u32 s2, s0, s2
	v_lshlrev_b64 v[1:2], 2, v[1:2]
	s_addc_u32 s3, s1, s3
	s_lshl_b64 s[0:1], s[4:5], 2
	v_cndmask_b32_e32 v3, v3, v7, vcc_lo
	v_cmp_eq_u32_e32 vcc_lo, 5, v0
	s_add_u32 s0, s2, s0
	s_addc_u32 s1, s3, s1
	v_cndmask_b32_e32 v3, v3, v6, vcc_lo
	v_add_co_u32 v0, vcc_lo, s0, v1
	v_add_co_ci_u32_e64 v1, null, s1, v2, vcc_lo
	global_store_dword v[0:1], v3, off
.LBB333_26:
	s_endpgm
	.section	.rodata,"a",@progbits
	.p2align	6, 0x0
	.amdhsa_kernel _ZL13mul_mat_vec_fI14__hip_bfloat16fLi6ELi192ELb0ELb0EEvPKT_PKfPKi31ggml_cuda_mm_fusion_args_devicePfi15HIP_vector_typeIjLj3EEiiiSB_iiiSB_iiii
		.amdhsa_group_segment_fixed_size 0
		.amdhsa_private_segment_fixed_size 0
		.amdhsa_kernarg_size 144
		.amdhsa_user_sgpr_count 6
		.amdhsa_user_sgpr_private_segment_buffer 1
		.amdhsa_user_sgpr_dispatch_ptr 0
		.amdhsa_user_sgpr_queue_ptr 0
		.amdhsa_user_sgpr_kernarg_segment_ptr 1
		.amdhsa_user_sgpr_dispatch_id 0
		.amdhsa_user_sgpr_flat_scratch_init 0
		.amdhsa_user_sgpr_private_segment_size 0
		.amdhsa_wavefront_size32 1
		.amdhsa_uses_dynamic_stack 0
		.amdhsa_system_sgpr_private_segment_wavefront_offset 0
		.amdhsa_system_sgpr_workgroup_id_x 1
		.amdhsa_system_sgpr_workgroup_id_y 1
		.amdhsa_system_sgpr_workgroup_id_z 1
		.amdhsa_system_sgpr_workgroup_info 0
		.amdhsa_system_vgpr_workitem_id 0
		.amdhsa_next_free_vgpr 27
		.amdhsa_next_free_sgpr 36
		.amdhsa_reserve_vcc 1
		.amdhsa_reserve_flat_scratch 0
		.amdhsa_float_round_mode_32 0
		.amdhsa_float_round_mode_16_64 0
		.amdhsa_float_denorm_mode_32 3
		.amdhsa_float_denorm_mode_16_64 3
		.amdhsa_dx10_clamp 1
		.amdhsa_ieee_mode 1
		.amdhsa_fp16_overflow 0
		.amdhsa_workgroup_processor_mode 1
		.amdhsa_memory_ordered 1
		.amdhsa_forward_progress 1
		.amdhsa_shared_vgpr_count 0
		.amdhsa_exception_fp_ieee_invalid_op 0
		.amdhsa_exception_fp_denorm_src 0
		.amdhsa_exception_fp_ieee_div_zero 0
		.amdhsa_exception_fp_ieee_overflow 0
		.amdhsa_exception_fp_ieee_underflow 0
		.amdhsa_exception_fp_ieee_inexact 0
		.amdhsa_exception_int_div_zero 0
	.end_amdhsa_kernel
	.section	.text._ZL13mul_mat_vec_fI14__hip_bfloat16fLi6ELi192ELb0ELb0EEvPKT_PKfPKi31ggml_cuda_mm_fusion_args_devicePfi15HIP_vector_typeIjLj3EEiiiSB_iiiSB_iiii,"axG",@progbits,_ZL13mul_mat_vec_fI14__hip_bfloat16fLi6ELi192ELb0ELb0EEvPKT_PKfPKi31ggml_cuda_mm_fusion_args_devicePfi15HIP_vector_typeIjLj3EEiiiSB_iiiSB_iiii,comdat
.Lfunc_end333:
	.size	_ZL13mul_mat_vec_fI14__hip_bfloat16fLi6ELi192ELb0ELb0EEvPKT_PKfPKi31ggml_cuda_mm_fusion_args_devicePfi15HIP_vector_typeIjLj3EEiiiSB_iiiSB_iiii, .Lfunc_end333-_ZL13mul_mat_vec_fI14__hip_bfloat16fLi6ELi192ELb0ELb0EEvPKT_PKfPKi31ggml_cuda_mm_fusion_args_devicePfi15HIP_vector_typeIjLj3EEiiiSB_iiiSB_iiii
                                        ; -- End function
	.set _ZL13mul_mat_vec_fI14__hip_bfloat16fLi6ELi192ELb0ELb0EEvPKT_PKfPKi31ggml_cuda_mm_fusion_args_devicePfi15HIP_vector_typeIjLj3EEiiiSB_iiiSB_iiii.num_vgpr, 27
	.set _ZL13mul_mat_vec_fI14__hip_bfloat16fLi6ELi192ELb0ELb0EEvPKT_PKfPKi31ggml_cuda_mm_fusion_args_devicePfi15HIP_vector_typeIjLj3EEiiiSB_iiiSB_iiii.num_agpr, 0
	.set _ZL13mul_mat_vec_fI14__hip_bfloat16fLi6ELi192ELb0ELb0EEvPKT_PKfPKi31ggml_cuda_mm_fusion_args_devicePfi15HIP_vector_typeIjLj3EEiiiSB_iiiSB_iiii.numbered_sgpr, 36
	.set _ZL13mul_mat_vec_fI14__hip_bfloat16fLi6ELi192ELb0ELb0EEvPKT_PKfPKi31ggml_cuda_mm_fusion_args_devicePfi15HIP_vector_typeIjLj3EEiiiSB_iiiSB_iiii.num_named_barrier, 0
	.set _ZL13mul_mat_vec_fI14__hip_bfloat16fLi6ELi192ELb0ELb0EEvPKT_PKfPKi31ggml_cuda_mm_fusion_args_devicePfi15HIP_vector_typeIjLj3EEiiiSB_iiiSB_iiii.private_seg_size, 0
	.set _ZL13mul_mat_vec_fI14__hip_bfloat16fLi6ELi192ELb0ELb0EEvPKT_PKfPKi31ggml_cuda_mm_fusion_args_devicePfi15HIP_vector_typeIjLj3EEiiiSB_iiiSB_iiii.uses_vcc, 1
	.set _ZL13mul_mat_vec_fI14__hip_bfloat16fLi6ELi192ELb0ELb0EEvPKT_PKfPKi31ggml_cuda_mm_fusion_args_devicePfi15HIP_vector_typeIjLj3EEiiiSB_iiiSB_iiii.uses_flat_scratch, 0
	.set _ZL13mul_mat_vec_fI14__hip_bfloat16fLi6ELi192ELb0ELb0EEvPKT_PKfPKi31ggml_cuda_mm_fusion_args_devicePfi15HIP_vector_typeIjLj3EEiiiSB_iiiSB_iiii.has_dyn_sized_stack, 0
	.set _ZL13mul_mat_vec_fI14__hip_bfloat16fLi6ELi192ELb0ELb0EEvPKT_PKfPKi31ggml_cuda_mm_fusion_args_devicePfi15HIP_vector_typeIjLj3EEiiiSB_iiiSB_iiii.has_recursion, 0
	.set _ZL13mul_mat_vec_fI14__hip_bfloat16fLi6ELi192ELb0ELb0EEvPKT_PKfPKi31ggml_cuda_mm_fusion_args_devicePfi15HIP_vector_typeIjLj3EEiiiSB_iiiSB_iiii.has_indirect_call, 0
	.section	.AMDGPU.csdata,"",@progbits
; Kernel info:
; codeLenInByte = 2504
; TotalNumSgprs: 38
; NumVgprs: 27
; ScratchSize: 0
; MemoryBound: 0
; FloatMode: 240
; IeeeMode: 1
; LDSByteSize: 0 bytes/workgroup (compile time only)
; SGPRBlocks: 0
; VGPRBlocks: 3
; NumSGPRsForWavesPerEU: 38
; NumVGPRsForWavesPerEU: 27
; Occupancy: 16
; WaveLimiterHint : 0
; COMPUTE_PGM_RSRC2:SCRATCH_EN: 0
; COMPUTE_PGM_RSRC2:USER_SGPR: 6
; COMPUTE_PGM_RSRC2:TRAP_HANDLER: 0
; COMPUTE_PGM_RSRC2:TGID_X_EN: 1
; COMPUTE_PGM_RSRC2:TGID_Y_EN: 1
; COMPUTE_PGM_RSRC2:TGID_Z_EN: 1
; COMPUTE_PGM_RSRC2:TIDIG_COMP_CNT: 0
	.section	.text._ZL13mul_mat_vec_fI14__hip_bfloat16fLi6ELi224ELb0ELb0EEvPKT_PKfPKi31ggml_cuda_mm_fusion_args_devicePfi15HIP_vector_typeIjLj3EEiiiSB_iiiSB_iiii,"axG",@progbits,_ZL13mul_mat_vec_fI14__hip_bfloat16fLi6ELi224ELb0ELb0EEvPKT_PKfPKi31ggml_cuda_mm_fusion_args_devicePfi15HIP_vector_typeIjLj3EEiiiSB_iiiSB_iiii,comdat
	.globl	_ZL13mul_mat_vec_fI14__hip_bfloat16fLi6ELi224ELb0ELb0EEvPKT_PKfPKi31ggml_cuda_mm_fusion_args_devicePfi15HIP_vector_typeIjLj3EEiiiSB_iiiSB_iiii ; -- Begin function _ZL13mul_mat_vec_fI14__hip_bfloat16fLi6ELi224ELb0ELb0EEvPKT_PKfPKi31ggml_cuda_mm_fusion_args_devicePfi15HIP_vector_typeIjLj3EEiiiSB_iiiSB_iiii
	.p2align	8
	.type	_ZL13mul_mat_vec_fI14__hip_bfloat16fLi6ELi224ELb0ELb0EEvPKT_PKfPKi31ggml_cuda_mm_fusion_args_devicePfi15HIP_vector_typeIjLj3EEiiiSB_iiiSB_iiii,@function
_ZL13mul_mat_vec_fI14__hip_bfloat16fLi6ELi224ELb0ELb0EEvPKT_PKfPKi31ggml_cuda_mm_fusion_args_devicePfi15HIP_vector_typeIjLj3EEiiiSB_iiiSB_iiii: ; @_ZL13mul_mat_vec_fI14__hip_bfloat16fLi6ELi224ELb0ELb0EEvPKT_PKfPKi31ggml_cuda_mm_fusion_args_devicePfi15HIP_vector_typeIjLj3EEiiiSB_iiiSB_iiii
; %bb.0:
	s_clause 0x2
	s_load_dwordx2 s[0:1], s[4:5], 0x10
	s_load_dwordx8 s[12:19], s[4:5], 0x40
	s_load_dwordx4 s[20:23], s[4:5], 0x80
	s_waitcnt lgkmcnt(0)
	s_cmp_eq_u64 s[0:1], 0
	s_cselect_b32 s10, -1, 0
	s_cmp_lg_u64 s[0:1], 0
	s_cselect_b32 s11, -1, 0
	s_and_b32 vcc_lo, exec_lo, s10
	s_cbranch_vccnz .LBB334_2
; %bb.1:
	s_mul_i32 s2, s23, s8
	s_mov_b32 s3, 0
	s_add_i32 s2, s2, s7
	s_lshl_b64 s[24:25], s[2:3], 2
	s_add_u32 s0, s0, s24
	s_addc_u32 s1, s1, s25
	s_load_dword s9, s[0:1], 0x0
	s_cbranch_execz .LBB334_3
	s_branch .LBB334_4
.LBB334_2:
                                        ; implicit-def: $sgpr9
.LBB334_3:
	s_load_dwordx2 s[0:1], s[4:5], 0x5c
	s_waitcnt lgkmcnt(0)
	s_mul_hi_u32 s0, s0, s7
	s_add_i32 s0, s7, s0
	s_lshr_b32 s9, s0, s1
.LBB334_4:
	s_load_dwordx4 s[24:27], s[4:5], 0x68
	s_andn2_b32 vcc_lo, exec_lo, s11
	s_mov_b32 s19, s7
	s_cbranch_vccnz .LBB334_6
; %bb.5:
	s_mul_hi_u32 s0, s13, s7
	s_add_i32 s0, s7, s0
	s_lshr_b32 s0, s0, s14
	s_mul_i32 s0, s0, s15
	s_sub_i32 s19, s7, s0
.LBB334_6:
	s_load_dword s14, s[4:5], 0x78
	v_cmp_gt_u32_e32 vcc_lo, 32, v0
	v_lshl_add_u32 v5, v0, 2, 0
	s_and_saveexec_b32 s0, vcc_lo
; %bb.7:
	v_mov_b32_e32 v1, 0
	ds_write_b32 v5, v1
; %bb.8:
	s_or_b32 exec_lo, exec_lo, s0
	v_mov_b32_e32 v6, 0
	v_mov_b32_e32 v7, 0
	;; [unrolled: 1-line block ×6, first 2 shown]
	s_and_b32 s0, exec_lo, s10
	s_mov_b32 s11, 0
	s_cselect_b32 s10, s8, 0
	s_mov_b32 s13, exec_lo
	s_waitcnt lgkmcnt(0)
	s_barrier
	buffer_gl0_inv
	v_cmpx_gt_i32_e64 s12, v0
	s_cbranch_execz .LBB334_12
; %bb.9:
	s_load_dwordx4 s[0:3], s[4:5], 0x0
	s_mul_hi_u32 s15, s27, s10
	s_mul_hi_i32 s29, s21, s10
	s_mul_i32 s28, s21, s10
	s_mul_i32 s8, s9, s24
	;; [unrolled: 1-line block ×4, first 2 shown]
	s_add_i32 s15, s10, s15
	s_lshl_b64 s[28:29], s[28:29], 2
	s_ashr_i32 s9, s8, 31
	s_ashr_i32 s25, s24, 31
	;; [unrolled: 1-line block ×3, first 2 shown]
	s_lshr_b32 s14, s15, s14
	s_mov_b32 s34, s17
	s_mul_hi_i32 s21, s14, s20
	s_mul_i32 s20, s14, s20
	v_lshlrev_b32_e32 v2, 3, v0
	v_lshlrev_b32_e32 v1, 2, v0
	v_mov_b32_e32 v11, 0
	v_mov_b32_e32 v12, v0
	s_waitcnt lgkmcnt(0)
	s_add_u32 s15, s2, s28
	s_addc_u32 s16, s3, s29
	s_lshl_b64 s[30:31], s[30:31], 2
	v_mov_b32_e32 v10, 0
	s_add_u32 s14, s15, s30
	s_addc_u32 s15, s16, s31
	s_lshl_b64 s[8:9], s[8:9], 1
	s_ashr_i32 s35, s17, 31
	s_add_i32 s16, s17, s17
	s_lshl_b32 s19, s17, 2
	s_lshl_b64 s[20:21], s[20:21], 1
	s_lshl_b64 s[24:25], s[24:25], 1
	s_add_u32 s0, s0, s8
	s_addc_u32 s1, s1, s9
	s_add_u32 s0, s0, s24
	s_addc_u32 s1, s1, s25
	s_add_u32 s0, s0, s20
	s_addc_u32 s1, s1, s21
	s_lshl_b64 s[8:9], s[34:35], 3
	s_add_u32 s2, s2, s30
	s_addc_u32 s3, s3, s31
	s_add_u32 s2, s2, s28
	s_addc_u32 s3, s3, s29
	v_add_co_u32 v3, s2, s2, v2
	v_add_co_ci_u32_e64 v4, null, s3, 0, s2
	v_add_co_u32 v1, s0, s0, v1
	v_add_co_ci_u32_e64 v2, null, s1, 0, s0
	;; [unrolled: 2-line block ×3, first 2 shown]
	v_mov_b32_e32 v9, 0
	v_mov_b32_e32 v8, 0
	;; [unrolled: 1-line block ×4, first 2 shown]
	s_mul_i32 s1, s17, 3
	s_mul_i32 s2, s17, 5
.LBB334_10:                             ; =>This Inner Loop Header: Depth=1
	v_add_nc_u32_e32 v15, s16, v12
	v_add_nc_u32_e32 v19, s1, v12
	;; [unrolled: 1-line block ×4, first 2 shown]
	v_add_co_u32 v17, s0, v3, s8
	v_ashrrev_i32_e32 v16, 31, v15
	v_ashrrev_i32_e32 v20, 31, v19
	;; [unrolled: 1-line block ×4, first 2 shown]
	v_add_co_ci_u32_e64 v18, null, s9, v4, s0
	v_lshlrev_b64 v[15:16], 3, v[15:16]
	v_lshlrev_b64 v[19:20], 3, v[19:20]
	;; [unrolled: 1-line block ×4, first 2 shown]
	global_load_dword v25, v[1:2], off
	global_load_dwordx2 v[13:14], v[3:4], off offset:-4
	v_add_nc_u32_e32 v12, 0xe0, v12
	v_add_co_u32 v15, s0, s14, v15
	v_add_co_ci_u32_e64 v16, null, s15, v16, s0
	v_add_co_u32 v19, s0, s14, v19
	v_add_co_ci_u32_e64 v20, null, s15, v20, s0
	;; [unrolled: 2-line block ×4, first 2 shown]
	global_load_dwordx2 v[17:18], v[17:18], off offset:-4
	s_clause 0x3
	global_load_dwordx2 v[15:16], v[15:16], off
	global_load_dwordx2 v[19:20], v[19:20], off
	;; [unrolled: 1-line block ×4, first 2 shown]
	v_add_co_u32 v1, s0, 0x380, v1
	v_add_co_ci_u32_e64 v2, null, 0, v2, s0
	v_add_co_u32 v3, s0, 0x700, v3
	v_add_co_ci_u32_e64 v4, null, 0, v4, s0
	v_cmp_le_i32_e64 s0, s12, v12
	s_or_b32 s11, s0, s11
	s_waitcnt vmcnt(6)
	v_lshlrev_b32_e32 v26, 16, v25
	v_and_b32_e32 v25, 0xffff0000, v25
	s_waitcnt vmcnt(5)
	v_fmac_f32_e32 v11, v13, v26
	v_fmac_f32_e32 v11, v14, v25
	s_waitcnt vmcnt(4)
	v_fmac_f32_e32 v10, v17, v26
	s_waitcnt vmcnt(3)
	;; [unrolled: 2-line block ×5, first 2 shown]
	v_fmac_f32_e32 v6, v23, v26
	v_fmac_f32_e32 v10, v18, v25
	;; [unrolled: 1-line block ×6, first 2 shown]
	s_andn2_b32 exec_lo, exec_lo, s11
	s_cbranch_execnz .LBB334_10
; %bb.11:
	s_or_b32 exec_lo, exec_lo, s11
.LBB334_12:
	s_or_b32 exec_lo, exec_lo, s13
	v_mbcnt_lo_u32_b32 v2, -1, 0
	v_xor_b32_e32 v1, 16, v2
	v_xor_b32_e32 v3, 8, v2
	v_cmp_gt_i32_e64 s0, 32, v1
	v_cndmask_b32_e64 v1, v2, v1, s0
	v_cmp_gt_i32_e64 s0, 32, v3
	v_lshlrev_b32_e32 v1, 2, v1
	v_cndmask_b32_e64 v3, v2, v3, s0
	ds_bpermute_b32 v4, v1, v11
	v_lshlrev_b32_e32 v3, 2, v3
	s_waitcnt lgkmcnt(0)
	v_add_f32_e32 v11, v11, v4
	v_xor_b32_e32 v4, 4, v2
	ds_bpermute_b32 v12, v3, v11
	v_cmp_gt_i32_e64 s0, 32, v4
	v_cndmask_b32_e64 v4, v2, v4, s0
	v_lshlrev_b32_e32 v4, 2, v4
	s_waitcnt lgkmcnt(0)
	v_add_f32_e32 v12, v11, v12
	v_xor_b32_e32 v11, 2, v2
	ds_bpermute_b32 v13, v4, v12
	v_cmp_gt_i32_e64 s0, 32, v11
	v_cndmask_b32_e64 v11, v2, v11, s0
	;; [unrolled: 7-line block ×3, first 2 shown]
	v_lshlrev_b32_e32 v12, 2, v2
	s_waitcnt lgkmcnt(0)
	v_add_f32_e32 v2, v13, v14
	v_lshrrev_b32_e32 v13, 3, v0
	ds_bpermute_b32 v14, v12, v2
	v_and_b32_e32 v13, 0x7c, v13
	v_add_nc_u32_e32 v13, 0, v13
	s_waitcnt lgkmcnt(0)
	v_add_f32_e32 v2, v2, v14
	ds_write_b32 v13, v2
	s_waitcnt lgkmcnt(0)
	s_barrier
	buffer_gl0_inv
	s_and_saveexec_b32 s0, vcc_lo
	s_cbranch_execz .LBB334_14
; %bb.13:
	ds_read_b32 v2, v5
	s_waitcnt lgkmcnt(0)
	ds_bpermute_b32 v14, v1, v2
	s_waitcnt lgkmcnt(0)
	v_add_f32_e32 v2, v2, v14
	ds_bpermute_b32 v14, v3, v2
	s_waitcnt lgkmcnt(0)
	v_add_f32_e32 v2, v2, v14
	ds_bpermute_b32 v14, v4, v2
	s_waitcnt lgkmcnt(0)
	v_add_f32_e32 v2, v2, v14
	ds_bpermute_b32 v14, v11, v2
	s_waitcnt lgkmcnt(0)
	v_add_f32_e32 v2, v2, v14
	ds_bpermute_b32 v14, v12, v2
	s_waitcnt lgkmcnt(0)
	v_add_f32_e32 v2, v2, v14
.LBB334_14:
	s_or_b32 exec_lo, exec_lo, s0
	ds_bpermute_b32 v14, v1, v10
	s_waitcnt lgkmcnt(0)
	s_barrier
	buffer_gl0_inv
	v_add_f32_e32 v10, v10, v14
	ds_bpermute_b32 v14, v3, v10
	s_waitcnt lgkmcnt(0)
	v_add_f32_e32 v10, v10, v14
	ds_bpermute_b32 v14, v4, v10
	s_waitcnt lgkmcnt(0)
	v_add_f32_e32 v10, v10, v14
	ds_bpermute_b32 v14, v11, v10
	s_waitcnt lgkmcnt(0)
	v_add_f32_e32 v10, v10, v14
	ds_bpermute_b32 v14, v12, v10
	s_waitcnt lgkmcnt(0)
	v_add_f32_e32 v10, v10, v14
	ds_write_b32 v13, v10
	s_waitcnt lgkmcnt(0)
	s_barrier
	buffer_gl0_inv
	s_and_saveexec_b32 s0, vcc_lo
	s_cbranch_execz .LBB334_16
; %bb.15:
	ds_read_b32 v10, v5
	s_waitcnt lgkmcnt(0)
	ds_bpermute_b32 v14, v1, v10
	s_waitcnt lgkmcnt(0)
	v_add_f32_e32 v10, v10, v14
	ds_bpermute_b32 v14, v3, v10
	s_waitcnt lgkmcnt(0)
	v_add_f32_e32 v10, v10, v14
	ds_bpermute_b32 v14, v4, v10
	s_waitcnt lgkmcnt(0)
	v_add_f32_e32 v10, v10, v14
	ds_bpermute_b32 v14, v11, v10
	s_waitcnt lgkmcnt(0)
	v_add_f32_e32 v10, v10, v14
	ds_bpermute_b32 v14, v12, v10
	s_waitcnt lgkmcnt(0)
	v_add_f32_e32 v10, v10, v14
.LBB334_16:
	s_or_b32 exec_lo, exec_lo, s0
	ds_bpermute_b32 v14, v1, v9
	s_waitcnt lgkmcnt(0)
	s_barrier
	buffer_gl0_inv
	v_add_f32_e32 v9, v9, v14
	ds_bpermute_b32 v14, v3, v9
	s_waitcnt lgkmcnt(0)
	v_add_f32_e32 v9, v9, v14
	ds_bpermute_b32 v14, v4, v9
	s_waitcnt lgkmcnt(0)
	v_add_f32_e32 v9, v9, v14
	ds_bpermute_b32 v14, v11, v9
	s_waitcnt lgkmcnt(0)
	v_add_f32_e32 v9, v9, v14
	ds_bpermute_b32 v14, v12, v9
	;; [unrolled: 43-line block ×5, first 2 shown]
	s_waitcnt lgkmcnt(0)
	v_add_f32_e32 v6, v6, v14
	ds_write_b32 v13, v6
	s_waitcnt lgkmcnt(0)
	s_barrier
	buffer_gl0_inv
	s_and_saveexec_b32 s0, vcc_lo
	s_cbranch_execz .LBB334_24
; %bb.23:
	ds_read_b32 v5, v5
	s_waitcnt lgkmcnt(0)
	ds_bpermute_b32 v1, v1, v5
	s_waitcnt lgkmcnt(0)
	v_add_f32_e32 v1, v5, v1
	ds_bpermute_b32 v3, v3, v1
	s_waitcnt lgkmcnt(0)
	v_add_f32_e32 v1, v1, v3
	;; [unrolled: 3-line block ×5, first 2 shown]
.LBB334_24:
	s_or_b32 exec_lo, exec_lo, s0
	s_barrier
	buffer_gl0_inv
	s_mov_b32 s0, exec_lo
	v_cmpx_gt_u32_e32 6, v0
	s_cbranch_execz .LBB334_26
; %bb.25:
	s_load_dwordx2 s[0:1], s[4:5], 0x38
	v_cmp_eq_u32_e32 vcc_lo, 1, v0
	s_mul_hi_i32 s3, s22, s10
	s_mul_i32 s2, s22, s10
	s_mul_i32 s4, s26, s7
	s_lshl_b64 s[2:3], s[2:3], 2
	v_cndmask_b32_e32 v3, v2, v10, vcc_lo
	v_cmp_eq_u32_e32 vcc_lo, 2, v0
	v_mad_u64_u32 v[1:2], null, s18, v0, s[6:7]
	s_ashr_i32 s5, s4, 31
	v_cndmask_b32_e32 v3, v3, v9, vcc_lo
	v_cmp_eq_u32_e32 vcc_lo, 3, v0
	v_ashrrev_i32_e32 v2, 31, v1
	v_cndmask_b32_e32 v3, v3, v8, vcc_lo
	v_cmp_eq_u32_e32 vcc_lo, 4, v0
	s_waitcnt lgkmcnt(0)
	s_add_u32 s2, s0, s2
	v_lshlrev_b64 v[1:2], 2, v[1:2]
	s_addc_u32 s3, s1, s3
	s_lshl_b64 s[0:1], s[4:5], 2
	v_cndmask_b32_e32 v3, v3, v7, vcc_lo
	v_cmp_eq_u32_e32 vcc_lo, 5, v0
	s_add_u32 s0, s2, s0
	s_addc_u32 s1, s3, s1
	v_cndmask_b32_e32 v3, v3, v6, vcc_lo
	v_add_co_u32 v0, vcc_lo, s0, v1
	v_add_co_ci_u32_e64 v1, null, s1, v2, vcc_lo
	global_store_dword v[0:1], v3, off
.LBB334_26:
	s_endpgm
	.section	.rodata,"a",@progbits
	.p2align	6, 0x0
	.amdhsa_kernel _ZL13mul_mat_vec_fI14__hip_bfloat16fLi6ELi224ELb0ELb0EEvPKT_PKfPKi31ggml_cuda_mm_fusion_args_devicePfi15HIP_vector_typeIjLj3EEiiiSB_iiiSB_iiii
		.amdhsa_group_segment_fixed_size 0
		.amdhsa_private_segment_fixed_size 0
		.amdhsa_kernarg_size 144
		.amdhsa_user_sgpr_count 6
		.amdhsa_user_sgpr_private_segment_buffer 1
		.amdhsa_user_sgpr_dispatch_ptr 0
		.amdhsa_user_sgpr_queue_ptr 0
		.amdhsa_user_sgpr_kernarg_segment_ptr 1
		.amdhsa_user_sgpr_dispatch_id 0
		.amdhsa_user_sgpr_flat_scratch_init 0
		.amdhsa_user_sgpr_private_segment_size 0
		.amdhsa_wavefront_size32 1
		.amdhsa_uses_dynamic_stack 0
		.amdhsa_system_sgpr_private_segment_wavefront_offset 0
		.amdhsa_system_sgpr_workgroup_id_x 1
		.amdhsa_system_sgpr_workgroup_id_y 1
		.amdhsa_system_sgpr_workgroup_id_z 1
		.amdhsa_system_sgpr_workgroup_info 0
		.amdhsa_system_vgpr_workitem_id 0
		.amdhsa_next_free_vgpr 27
		.amdhsa_next_free_sgpr 36
		.amdhsa_reserve_vcc 1
		.amdhsa_reserve_flat_scratch 0
		.amdhsa_float_round_mode_32 0
		.amdhsa_float_round_mode_16_64 0
		.amdhsa_float_denorm_mode_32 3
		.amdhsa_float_denorm_mode_16_64 3
		.amdhsa_dx10_clamp 1
		.amdhsa_ieee_mode 1
		.amdhsa_fp16_overflow 0
		.amdhsa_workgroup_processor_mode 1
		.amdhsa_memory_ordered 1
		.amdhsa_forward_progress 1
		.amdhsa_shared_vgpr_count 0
		.amdhsa_exception_fp_ieee_invalid_op 0
		.amdhsa_exception_fp_denorm_src 0
		.amdhsa_exception_fp_ieee_div_zero 0
		.amdhsa_exception_fp_ieee_overflow 0
		.amdhsa_exception_fp_ieee_underflow 0
		.amdhsa_exception_fp_ieee_inexact 0
		.amdhsa_exception_int_div_zero 0
	.end_amdhsa_kernel
	.section	.text._ZL13mul_mat_vec_fI14__hip_bfloat16fLi6ELi224ELb0ELb0EEvPKT_PKfPKi31ggml_cuda_mm_fusion_args_devicePfi15HIP_vector_typeIjLj3EEiiiSB_iiiSB_iiii,"axG",@progbits,_ZL13mul_mat_vec_fI14__hip_bfloat16fLi6ELi224ELb0ELb0EEvPKT_PKfPKi31ggml_cuda_mm_fusion_args_devicePfi15HIP_vector_typeIjLj3EEiiiSB_iiiSB_iiii,comdat
.Lfunc_end334:
	.size	_ZL13mul_mat_vec_fI14__hip_bfloat16fLi6ELi224ELb0ELb0EEvPKT_PKfPKi31ggml_cuda_mm_fusion_args_devicePfi15HIP_vector_typeIjLj3EEiiiSB_iiiSB_iiii, .Lfunc_end334-_ZL13mul_mat_vec_fI14__hip_bfloat16fLi6ELi224ELb0ELb0EEvPKT_PKfPKi31ggml_cuda_mm_fusion_args_devicePfi15HIP_vector_typeIjLj3EEiiiSB_iiiSB_iiii
                                        ; -- End function
	.set _ZL13mul_mat_vec_fI14__hip_bfloat16fLi6ELi224ELb0ELb0EEvPKT_PKfPKi31ggml_cuda_mm_fusion_args_devicePfi15HIP_vector_typeIjLj3EEiiiSB_iiiSB_iiii.num_vgpr, 27
	.set _ZL13mul_mat_vec_fI14__hip_bfloat16fLi6ELi224ELb0ELb0EEvPKT_PKfPKi31ggml_cuda_mm_fusion_args_devicePfi15HIP_vector_typeIjLj3EEiiiSB_iiiSB_iiii.num_agpr, 0
	.set _ZL13mul_mat_vec_fI14__hip_bfloat16fLi6ELi224ELb0ELb0EEvPKT_PKfPKi31ggml_cuda_mm_fusion_args_devicePfi15HIP_vector_typeIjLj3EEiiiSB_iiiSB_iiii.numbered_sgpr, 36
	.set _ZL13mul_mat_vec_fI14__hip_bfloat16fLi6ELi224ELb0ELb0EEvPKT_PKfPKi31ggml_cuda_mm_fusion_args_devicePfi15HIP_vector_typeIjLj3EEiiiSB_iiiSB_iiii.num_named_barrier, 0
	.set _ZL13mul_mat_vec_fI14__hip_bfloat16fLi6ELi224ELb0ELb0EEvPKT_PKfPKi31ggml_cuda_mm_fusion_args_devicePfi15HIP_vector_typeIjLj3EEiiiSB_iiiSB_iiii.private_seg_size, 0
	.set _ZL13mul_mat_vec_fI14__hip_bfloat16fLi6ELi224ELb0ELb0EEvPKT_PKfPKi31ggml_cuda_mm_fusion_args_devicePfi15HIP_vector_typeIjLj3EEiiiSB_iiiSB_iiii.uses_vcc, 1
	.set _ZL13mul_mat_vec_fI14__hip_bfloat16fLi6ELi224ELb0ELb0EEvPKT_PKfPKi31ggml_cuda_mm_fusion_args_devicePfi15HIP_vector_typeIjLj3EEiiiSB_iiiSB_iiii.uses_flat_scratch, 0
	.set _ZL13mul_mat_vec_fI14__hip_bfloat16fLi6ELi224ELb0ELb0EEvPKT_PKfPKi31ggml_cuda_mm_fusion_args_devicePfi15HIP_vector_typeIjLj3EEiiiSB_iiiSB_iiii.has_dyn_sized_stack, 0
	.set _ZL13mul_mat_vec_fI14__hip_bfloat16fLi6ELi224ELb0ELb0EEvPKT_PKfPKi31ggml_cuda_mm_fusion_args_devicePfi15HIP_vector_typeIjLj3EEiiiSB_iiiSB_iiii.has_recursion, 0
	.set _ZL13mul_mat_vec_fI14__hip_bfloat16fLi6ELi224ELb0ELb0EEvPKT_PKfPKi31ggml_cuda_mm_fusion_args_devicePfi15HIP_vector_typeIjLj3EEiiiSB_iiiSB_iiii.has_indirect_call, 0
	.section	.AMDGPU.csdata,"",@progbits
; Kernel info:
; codeLenInByte = 2504
; TotalNumSgprs: 38
; NumVgprs: 27
; ScratchSize: 0
; MemoryBound: 0
; FloatMode: 240
; IeeeMode: 1
; LDSByteSize: 0 bytes/workgroup (compile time only)
; SGPRBlocks: 0
; VGPRBlocks: 3
; NumSGPRsForWavesPerEU: 38
; NumVGPRsForWavesPerEU: 27
; Occupancy: 16
; WaveLimiterHint : 0
; COMPUTE_PGM_RSRC2:SCRATCH_EN: 0
; COMPUTE_PGM_RSRC2:USER_SGPR: 6
; COMPUTE_PGM_RSRC2:TRAP_HANDLER: 0
; COMPUTE_PGM_RSRC2:TGID_X_EN: 1
; COMPUTE_PGM_RSRC2:TGID_Y_EN: 1
; COMPUTE_PGM_RSRC2:TGID_Z_EN: 1
; COMPUTE_PGM_RSRC2:TIDIG_COMP_CNT: 0
	.section	.text._ZL13mul_mat_vec_fI14__hip_bfloat16fLi6ELi256ELb0ELb0EEvPKT_PKfPKi31ggml_cuda_mm_fusion_args_devicePfi15HIP_vector_typeIjLj3EEiiiSB_iiiSB_iiii,"axG",@progbits,_ZL13mul_mat_vec_fI14__hip_bfloat16fLi6ELi256ELb0ELb0EEvPKT_PKfPKi31ggml_cuda_mm_fusion_args_devicePfi15HIP_vector_typeIjLj3EEiiiSB_iiiSB_iiii,comdat
	.globl	_ZL13mul_mat_vec_fI14__hip_bfloat16fLi6ELi256ELb0ELb0EEvPKT_PKfPKi31ggml_cuda_mm_fusion_args_devicePfi15HIP_vector_typeIjLj3EEiiiSB_iiiSB_iiii ; -- Begin function _ZL13mul_mat_vec_fI14__hip_bfloat16fLi6ELi256ELb0ELb0EEvPKT_PKfPKi31ggml_cuda_mm_fusion_args_devicePfi15HIP_vector_typeIjLj3EEiiiSB_iiiSB_iiii
	.p2align	8
	.type	_ZL13mul_mat_vec_fI14__hip_bfloat16fLi6ELi256ELb0ELb0EEvPKT_PKfPKi31ggml_cuda_mm_fusion_args_devicePfi15HIP_vector_typeIjLj3EEiiiSB_iiiSB_iiii,@function
_ZL13mul_mat_vec_fI14__hip_bfloat16fLi6ELi256ELb0ELb0EEvPKT_PKfPKi31ggml_cuda_mm_fusion_args_devicePfi15HIP_vector_typeIjLj3EEiiiSB_iiiSB_iiii: ; @_ZL13mul_mat_vec_fI14__hip_bfloat16fLi6ELi256ELb0ELb0EEvPKT_PKfPKi31ggml_cuda_mm_fusion_args_devicePfi15HIP_vector_typeIjLj3EEiiiSB_iiiSB_iiii
; %bb.0:
	s_clause 0x2
	s_load_dwordx2 s[0:1], s[4:5], 0x10
	s_load_dwordx8 s[12:19], s[4:5], 0x40
	s_load_dwordx4 s[20:23], s[4:5], 0x80
	s_waitcnt lgkmcnt(0)
	s_cmp_eq_u64 s[0:1], 0
	s_cselect_b32 s10, -1, 0
	s_cmp_lg_u64 s[0:1], 0
	s_cselect_b32 s11, -1, 0
	s_and_b32 vcc_lo, exec_lo, s10
	s_cbranch_vccnz .LBB335_2
; %bb.1:
	s_mul_i32 s2, s23, s8
	s_mov_b32 s3, 0
	s_add_i32 s2, s2, s7
	s_lshl_b64 s[24:25], s[2:3], 2
	s_add_u32 s0, s0, s24
	s_addc_u32 s1, s1, s25
	s_load_dword s9, s[0:1], 0x0
	s_cbranch_execz .LBB335_3
	s_branch .LBB335_4
.LBB335_2:
                                        ; implicit-def: $sgpr9
.LBB335_3:
	s_load_dwordx2 s[0:1], s[4:5], 0x5c
	s_waitcnt lgkmcnt(0)
	s_mul_hi_u32 s0, s0, s7
	s_add_i32 s0, s7, s0
	s_lshr_b32 s9, s0, s1
.LBB335_4:
	s_load_dwordx4 s[24:27], s[4:5], 0x68
	s_andn2_b32 vcc_lo, exec_lo, s11
	s_mov_b32 s19, s7
	s_cbranch_vccnz .LBB335_6
; %bb.5:
	s_mul_hi_u32 s0, s13, s7
	s_add_i32 s0, s7, s0
	s_lshr_b32 s0, s0, s14
	s_mul_i32 s0, s0, s15
	s_sub_i32 s19, s7, s0
.LBB335_6:
	s_load_dword s14, s[4:5], 0x78
	v_cmp_gt_u32_e32 vcc_lo, 32, v0
	v_lshl_add_u32 v5, v0, 2, 0
	s_and_saveexec_b32 s0, vcc_lo
; %bb.7:
	v_mov_b32_e32 v1, 0
	ds_write_b32 v5, v1
; %bb.8:
	s_or_b32 exec_lo, exec_lo, s0
	v_mov_b32_e32 v6, 0
	v_mov_b32_e32 v7, 0
	;; [unrolled: 1-line block ×6, first 2 shown]
	s_and_b32 s0, exec_lo, s10
	s_mov_b32 s11, 0
	s_cselect_b32 s10, s8, 0
	s_mov_b32 s13, exec_lo
	s_waitcnt lgkmcnt(0)
	s_barrier
	buffer_gl0_inv
	v_cmpx_gt_i32_e64 s12, v0
	s_cbranch_execz .LBB335_12
; %bb.9:
	s_load_dwordx4 s[0:3], s[4:5], 0x0
	s_mul_hi_u32 s15, s27, s10
	s_mul_hi_i32 s29, s21, s10
	s_mul_i32 s28, s21, s10
	s_mul_i32 s8, s9, s24
	;; [unrolled: 1-line block ×4, first 2 shown]
	s_add_i32 s15, s10, s15
	s_lshl_b64 s[28:29], s[28:29], 2
	s_ashr_i32 s9, s8, 31
	s_ashr_i32 s25, s24, 31
	;; [unrolled: 1-line block ×3, first 2 shown]
	s_lshr_b32 s14, s15, s14
	s_mov_b32 s34, s17
	s_mul_hi_i32 s21, s14, s20
	s_mul_i32 s20, s14, s20
	v_lshlrev_b32_e32 v2, 3, v0
	v_lshlrev_b32_e32 v1, 2, v0
	v_mov_b32_e32 v11, 0
	v_mov_b32_e32 v12, v0
	s_waitcnt lgkmcnt(0)
	s_add_u32 s15, s2, s28
	s_addc_u32 s16, s3, s29
	s_lshl_b64 s[30:31], s[30:31], 2
	v_mov_b32_e32 v10, 0
	s_add_u32 s14, s15, s30
	s_addc_u32 s15, s16, s31
	s_lshl_b64 s[8:9], s[8:9], 1
	s_ashr_i32 s35, s17, 31
	s_add_i32 s16, s17, s17
	s_lshl_b32 s19, s17, 2
	s_lshl_b64 s[20:21], s[20:21], 1
	s_lshl_b64 s[24:25], s[24:25], 1
	s_add_u32 s0, s0, s8
	s_addc_u32 s1, s1, s9
	s_add_u32 s0, s0, s24
	s_addc_u32 s1, s1, s25
	;; [unrolled: 2-line block ×3, first 2 shown]
	s_lshl_b64 s[8:9], s[34:35], 3
	s_add_u32 s2, s2, s30
	s_addc_u32 s3, s3, s31
	s_add_u32 s2, s2, s28
	s_addc_u32 s3, s3, s29
	v_add_co_u32 v3, s2, s2, v2
	v_add_co_ci_u32_e64 v4, null, s3, 0, s2
	v_add_co_u32 v1, s0, s0, v1
	v_add_co_ci_u32_e64 v2, null, s1, 0, s0
	;; [unrolled: 2-line block ×3, first 2 shown]
	v_mov_b32_e32 v9, 0
	v_mov_b32_e32 v8, 0
	;; [unrolled: 1-line block ×4, first 2 shown]
	s_mul_i32 s1, s17, 3
	s_mul_i32 s2, s17, 5
.LBB335_10:                             ; =>This Inner Loop Header: Depth=1
	v_add_nc_u32_e32 v15, s16, v12
	v_add_nc_u32_e32 v19, s1, v12
	;; [unrolled: 1-line block ×4, first 2 shown]
	v_add_co_u32 v17, s0, v3, s8
	v_ashrrev_i32_e32 v16, 31, v15
	v_ashrrev_i32_e32 v20, 31, v19
	;; [unrolled: 1-line block ×4, first 2 shown]
	v_add_co_ci_u32_e64 v18, null, s9, v4, s0
	v_lshlrev_b64 v[15:16], 3, v[15:16]
	v_lshlrev_b64 v[19:20], 3, v[19:20]
	;; [unrolled: 1-line block ×4, first 2 shown]
	global_load_dword v25, v[1:2], off
	global_load_dwordx2 v[13:14], v[3:4], off offset:-4
	v_add_nc_u32_e32 v12, 0x100, v12
	v_add_co_u32 v15, s0, s14, v15
	v_add_co_ci_u32_e64 v16, null, s15, v16, s0
	v_add_co_u32 v19, s0, s14, v19
	v_add_co_ci_u32_e64 v20, null, s15, v20, s0
	;; [unrolled: 2-line block ×4, first 2 shown]
	global_load_dwordx2 v[17:18], v[17:18], off offset:-4
	s_clause 0x3
	global_load_dwordx2 v[15:16], v[15:16], off
	global_load_dwordx2 v[19:20], v[19:20], off
	;; [unrolled: 1-line block ×4, first 2 shown]
	v_add_co_u32 v1, s0, 0x400, v1
	v_add_co_ci_u32_e64 v2, null, 0, v2, s0
	v_add_co_u32 v3, s0, 0x800, v3
	v_add_co_ci_u32_e64 v4, null, 0, v4, s0
	v_cmp_le_i32_e64 s0, s12, v12
	s_or_b32 s11, s0, s11
	s_waitcnt vmcnt(6)
	v_lshlrev_b32_e32 v26, 16, v25
	v_and_b32_e32 v25, 0xffff0000, v25
	s_waitcnt vmcnt(5)
	v_fmac_f32_e32 v11, v13, v26
	v_fmac_f32_e32 v11, v14, v25
	s_waitcnt vmcnt(4)
	v_fmac_f32_e32 v10, v17, v26
	s_waitcnt vmcnt(3)
	;; [unrolled: 2-line block ×5, first 2 shown]
	v_fmac_f32_e32 v6, v23, v26
	v_fmac_f32_e32 v10, v18, v25
	;; [unrolled: 1-line block ×6, first 2 shown]
	s_andn2_b32 exec_lo, exec_lo, s11
	s_cbranch_execnz .LBB335_10
; %bb.11:
	s_or_b32 exec_lo, exec_lo, s11
.LBB335_12:
	s_or_b32 exec_lo, exec_lo, s13
	v_mbcnt_lo_u32_b32 v2, -1, 0
	v_xor_b32_e32 v1, 16, v2
	v_xor_b32_e32 v3, 8, v2
	v_cmp_gt_i32_e64 s0, 32, v1
	v_cndmask_b32_e64 v1, v2, v1, s0
	v_cmp_gt_i32_e64 s0, 32, v3
	v_lshlrev_b32_e32 v1, 2, v1
	v_cndmask_b32_e64 v3, v2, v3, s0
	ds_bpermute_b32 v4, v1, v11
	v_lshlrev_b32_e32 v3, 2, v3
	s_waitcnt lgkmcnt(0)
	v_add_f32_e32 v11, v11, v4
	v_xor_b32_e32 v4, 4, v2
	ds_bpermute_b32 v12, v3, v11
	v_cmp_gt_i32_e64 s0, 32, v4
	v_cndmask_b32_e64 v4, v2, v4, s0
	v_lshlrev_b32_e32 v4, 2, v4
	s_waitcnt lgkmcnt(0)
	v_add_f32_e32 v12, v11, v12
	v_xor_b32_e32 v11, 2, v2
	ds_bpermute_b32 v13, v4, v12
	v_cmp_gt_i32_e64 s0, 32, v11
	v_cndmask_b32_e64 v11, v2, v11, s0
	;; [unrolled: 7-line block ×3, first 2 shown]
	v_lshlrev_b32_e32 v12, 2, v2
	s_waitcnt lgkmcnt(0)
	v_add_f32_e32 v2, v13, v14
	v_lshrrev_b32_e32 v13, 3, v0
	ds_bpermute_b32 v14, v12, v2
	v_and_b32_e32 v13, 0x7c, v13
	v_add_nc_u32_e32 v13, 0, v13
	s_waitcnt lgkmcnt(0)
	v_add_f32_e32 v2, v2, v14
	ds_write_b32 v13, v2
	s_waitcnt lgkmcnt(0)
	s_barrier
	buffer_gl0_inv
	s_and_saveexec_b32 s0, vcc_lo
	s_cbranch_execz .LBB335_14
; %bb.13:
	ds_read_b32 v2, v5
	s_waitcnt lgkmcnt(0)
	ds_bpermute_b32 v14, v1, v2
	s_waitcnt lgkmcnt(0)
	v_add_f32_e32 v2, v2, v14
	ds_bpermute_b32 v14, v3, v2
	s_waitcnt lgkmcnt(0)
	v_add_f32_e32 v2, v2, v14
	ds_bpermute_b32 v14, v4, v2
	s_waitcnt lgkmcnt(0)
	v_add_f32_e32 v2, v2, v14
	ds_bpermute_b32 v14, v11, v2
	s_waitcnt lgkmcnt(0)
	v_add_f32_e32 v2, v2, v14
	ds_bpermute_b32 v14, v12, v2
	s_waitcnt lgkmcnt(0)
	v_add_f32_e32 v2, v2, v14
.LBB335_14:
	s_or_b32 exec_lo, exec_lo, s0
	ds_bpermute_b32 v14, v1, v10
	s_waitcnt lgkmcnt(0)
	s_barrier
	buffer_gl0_inv
	v_add_f32_e32 v10, v10, v14
	ds_bpermute_b32 v14, v3, v10
	s_waitcnt lgkmcnt(0)
	v_add_f32_e32 v10, v10, v14
	ds_bpermute_b32 v14, v4, v10
	s_waitcnt lgkmcnt(0)
	v_add_f32_e32 v10, v10, v14
	ds_bpermute_b32 v14, v11, v10
	s_waitcnt lgkmcnt(0)
	v_add_f32_e32 v10, v10, v14
	ds_bpermute_b32 v14, v12, v10
	s_waitcnt lgkmcnt(0)
	v_add_f32_e32 v10, v10, v14
	ds_write_b32 v13, v10
	s_waitcnt lgkmcnt(0)
	s_barrier
	buffer_gl0_inv
	s_and_saveexec_b32 s0, vcc_lo
	s_cbranch_execz .LBB335_16
; %bb.15:
	ds_read_b32 v10, v5
	s_waitcnt lgkmcnt(0)
	ds_bpermute_b32 v14, v1, v10
	s_waitcnt lgkmcnt(0)
	v_add_f32_e32 v10, v10, v14
	ds_bpermute_b32 v14, v3, v10
	s_waitcnt lgkmcnt(0)
	v_add_f32_e32 v10, v10, v14
	ds_bpermute_b32 v14, v4, v10
	s_waitcnt lgkmcnt(0)
	v_add_f32_e32 v10, v10, v14
	ds_bpermute_b32 v14, v11, v10
	s_waitcnt lgkmcnt(0)
	v_add_f32_e32 v10, v10, v14
	ds_bpermute_b32 v14, v12, v10
	s_waitcnt lgkmcnt(0)
	v_add_f32_e32 v10, v10, v14
.LBB335_16:
	s_or_b32 exec_lo, exec_lo, s0
	ds_bpermute_b32 v14, v1, v9
	s_waitcnt lgkmcnt(0)
	s_barrier
	buffer_gl0_inv
	v_add_f32_e32 v9, v9, v14
	ds_bpermute_b32 v14, v3, v9
	s_waitcnt lgkmcnt(0)
	v_add_f32_e32 v9, v9, v14
	ds_bpermute_b32 v14, v4, v9
	s_waitcnt lgkmcnt(0)
	v_add_f32_e32 v9, v9, v14
	ds_bpermute_b32 v14, v11, v9
	s_waitcnt lgkmcnt(0)
	v_add_f32_e32 v9, v9, v14
	ds_bpermute_b32 v14, v12, v9
	;; [unrolled: 43-line block ×5, first 2 shown]
	s_waitcnt lgkmcnt(0)
	v_add_f32_e32 v6, v6, v14
	ds_write_b32 v13, v6
	s_waitcnt lgkmcnt(0)
	s_barrier
	buffer_gl0_inv
	s_and_saveexec_b32 s0, vcc_lo
	s_cbranch_execz .LBB335_24
; %bb.23:
	ds_read_b32 v5, v5
	s_waitcnt lgkmcnt(0)
	ds_bpermute_b32 v1, v1, v5
	s_waitcnt lgkmcnt(0)
	v_add_f32_e32 v1, v5, v1
	ds_bpermute_b32 v3, v3, v1
	s_waitcnt lgkmcnt(0)
	v_add_f32_e32 v1, v1, v3
	ds_bpermute_b32 v3, v4, v1
	s_waitcnt lgkmcnt(0)
	v_add_f32_e32 v1, v1, v3
	ds_bpermute_b32 v3, v11, v1
	s_waitcnt lgkmcnt(0)
	v_add_f32_e32 v1, v1, v3
	ds_bpermute_b32 v3, v12, v1
	s_waitcnt lgkmcnt(0)
	v_add_f32_e32 v6, v1, v3
.LBB335_24:
	s_or_b32 exec_lo, exec_lo, s0
	s_barrier
	buffer_gl0_inv
	s_mov_b32 s0, exec_lo
	v_cmpx_gt_u32_e32 6, v0
	s_cbranch_execz .LBB335_26
; %bb.25:
	s_load_dwordx2 s[0:1], s[4:5], 0x38
	v_cmp_eq_u32_e32 vcc_lo, 1, v0
	s_mul_hi_i32 s3, s22, s10
	s_mul_i32 s2, s22, s10
	s_mul_i32 s4, s26, s7
	s_lshl_b64 s[2:3], s[2:3], 2
	v_cndmask_b32_e32 v3, v2, v10, vcc_lo
	v_cmp_eq_u32_e32 vcc_lo, 2, v0
	v_mad_u64_u32 v[1:2], null, s18, v0, s[6:7]
	s_ashr_i32 s5, s4, 31
	v_cndmask_b32_e32 v3, v3, v9, vcc_lo
	v_cmp_eq_u32_e32 vcc_lo, 3, v0
	v_ashrrev_i32_e32 v2, 31, v1
	v_cndmask_b32_e32 v3, v3, v8, vcc_lo
	v_cmp_eq_u32_e32 vcc_lo, 4, v0
	s_waitcnt lgkmcnt(0)
	s_add_u32 s2, s0, s2
	v_lshlrev_b64 v[1:2], 2, v[1:2]
	s_addc_u32 s3, s1, s3
	s_lshl_b64 s[0:1], s[4:5], 2
	v_cndmask_b32_e32 v3, v3, v7, vcc_lo
	v_cmp_eq_u32_e32 vcc_lo, 5, v0
	s_add_u32 s0, s2, s0
	s_addc_u32 s1, s3, s1
	v_cndmask_b32_e32 v3, v3, v6, vcc_lo
	v_add_co_u32 v0, vcc_lo, s0, v1
	v_add_co_ci_u32_e64 v1, null, s1, v2, vcc_lo
	global_store_dword v[0:1], v3, off
.LBB335_26:
	s_endpgm
	.section	.rodata,"a",@progbits
	.p2align	6, 0x0
	.amdhsa_kernel _ZL13mul_mat_vec_fI14__hip_bfloat16fLi6ELi256ELb0ELb0EEvPKT_PKfPKi31ggml_cuda_mm_fusion_args_devicePfi15HIP_vector_typeIjLj3EEiiiSB_iiiSB_iiii
		.amdhsa_group_segment_fixed_size 0
		.amdhsa_private_segment_fixed_size 0
		.amdhsa_kernarg_size 144
		.amdhsa_user_sgpr_count 6
		.amdhsa_user_sgpr_private_segment_buffer 1
		.amdhsa_user_sgpr_dispatch_ptr 0
		.amdhsa_user_sgpr_queue_ptr 0
		.amdhsa_user_sgpr_kernarg_segment_ptr 1
		.amdhsa_user_sgpr_dispatch_id 0
		.amdhsa_user_sgpr_flat_scratch_init 0
		.amdhsa_user_sgpr_private_segment_size 0
		.amdhsa_wavefront_size32 1
		.amdhsa_uses_dynamic_stack 0
		.amdhsa_system_sgpr_private_segment_wavefront_offset 0
		.amdhsa_system_sgpr_workgroup_id_x 1
		.amdhsa_system_sgpr_workgroup_id_y 1
		.amdhsa_system_sgpr_workgroup_id_z 1
		.amdhsa_system_sgpr_workgroup_info 0
		.amdhsa_system_vgpr_workitem_id 0
		.amdhsa_next_free_vgpr 27
		.amdhsa_next_free_sgpr 36
		.amdhsa_reserve_vcc 1
		.amdhsa_reserve_flat_scratch 0
		.amdhsa_float_round_mode_32 0
		.amdhsa_float_round_mode_16_64 0
		.amdhsa_float_denorm_mode_32 3
		.amdhsa_float_denorm_mode_16_64 3
		.amdhsa_dx10_clamp 1
		.amdhsa_ieee_mode 1
		.amdhsa_fp16_overflow 0
		.amdhsa_workgroup_processor_mode 1
		.amdhsa_memory_ordered 1
		.amdhsa_forward_progress 1
		.amdhsa_shared_vgpr_count 0
		.amdhsa_exception_fp_ieee_invalid_op 0
		.amdhsa_exception_fp_denorm_src 0
		.amdhsa_exception_fp_ieee_div_zero 0
		.amdhsa_exception_fp_ieee_overflow 0
		.amdhsa_exception_fp_ieee_underflow 0
		.amdhsa_exception_fp_ieee_inexact 0
		.amdhsa_exception_int_div_zero 0
	.end_amdhsa_kernel
	.section	.text._ZL13mul_mat_vec_fI14__hip_bfloat16fLi6ELi256ELb0ELb0EEvPKT_PKfPKi31ggml_cuda_mm_fusion_args_devicePfi15HIP_vector_typeIjLj3EEiiiSB_iiiSB_iiii,"axG",@progbits,_ZL13mul_mat_vec_fI14__hip_bfloat16fLi6ELi256ELb0ELb0EEvPKT_PKfPKi31ggml_cuda_mm_fusion_args_devicePfi15HIP_vector_typeIjLj3EEiiiSB_iiiSB_iiii,comdat
.Lfunc_end335:
	.size	_ZL13mul_mat_vec_fI14__hip_bfloat16fLi6ELi256ELb0ELb0EEvPKT_PKfPKi31ggml_cuda_mm_fusion_args_devicePfi15HIP_vector_typeIjLj3EEiiiSB_iiiSB_iiii, .Lfunc_end335-_ZL13mul_mat_vec_fI14__hip_bfloat16fLi6ELi256ELb0ELb0EEvPKT_PKfPKi31ggml_cuda_mm_fusion_args_devicePfi15HIP_vector_typeIjLj3EEiiiSB_iiiSB_iiii
                                        ; -- End function
	.set _ZL13mul_mat_vec_fI14__hip_bfloat16fLi6ELi256ELb0ELb0EEvPKT_PKfPKi31ggml_cuda_mm_fusion_args_devicePfi15HIP_vector_typeIjLj3EEiiiSB_iiiSB_iiii.num_vgpr, 27
	.set _ZL13mul_mat_vec_fI14__hip_bfloat16fLi6ELi256ELb0ELb0EEvPKT_PKfPKi31ggml_cuda_mm_fusion_args_devicePfi15HIP_vector_typeIjLj3EEiiiSB_iiiSB_iiii.num_agpr, 0
	.set _ZL13mul_mat_vec_fI14__hip_bfloat16fLi6ELi256ELb0ELb0EEvPKT_PKfPKi31ggml_cuda_mm_fusion_args_devicePfi15HIP_vector_typeIjLj3EEiiiSB_iiiSB_iiii.numbered_sgpr, 36
	.set _ZL13mul_mat_vec_fI14__hip_bfloat16fLi6ELi256ELb0ELb0EEvPKT_PKfPKi31ggml_cuda_mm_fusion_args_devicePfi15HIP_vector_typeIjLj3EEiiiSB_iiiSB_iiii.num_named_barrier, 0
	.set _ZL13mul_mat_vec_fI14__hip_bfloat16fLi6ELi256ELb0ELb0EEvPKT_PKfPKi31ggml_cuda_mm_fusion_args_devicePfi15HIP_vector_typeIjLj3EEiiiSB_iiiSB_iiii.private_seg_size, 0
	.set _ZL13mul_mat_vec_fI14__hip_bfloat16fLi6ELi256ELb0ELb0EEvPKT_PKfPKi31ggml_cuda_mm_fusion_args_devicePfi15HIP_vector_typeIjLj3EEiiiSB_iiiSB_iiii.uses_vcc, 1
	.set _ZL13mul_mat_vec_fI14__hip_bfloat16fLi6ELi256ELb0ELb0EEvPKT_PKfPKi31ggml_cuda_mm_fusion_args_devicePfi15HIP_vector_typeIjLj3EEiiiSB_iiiSB_iiii.uses_flat_scratch, 0
	.set _ZL13mul_mat_vec_fI14__hip_bfloat16fLi6ELi256ELb0ELb0EEvPKT_PKfPKi31ggml_cuda_mm_fusion_args_devicePfi15HIP_vector_typeIjLj3EEiiiSB_iiiSB_iiii.has_dyn_sized_stack, 0
	.set _ZL13mul_mat_vec_fI14__hip_bfloat16fLi6ELi256ELb0ELb0EEvPKT_PKfPKi31ggml_cuda_mm_fusion_args_devicePfi15HIP_vector_typeIjLj3EEiiiSB_iiiSB_iiii.has_recursion, 0
	.set _ZL13mul_mat_vec_fI14__hip_bfloat16fLi6ELi256ELb0ELb0EEvPKT_PKfPKi31ggml_cuda_mm_fusion_args_devicePfi15HIP_vector_typeIjLj3EEiiiSB_iiiSB_iiii.has_indirect_call, 0
	.section	.AMDGPU.csdata,"",@progbits
; Kernel info:
; codeLenInByte = 2504
; TotalNumSgprs: 38
; NumVgprs: 27
; ScratchSize: 0
; MemoryBound: 0
; FloatMode: 240
; IeeeMode: 1
; LDSByteSize: 0 bytes/workgroup (compile time only)
; SGPRBlocks: 0
; VGPRBlocks: 3
; NumSGPRsForWavesPerEU: 38
; NumVGPRsForWavesPerEU: 27
; Occupancy: 16
; WaveLimiterHint : 0
; COMPUTE_PGM_RSRC2:SCRATCH_EN: 0
; COMPUTE_PGM_RSRC2:USER_SGPR: 6
; COMPUTE_PGM_RSRC2:TRAP_HANDLER: 0
; COMPUTE_PGM_RSRC2:TGID_X_EN: 1
; COMPUTE_PGM_RSRC2:TGID_Y_EN: 1
; COMPUTE_PGM_RSRC2:TGID_Z_EN: 1
; COMPUTE_PGM_RSRC2:TIDIG_COMP_CNT: 0
	.section	.text._ZL13mul_mat_vec_fI14__hip_bfloat16fLi7ELi32ELb0ELb0EEvPKT_PKfPKi31ggml_cuda_mm_fusion_args_devicePfi15HIP_vector_typeIjLj3EEiiiSB_iiiSB_iiii,"axG",@progbits,_ZL13mul_mat_vec_fI14__hip_bfloat16fLi7ELi32ELb0ELb0EEvPKT_PKfPKi31ggml_cuda_mm_fusion_args_devicePfi15HIP_vector_typeIjLj3EEiiiSB_iiiSB_iiii,comdat
	.globl	_ZL13mul_mat_vec_fI14__hip_bfloat16fLi7ELi32ELb0ELb0EEvPKT_PKfPKi31ggml_cuda_mm_fusion_args_devicePfi15HIP_vector_typeIjLj3EEiiiSB_iiiSB_iiii ; -- Begin function _ZL13mul_mat_vec_fI14__hip_bfloat16fLi7ELi32ELb0ELb0EEvPKT_PKfPKi31ggml_cuda_mm_fusion_args_devicePfi15HIP_vector_typeIjLj3EEiiiSB_iiiSB_iiii
	.p2align	8
	.type	_ZL13mul_mat_vec_fI14__hip_bfloat16fLi7ELi32ELb0ELb0EEvPKT_PKfPKi31ggml_cuda_mm_fusion_args_devicePfi15HIP_vector_typeIjLj3EEiiiSB_iiiSB_iiii,@function
_ZL13mul_mat_vec_fI14__hip_bfloat16fLi7ELi32ELb0ELb0EEvPKT_PKfPKi31ggml_cuda_mm_fusion_args_devicePfi15HIP_vector_typeIjLj3EEiiiSB_iiiSB_iiii: ; @_ZL13mul_mat_vec_fI14__hip_bfloat16fLi7ELi32ELb0ELb0EEvPKT_PKfPKi31ggml_cuda_mm_fusion_args_devicePfi15HIP_vector_typeIjLj3EEiiiSB_iiiSB_iiii
; %bb.0:
	s_clause 0x2
	s_load_dwordx2 s[20:21], s[4:5], 0x10
	s_load_dwordx8 s[12:19], s[4:5], 0x40
	s_load_dwordx4 s[0:3], s[4:5], 0x80
	s_waitcnt lgkmcnt(0)
	s_cmp_eq_u64 s[20:21], 0
	s_cselect_b32 s9, -1, 0
	s_cmp_lg_u64 s[20:21], 0
	s_cselect_b32 s25, -1, 0
	s_and_b32 vcc_lo, exec_lo, s9
	s_cbranch_vccnz .LBB336_2
; %bb.1:
	s_mul_i32 s3, s3, s8
	s_mov_b32 s11, 0
	s_add_i32 s10, s3, s7
	s_lshl_b64 s[22:23], s[10:11], 2
	s_add_u32 s20, s20, s22
	s_addc_u32 s21, s21, s23
	s_load_dword s24, s[20:21], 0x0
	s_load_dwordx4 s[20:23], s[4:5], 0x68
	s_cbranch_execz .LBB336_3
	s_branch .LBB336_4
.LBB336_2:
                                        ; implicit-def: $sgpr24
	s_load_dwordx4 s[20:23], s[4:5], 0x68
.LBB336_3:
	s_load_dwordx2 s[10:11], s[4:5], 0x5c
	s_waitcnt lgkmcnt(0)
	s_mul_hi_u32 s3, s10, s7
	s_add_i32 s3, s7, s3
	s_lshr_b32 s24, s3, s11
.LBB336_4:
	s_load_dword s19, s[4:5], 0x78
	s_andn2_b32 vcc_lo, exec_lo, s25
	s_mov_b32 s25, s7
	s_cbranch_vccnz .LBB336_6
; %bb.5:
	s_mul_hi_u32 s3, s13, s7
	s_add_i32 s3, s7, s3
	s_lshr_b32 s3, s3, s14
	s_mul_i32 s3, s3, s15
	s_sub_i32 s25, s7, s3
.LBB336_6:
	v_mov_b32_e32 v6, 0
	v_mov_b32_e32 v7, 0
	;; [unrolled: 1-line block ×7, first 2 shown]
	s_and_b32 s3, exec_lo, s9
	s_mov_b32 s14, 0
	s_cselect_b32 s3, s8, 0
	s_mov_b32 s13, exec_lo
	v_cmpx_gt_i32_e64 s12, v0
	s_cbranch_execz .LBB336_10
; %bb.7:
	s_load_dwordx4 s[8:11], s[4:5], 0x0
	s_waitcnt lgkmcnt(0)
	s_mul_hi_u32 s15, s23, s3
	s_mul_hi_i32 s29, s1, s3
	s_mul_i32 s28, s1, s3
	s_mul_i32 s24, s24, s20
	;; [unrolled: 1-line block ×4, first 2 shown]
	s_add_i32 s1, s3, s15
	s_lshl_b64 s[28:29], s[28:29], 2
	s_ashr_i32 s25, s24, 31
	s_ashr_i32 s27, s26, 31
	;; [unrolled: 1-line block ×3, first 2 shown]
	s_lshr_b32 s15, s1, s19
	s_mov_b32 s30, s17
	s_mul_hi_i32 s1, s15, s0
	s_mul_i32 s0, s15, s0
	v_lshlrev_b32_e32 v2, 3, v0
	v_lshlrev_b32_e32 v1, 2, v0
	v_mov_b32_e32 v5, 0
	v_mov_b32_e32 v12, v0
	s_add_u32 s16, s10, s28
	s_addc_u32 s19, s11, s29
	s_lshl_b64 s[34:35], s[20:21], 2
	v_mov_b32_e32 v11, 0
	s_add_u32 s15, s16, s34
	s_addc_u32 s16, s19, s35
	s_lshl_b64 s[24:25], s[24:25], 1
	s_ashr_i32 s31, s17, 31
	s_add_i32 s19, s17, s17
	s_lshl_b32 s20, s17, 2
	s_lshl_b64 s[0:1], s[0:1], 1
	s_lshl_b64 s[26:27], s[26:27], 1
	s_add_u32 s8, s8, s24
	s_addc_u32 s9, s9, s25
	s_add_u32 s8, s8, s26
	s_addc_u32 s9, s9, s27
	;; [unrolled: 2-line block ×3, first 2 shown]
	s_lshl_b64 s[0:1], s[30:31], 3
	s_add_u32 s10, s10, s34
	s_addc_u32 s11, s11, s35
	s_add_u32 s10, s10, s28
	s_addc_u32 s11, s11, s29
	v_add_co_u32 v3, s10, s10, v2
	v_add_co_ci_u32_e64 v4, null, s11, 0, s10
	v_add_co_u32 v1, s8, s8, v1
	v_add_co_u32 v3, vcc_lo, v3, 4
	v_add_co_ci_u32_e64 v2, null, s9, 0, s8
	v_add_co_ci_u32_e64 v4, null, 0, v4, vcc_lo
	v_mov_b32_e32 v10, 0
	v_mov_b32_e32 v9, 0
	;; [unrolled: 1-line block ×5, first 2 shown]
	s_mul_i32 s8, s17, 3
	s_mul_i32 s9, s17, 5
	;; [unrolled: 1-line block ×3, first 2 shown]
.LBB336_8:                              ; =>This Inner Loop Header: Depth=1
	v_add_nc_u32_e32 v17, s19, v12
	v_add_nc_u32_e32 v19, s8, v12
	;; [unrolled: 1-line block ×5, first 2 shown]
	v_ashrrev_i32_e32 v18, 31, v17
	v_ashrrev_i32_e32 v20, 31, v19
	;; [unrolled: 1-line block ×5, first 2 shown]
	v_lshlrev_b64 v[17:18], 3, v[17:18]
	v_lshlrev_b64 v[19:20], 3, v[19:20]
	v_add_co_u32 v15, vcc_lo, v3, s0
	v_lshlrev_b64 v[21:22], 3, v[21:22]
	v_add_co_ci_u32_e64 v16, null, s1, v4, vcc_lo
	v_lshlrev_b64 v[23:24], 3, v[23:24]
	v_add_co_u32 v17, vcc_lo, s15, v17
	v_lshlrev_b64 v[25:26], 3, v[25:26]
	v_add_co_ci_u32_e64 v18, null, s16, v18, vcc_lo
	v_add_co_u32 v19, vcc_lo, s15, v19
	v_add_co_ci_u32_e64 v20, null, s16, v20, vcc_lo
	v_add_co_u32 v21, vcc_lo, s15, v21
	v_add_co_ci_u32_e64 v22, null, s16, v22, vcc_lo
	v_add_co_u32 v23, vcc_lo, s15, v23
	global_load_dword v27, v[1:2], off
	global_load_dwordx2 v[13:14], v[3:4], off offset:-4
	v_add_co_ci_u32_e64 v24, null, s16, v24, vcc_lo
	v_add_co_u32 v25, vcc_lo, s15, v25
	v_add_co_ci_u32_e64 v26, null, s16, v26, vcc_lo
	global_load_dwordx2 v[15:16], v[15:16], off offset:-4
	s_clause 0x4
	global_load_dwordx2 v[17:18], v[17:18], off
	global_load_dwordx2 v[19:20], v[19:20], off
	;; [unrolled: 1-line block ×5, first 2 shown]
	v_add_nc_u32_e32 v12, 32, v12
	v_add_co_u32 v1, vcc_lo, 0x80, v1
	v_add_co_ci_u32_e64 v2, null, 0, v2, vcc_lo
	v_add_co_u32 v3, vcc_lo, 0x100, v3
	v_add_co_ci_u32_e64 v4, null, 0, v4, vcc_lo
	v_cmp_le_i32_e32 vcc_lo, s12, v12
	s_or_b32 s14, vcc_lo, s14
	s_waitcnt vmcnt(7)
	v_lshlrev_b32_e32 v28, 16, v27
	v_and_b32_e32 v27, 0xffff0000, v27
	s_waitcnt vmcnt(6)
	v_fmac_f32_e32 v5, v13, v28
	s_waitcnt vmcnt(4)
	v_fmac_f32_e32 v10, v17, v28
	;; [unrolled: 2-line block ×3, first 2 shown]
	v_fmac_f32_e32 v11, v15, v28
	s_waitcnt vmcnt(2)
	v_fmac_f32_e32 v8, v21, v28
	s_waitcnt vmcnt(1)
	;; [unrolled: 2-line block ×3, first 2 shown]
	v_fmac_f32_e32 v6, v25, v28
	v_fmac_f32_e32 v5, v14, v27
	;; [unrolled: 1-line block ×8, first 2 shown]
	s_andn2_b32 exec_lo, exec_lo, s14
	s_cbranch_execnz .LBB336_8
; %bb.9:
	s_or_b32 exec_lo, exec_lo, s14
.LBB336_10:
	s_or_b32 exec_lo, exec_lo, s13
	v_mbcnt_lo_u32_b32 v1, -1, 0
	s_mov_b32 s0, exec_lo
	v_xor_b32_e32 v2, 16, v1
	v_xor_b32_e32 v16, 8, v1
	v_cmp_gt_i32_e32 vcc_lo, 32, v2
	v_cndmask_b32_e32 v2, v1, v2, vcc_lo
	v_cmp_gt_i32_e32 vcc_lo, 32, v16
	v_lshlrev_b32_e32 v2, 2, v2
	v_cndmask_b32_e32 v16, v1, v16, vcc_lo
	ds_bpermute_b32 v3, v2, v5
	ds_bpermute_b32 v4, v2, v11
	;; [unrolled: 1-line block ×7, first 2 shown]
	v_lshlrev_b32_e32 v16, 2, v16
	s_waitcnt lgkmcnt(0)
	v_add_f32_e32 v3, v5, v3
	v_add_f32_e32 v4, v11, v4
	;; [unrolled: 1-line block ×7, first 2 shown]
	ds_bpermute_b32 v6, v16, v3
	ds_bpermute_b32 v10, v16, v4
	ds_bpermute_b32 v11, v16, v5
	ds_bpermute_b32 v12, v16, v9
	ds_bpermute_b32 v13, v16, v8
	ds_bpermute_b32 v14, v16, v7
	ds_bpermute_b32 v15, v16, v2
	v_xor_b32_e32 v16, 4, v1
	v_cmp_gt_i32_e32 vcc_lo, 32, v16
	v_cndmask_b32_e32 v16, v1, v16, vcc_lo
	s_waitcnt lgkmcnt(6)
	v_add_f32_e32 v3, v3, v6
	s_waitcnt lgkmcnt(5)
	v_add_f32_e32 v4, v4, v10
	v_lshlrev_b32_e32 v16, 2, v16
	s_waitcnt lgkmcnt(4)
	v_add_f32_e32 v5, v5, v11
	s_waitcnt lgkmcnt(3)
	v_add_f32_e32 v6, v9, v12
	s_waitcnt lgkmcnt(2)
	v_add_f32_e32 v8, v8, v13
	s_waitcnt lgkmcnt(1)
	v_add_f32_e32 v7, v7, v14
	s_waitcnt lgkmcnt(0)
	v_add_f32_e32 v2, v2, v15
	ds_bpermute_b32 v9, v16, v3
	ds_bpermute_b32 v10, v16, v4
	ds_bpermute_b32 v11, v16, v5
	ds_bpermute_b32 v12, v16, v6
	ds_bpermute_b32 v13, v16, v8
	ds_bpermute_b32 v14, v16, v7
	ds_bpermute_b32 v15, v16, v2
	v_xor_b32_e32 v16, 2, v1
	v_cmp_gt_i32_e32 vcc_lo, 32, v16
	v_cndmask_b32_e32 v16, v1, v16, vcc_lo
	s_waitcnt lgkmcnt(6)
	v_add_f32_e32 v3, v3, v9
	s_waitcnt lgkmcnt(5)
	v_add_f32_e32 v4, v4, v10
	v_lshlrev_b32_e32 v16, 2, v16
	s_waitcnt lgkmcnt(4)
	v_add_f32_e32 v5, v5, v11
	s_waitcnt lgkmcnt(3)
	v_add_f32_e32 v9, v6, v12
	s_waitcnt lgkmcnt(2)
	v_add_f32_e32 v8, v8, v13
	s_waitcnt lgkmcnt(1)
	v_add_f32_e32 v7, v7, v14
	s_waitcnt lgkmcnt(0)
	v_add_f32_e32 v2, v2, v15
	;; [unrolled: 25-line block ×3, first 2 shown]
	ds_bpermute_b32 v13, v17, v10
	ds_bpermute_b32 v14, v17, v11
	ds_bpermute_b32 v12, v17, v6
	ds_bpermute_b32 v7, v17, v3
	ds_bpermute_b32 v8, v17, v4
	ds_bpermute_b32 v9, v17, v5
	ds_bpermute_b32 v2, v17, v1
	v_cmpx_gt_u32_e32 7, v0
	s_cbranch_execz .LBB336_12
; %bb.11:
	s_waitcnt lgkmcnt(6)
	v_add_f32_e32 v10, v10, v13
	s_waitcnt lgkmcnt(5)
	v_add_f32_e32 v11, v11, v14
	v_cmp_eq_u32_e32 vcc_lo, 1, v0
	s_waitcnt lgkmcnt(4)
	v_add_f32_e32 v6, v6, v12
	s_load_dwordx2 s[0:1], s[4:5], 0x38
	s_waitcnt lgkmcnt(0)
	v_add_f32_e32 v7, v3, v7
	v_add_f32_e32 v8, v4, v8
	v_cndmask_b32_e32 v10, v10, v11, vcc_lo
	v_cmp_eq_u32_e32 vcc_lo, 2, v0
	v_mad_u64_u32 v[3:4], null, s18, v0, s[6:7]
	v_add_f32_e32 v5, v5, v9
	s_mul_hi_i32 s5, s2, s3
	v_cndmask_b32_e32 v6, v10, v6, vcc_lo
	v_cmp_eq_u32_e32 vcc_lo, 3, v0
	s_mul_i32 s4, s2, s3
	s_mul_i32 s2, s22, s7
	s_lshl_b64 s[4:5], s[4:5], 2
	s_ashr_i32 s3, s2, 31
	v_cndmask_b32_e32 v4, v6, v7, vcc_lo
	v_cmp_eq_u32_e32 vcc_lo, 4, v0
	v_add_f32_e32 v7, v1, v2
	s_add_u32 s4, s0, s4
	v_cndmask_b32_e32 v6, v4, v8, vcc_lo
	v_ashrrev_i32_e32 v4, 31, v3
	v_cmp_eq_u32_e32 vcc_lo, 5, v0
	s_addc_u32 s5, s1, s5
	s_lshl_b64 s[0:1], s[2:3], 2
	v_lshlrev_b64 v[1:2], 2, v[3:4]
	v_cndmask_b32_e32 v5, v6, v5, vcc_lo
	v_cmp_eq_u32_e32 vcc_lo, 6, v0
	s_add_u32 s0, s4, s0
	s_addc_u32 s1, s5, s1
	v_cndmask_b32_e32 v3, v5, v7, vcc_lo
	v_add_co_u32 v0, vcc_lo, s0, v1
	v_add_co_ci_u32_e64 v1, null, s1, v2, vcc_lo
	global_store_dword v[0:1], v3, off
.LBB336_12:
	s_endpgm
	.section	.rodata,"a",@progbits
	.p2align	6, 0x0
	.amdhsa_kernel _ZL13mul_mat_vec_fI14__hip_bfloat16fLi7ELi32ELb0ELb0EEvPKT_PKfPKi31ggml_cuda_mm_fusion_args_devicePfi15HIP_vector_typeIjLj3EEiiiSB_iiiSB_iiii
		.amdhsa_group_segment_fixed_size 0
		.amdhsa_private_segment_fixed_size 0
		.amdhsa_kernarg_size 144
		.amdhsa_user_sgpr_count 6
		.amdhsa_user_sgpr_private_segment_buffer 1
		.amdhsa_user_sgpr_dispatch_ptr 0
		.amdhsa_user_sgpr_queue_ptr 0
		.amdhsa_user_sgpr_kernarg_segment_ptr 1
		.amdhsa_user_sgpr_dispatch_id 0
		.amdhsa_user_sgpr_flat_scratch_init 0
		.amdhsa_user_sgpr_private_segment_size 0
		.amdhsa_wavefront_size32 1
		.amdhsa_uses_dynamic_stack 0
		.amdhsa_system_sgpr_private_segment_wavefront_offset 0
		.amdhsa_system_sgpr_workgroup_id_x 1
		.amdhsa_system_sgpr_workgroup_id_y 1
		.amdhsa_system_sgpr_workgroup_id_z 1
		.amdhsa_system_sgpr_workgroup_info 0
		.amdhsa_system_vgpr_workitem_id 0
		.amdhsa_next_free_vgpr 29
		.amdhsa_next_free_sgpr 36
		.amdhsa_reserve_vcc 1
		.amdhsa_reserve_flat_scratch 0
		.amdhsa_float_round_mode_32 0
		.amdhsa_float_round_mode_16_64 0
		.amdhsa_float_denorm_mode_32 3
		.amdhsa_float_denorm_mode_16_64 3
		.amdhsa_dx10_clamp 1
		.amdhsa_ieee_mode 1
		.amdhsa_fp16_overflow 0
		.amdhsa_workgroup_processor_mode 1
		.amdhsa_memory_ordered 1
		.amdhsa_forward_progress 1
		.amdhsa_shared_vgpr_count 0
		.amdhsa_exception_fp_ieee_invalid_op 0
		.amdhsa_exception_fp_denorm_src 0
		.amdhsa_exception_fp_ieee_div_zero 0
		.amdhsa_exception_fp_ieee_overflow 0
		.amdhsa_exception_fp_ieee_underflow 0
		.amdhsa_exception_fp_ieee_inexact 0
		.amdhsa_exception_int_div_zero 0
	.end_amdhsa_kernel
	.section	.text._ZL13mul_mat_vec_fI14__hip_bfloat16fLi7ELi32ELb0ELb0EEvPKT_PKfPKi31ggml_cuda_mm_fusion_args_devicePfi15HIP_vector_typeIjLj3EEiiiSB_iiiSB_iiii,"axG",@progbits,_ZL13mul_mat_vec_fI14__hip_bfloat16fLi7ELi32ELb0ELb0EEvPKT_PKfPKi31ggml_cuda_mm_fusion_args_devicePfi15HIP_vector_typeIjLj3EEiiiSB_iiiSB_iiii,comdat
.Lfunc_end336:
	.size	_ZL13mul_mat_vec_fI14__hip_bfloat16fLi7ELi32ELb0ELb0EEvPKT_PKfPKi31ggml_cuda_mm_fusion_args_devicePfi15HIP_vector_typeIjLj3EEiiiSB_iiiSB_iiii, .Lfunc_end336-_ZL13mul_mat_vec_fI14__hip_bfloat16fLi7ELi32ELb0ELb0EEvPKT_PKfPKi31ggml_cuda_mm_fusion_args_devicePfi15HIP_vector_typeIjLj3EEiiiSB_iiiSB_iiii
                                        ; -- End function
	.set _ZL13mul_mat_vec_fI14__hip_bfloat16fLi7ELi32ELb0ELb0EEvPKT_PKfPKi31ggml_cuda_mm_fusion_args_devicePfi15HIP_vector_typeIjLj3EEiiiSB_iiiSB_iiii.num_vgpr, 29
	.set _ZL13mul_mat_vec_fI14__hip_bfloat16fLi7ELi32ELb0ELb0EEvPKT_PKfPKi31ggml_cuda_mm_fusion_args_devicePfi15HIP_vector_typeIjLj3EEiiiSB_iiiSB_iiii.num_agpr, 0
	.set _ZL13mul_mat_vec_fI14__hip_bfloat16fLi7ELi32ELb0ELb0EEvPKT_PKfPKi31ggml_cuda_mm_fusion_args_devicePfi15HIP_vector_typeIjLj3EEiiiSB_iiiSB_iiii.numbered_sgpr, 36
	.set _ZL13mul_mat_vec_fI14__hip_bfloat16fLi7ELi32ELb0ELb0EEvPKT_PKfPKi31ggml_cuda_mm_fusion_args_devicePfi15HIP_vector_typeIjLj3EEiiiSB_iiiSB_iiii.num_named_barrier, 0
	.set _ZL13mul_mat_vec_fI14__hip_bfloat16fLi7ELi32ELb0ELb0EEvPKT_PKfPKi31ggml_cuda_mm_fusion_args_devicePfi15HIP_vector_typeIjLj3EEiiiSB_iiiSB_iiii.private_seg_size, 0
	.set _ZL13mul_mat_vec_fI14__hip_bfloat16fLi7ELi32ELb0ELb0EEvPKT_PKfPKi31ggml_cuda_mm_fusion_args_devicePfi15HIP_vector_typeIjLj3EEiiiSB_iiiSB_iiii.uses_vcc, 1
	.set _ZL13mul_mat_vec_fI14__hip_bfloat16fLi7ELi32ELb0ELb0EEvPKT_PKfPKi31ggml_cuda_mm_fusion_args_devicePfi15HIP_vector_typeIjLj3EEiiiSB_iiiSB_iiii.uses_flat_scratch, 0
	.set _ZL13mul_mat_vec_fI14__hip_bfloat16fLi7ELi32ELb0ELb0EEvPKT_PKfPKi31ggml_cuda_mm_fusion_args_devicePfi15HIP_vector_typeIjLj3EEiiiSB_iiiSB_iiii.has_dyn_sized_stack, 0
	.set _ZL13mul_mat_vec_fI14__hip_bfloat16fLi7ELi32ELb0ELb0EEvPKT_PKfPKi31ggml_cuda_mm_fusion_args_devicePfi15HIP_vector_typeIjLj3EEiiiSB_iiiSB_iiii.has_recursion, 0
	.set _ZL13mul_mat_vec_fI14__hip_bfloat16fLi7ELi32ELb0ELb0EEvPKT_PKfPKi31ggml_cuda_mm_fusion_args_devicePfi15HIP_vector_typeIjLj3EEiiiSB_iiiSB_iiii.has_indirect_call, 0
	.section	.AMDGPU.csdata,"",@progbits
; Kernel info:
; codeLenInByte = 1668
; TotalNumSgprs: 38
; NumVgprs: 29
; ScratchSize: 0
; MemoryBound: 0
; FloatMode: 240
; IeeeMode: 1
; LDSByteSize: 0 bytes/workgroup (compile time only)
; SGPRBlocks: 0
; VGPRBlocks: 3
; NumSGPRsForWavesPerEU: 38
; NumVGPRsForWavesPerEU: 29
; Occupancy: 16
; WaveLimiterHint : 0
; COMPUTE_PGM_RSRC2:SCRATCH_EN: 0
; COMPUTE_PGM_RSRC2:USER_SGPR: 6
; COMPUTE_PGM_RSRC2:TRAP_HANDLER: 0
; COMPUTE_PGM_RSRC2:TGID_X_EN: 1
; COMPUTE_PGM_RSRC2:TGID_Y_EN: 1
; COMPUTE_PGM_RSRC2:TGID_Z_EN: 1
; COMPUTE_PGM_RSRC2:TIDIG_COMP_CNT: 0
	.section	.text._ZL13mul_mat_vec_fI14__hip_bfloat16fLi7ELi64ELb0ELb0EEvPKT_PKfPKi31ggml_cuda_mm_fusion_args_devicePfi15HIP_vector_typeIjLj3EEiiiSB_iiiSB_iiii,"axG",@progbits,_ZL13mul_mat_vec_fI14__hip_bfloat16fLi7ELi64ELb0ELb0EEvPKT_PKfPKi31ggml_cuda_mm_fusion_args_devicePfi15HIP_vector_typeIjLj3EEiiiSB_iiiSB_iiii,comdat
	.globl	_ZL13mul_mat_vec_fI14__hip_bfloat16fLi7ELi64ELb0ELb0EEvPKT_PKfPKi31ggml_cuda_mm_fusion_args_devicePfi15HIP_vector_typeIjLj3EEiiiSB_iiiSB_iiii ; -- Begin function _ZL13mul_mat_vec_fI14__hip_bfloat16fLi7ELi64ELb0ELb0EEvPKT_PKfPKi31ggml_cuda_mm_fusion_args_devicePfi15HIP_vector_typeIjLj3EEiiiSB_iiiSB_iiii
	.p2align	8
	.type	_ZL13mul_mat_vec_fI14__hip_bfloat16fLi7ELi64ELb0ELb0EEvPKT_PKfPKi31ggml_cuda_mm_fusion_args_devicePfi15HIP_vector_typeIjLj3EEiiiSB_iiiSB_iiii,@function
_ZL13mul_mat_vec_fI14__hip_bfloat16fLi7ELi64ELb0ELb0EEvPKT_PKfPKi31ggml_cuda_mm_fusion_args_devicePfi15HIP_vector_typeIjLj3EEiiiSB_iiiSB_iiii: ; @_ZL13mul_mat_vec_fI14__hip_bfloat16fLi7ELi64ELb0ELb0EEvPKT_PKfPKi31ggml_cuda_mm_fusion_args_devicePfi15HIP_vector_typeIjLj3EEiiiSB_iiiSB_iiii
; %bb.0:
	s_clause 0x2
	s_load_dwordx2 s[0:1], s[4:5], 0x10
	s_load_dwordx8 s[12:19], s[4:5], 0x40
	s_load_dwordx4 s[20:23], s[4:5], 0x80
	s_waitcnt lgkmcnt(0)
	s_cmp_eq_u64 s[0:1], 0
	s_cselect_b32 s10, -1, 0
	s_cmp_lg_u64 s[0:1], 0
	s_cselect_b32 s11, -1, 0
	s_and_b32 vcc_lo, exec_lo, s10
	s_cbranch_vccnz .LBB337_2
; %bb.1:
	s_mul_i32 s2, s23, s8
	s_mov_b32 s3, 0
	s_add_i32 s2, s2, s7
	s_lshl_b64 s[24:25], s[2:3], 2
	s_add_u32 s0, s0, s24
	s_addc_u32 s1, s1, s25
	s_load_dword s9, s[0:1], 0x0
	s_cbranch_execz .LBB337_3
	s_branch .LBB337_4
.LBB337_2:
                                        ; implicit-def: $sgpr9
.LBB337_3:
	s_load_dwordx2 s[0:1], s[4:5], 0x5c
	s_waitcnt lgkmcnt(0)
	s_mul_hi_u32 s0, s0, s7
	s_add_i32 s0, s7, s0
	s_lshr_b32 s9, s0, s1
.LBB337_4:
	s_load_dwordx4 s[24:27], s[4:5], 0x68
	s_andn2_b32 vcc_lo, exec_lo, s11
	s_mov_b32 s19, s7
	s_cbranch_vccnz .LBB337_6
; %bb.5:
	s_mul_hi_u32 s0, s13, s7
	s_add_i32 s0, s7, s0
	s_lshr_b32 s0, s0, s14
	s_mul_i32 s0, s0, s15
	s_sub_i32 s19, s7, s0
.LBB337_6:
	s_load_dword s14, s[4:5], 0x78
	v_cmp_gt_u32_e32 vcc_lo, 32, v0
	v_lshl_add_u32 v5, v0, 2, 0
	s_and_saveexec_b32 s0, vcc_lo
; %bb.7:
	v_mov_b32_e32 v1, 0
	ds_write_b32 v5, v1
; %bb.8:
	s_or_b32 exec_lo, exec_lo, s0
	v_mov_b32_e32 v6, 0
	v_mov_b32_e32 v7, 0
	;; [unrolled: 1-line block ×7, first 2 shown]
	s_and_b32 s0, exec_lo, s10
	s_mov_b32 s11, 0
	s_cselect_b32 s10, s8, 0
	s_mov_b32 s13, exec_lo
	s_waitcnt lgkmcnt(0)
	s_barrier
	buffer_gl0_inv
	v_cmpx_gt_i32_e64 s12, v0
	s_cbranch_execz .LBB337_12
; %bb.9:
	s_load_dwordx4 s[0:3], s[4:5], 0x0
	s_mul_hi_u32 s15, s27, s10
	s_mul_hi_i32 s29, s21, s10
	s_mul_i32 s28, s21, s10
	s_mul_i32 s8, s9, s24
	s_mul_i32 s24, s16, s6
	s_mul_i32 s30, s19, s25
	s_add_i32 s15, s10, s15
	s_lshl_b64 s[28:29], s[28:29], 2
	s_ashr_i32 s9, s8, 31
	s_ashr_i32 s25, s24, 31
	;; [unrolled: 1-line block ×3, first 2 shown]
	s_lshr_b32 s14, s15, s14
	s_mov_b32 s34, s17
	s_mul_hi_i32 s21, s14, s20
	s_mul_i32 s20, s14, s20
	v_lshlrev_b32_e32 v2, 3, v0
	v_lshlrev_b32_e32 v1, 2, v0
	v_mov_b32_e32 v12, 0
	v_mov_b32_e32 v13, v0
	s_waitcnt lgkmcnt(0)
	s_add_u32 s15, s2, s28
	s_addc_u32 s16, s3, s29
	s_lshl_b64 s[30:31], s[30:31], 2
	v_mov_b32_e32 v11, 0
	s_add_u32 s14, s15, s30
	s_addc_u32 s15, s16, s31
	s_lshl_b64 s[8:9], s[8:9], 1
	s_ashr_i32 s35, s17, 31
	s_add_i32 s16, s17, s17
	s_lshl_b32 s19, s17, 2
	s_lshl_b64 s[20:21], s[20:21], 1
	s_lshl_b64 s[24:25], s[24:25], 1
	s_add_u32 s0, s0, s8
	s_addc_u32 s1, s1, s9
	s_add_u32 s0, s0, s24
	s_addc_u32 s1, s1, s25
	s_add_u32 s0, s0, s20
	s_addc_u32 s1, s1, s21
	s_lshl_b64 s[8:9], s[34:35], 3
	s_add_u32 s2, s2, s30
	s_addc_u32 s3, s3, s31
	s_add_u32 s2, s2, s28
	s_addc_u32 s3, s3, s29
	v_add_co_u32 v3, s2, s2, v2
	v_add_co_ci_u32_e64 v4, null, s3, 0, s2
	v_add_co_u32 v1, s0, s0, v1
	v_add_co_ci_u32_e64 v2, null, s1, 0, s0
	;; [unrolled: 2-line block ×3, first 2 shown]
	v_mov_b32_e32 v10, 0
	v_mov_b32_e32 v9, 0
	;; [unrolled: 1-line block ×5, first 2 shown]
	s_mul_i32 s1, s17, 3
	s_mul_i32 s2, s17, 5
	;; [unrolled: 1-line block ×3, first 2 shown]
.LBB337_10:                             ; =>This Inner Loop Header: Depth=1
	v_add_nc_u32_e32 v18, s16, v13
	v_add_nc_u32_e32 v20, s1, v13
	;; [unrolled: 1-line block ×5, first 2 shown]
	v_ashrrev_i32_e32 v19, 31, v18
	v_ashrrev_i32_e32 v21, 31, v20
	;; [unrolled: 1-line block ×5, first 2 shown]
	v_lshlrev_b64 v[18:19], 3, v[18:19]
	v_lshlrev_b64 v[20:21], 3, v[20:21]
	v_add_co_u32 v16, s0, v3, s8
	v_lshlrev_b64 v[22:23], 3, v[22:23]
	v_add_co_ci_u32_e64 v17, null, s9, v4, s0
	v_lshlrev_b64 v[24:25], 3, v[24:25]
	v_add_co_u32 v18, s0, s14, v18
	v_lshlrev_b64 v[26:27], 3, v[26:27]
	v_add_co_ci_u32_e64 v19, null, s15, v19, s0
	v_add_co_u32 v20, s0, s14, v20
	v_add_co_ci_u32_e64 v21, null, s15, v21, s0
	v_add_co_u32 v22, s0, s14, v22
	v_add_co_ci_u32_e64 v23, null, s15, v23, s0
	v_add_co_u32 v24, s0, s14, v24
	global_load_dword v28, v[1:2], off
	global_load_dwordx2 v[14:15], v[3:4], off offset:-4
	v_add_co_ci_u32_e64 v25, null, s15, v25, s0
	v_add_co_u32 v26, s0, s14, v26
	v_add_co_ci_u32_e64 v27, null, s15, v27, s0
	global_load_dwordx2 v[16:17], v[16:17], off offset:-4
	s_clause 0x4
	global_load_dwordx2 v[18:19], v[18:19], off
	global_load_dwordx2 v[20:21], v[20:21], off
	;; [unrolled: 1-line block ×5, first 2 shown]
	v_add_nc_u32_e32 v13, 64, v13
	v_add_co_u32 v1, s0, 0x100, v1
	v_add_co_ci_u32_e64 v2, null, 0, v2, s0
	v_add_co_u32 v3, s0, 0x200, v3
	v_add_co_ci_u32_e64 v4, null, 0, v4, s0
	v_cmp_le_i32_e64 s0, s12, v13
	s_or_b32 s11, s0, s11
	s_waitcnt vmcnt(7)
	v_lshlrev_b32_e32 v29, 16, v28
	v_and_b32_e32 v28, 0xffff0000, v28
	s_waitcnt vmcnt(6)
	v_fmac_f32_e32 v12, v14, v29
	s_waitcnt vmcnt(4)
	v_fmac_f32_e32 v10, v18, v29
	s_waitcnt vmcnt(3)
	v_fmac_f32_e32 v9, v20, v29
	v_fmac_f32_e32 v11, v16, v29
	s_waitcnt vmcnt(2)
	v_fmac_f32_e32 v8, v22, v29
	s_waitcnt vmcnt(1)
	;; [unrolled: 2-line block ×3, first 2 shown]
	v_fmac_f32_e32 v6, v26, v29
	v_fmac_f32_e32 v12, v15, v28
	;; [unrolled: 1-line block ×8, first 2 shown]
	s_andn2_b32 exec_lo, exec_lo, s11
	s_cbranch_execnz .LBB337_10
; %bb.11:
	s_or_b32 exec_lo, exec_lo, s11
.LBB337_12:
	s_or_b32 exec_lo, exec_lo, s13
	v_mbcnt_lo_u32_b32 v2, -1, 0
	v_xor_b32_e32 v1, 16, v2
	v_xor_b32_e32 v3, 8, v2
	v_cmp_gt_i32_e64 s0, 32, v1
	v_cndmask_b32_e64 v1, v2, v1, s0
	v_cmp_gt_i32_e64 s0, 32, v3
	v_lshlrev_b32_e32 v1, 2, v1
	v_cndmask_b32_e64 v3, v2, v3, s0
	ds_bpermute_b32 v4, v1, v12
	v_lshlrev_b32_e32 v3, 2, v3
	s_waitcnt lgkmcnt(0)
	v_add_f32_e32 v12, v12, v4
	v_xor_b32_e32 v4, 4, v2
	ds_bpermute_b32 v13, v3, v12
	v_cmp_gt_i32_e64 s0, 32, v4
	v_cndmask_b32_e64 v4, v2, v4, s0
	v_lshlrev_b32_e32 v4, 2, v4
	s_waitcnt lgkmcnt(0)
	v_add_f32_e32 v13, v12, v13
	v_xor_b32_e32 v12, 2, v2
	ds_bpermute_b32 v14, v4, v13
	v_cmp_gt_i32_e64 s0, 32, v12
	v_cndmask_b32_e64 v12, v2, v12, s0
	;; [unrolled: 7-line block ×3, first 2 shown]
	v_lshlrev_b32_e32 v13, 2, v2
	s_waitcnt lgkmcnt(0)
	v_add_f32_e32 v2, v14, v15
	v_lshrrev_b32_e32 v14, 3, v0
	ds_bpermute_b32 v15, v13, v2
	v_and_b32_e32 v14, 0x7c, v14
	v_add_nc_u32_e32 v14, 0, v14
	s_waitcnt lgkmcnt(0)
	v_add_f32_e32 v2, v2, v15
	ds_write_b32 v14, v2
	s_waitcnt lgkmcnt(0)
	s_barrier
	buffer_gl0_inv
	s_and_saveexec_b32 s0, vcc_lo
	s_cbranch_execz .LBB337_14
; %bb.13:
	ds_read_b32 v2, v5
	s_waitcnt lgkmcnt(0)
	ds_bpermute_b32 v15, v1, v2
	s_waitcnt lgkmcnt(0)
	v_add_f32_e32 v2, v2, v15
	ds_bpermute_b32 v15, v3, v2
	s_waitcnt lgkmcnt(0)
	v_add_f32_e32 v2, v2, v15
	ds_bpermute_b32 v15, v4, v2
	s_waitcnt lgkmcnt(0)
	v_add_f32_e32 v2, v2, v15
	ds_bpermute_b32 v15, v12, v2
	s_waitcnt lgkmcnt(0)
	v_add_f32_e32 v2, v2, v15
	ds_bpermute_b32 v15, v13, v2
	s_waitcnt lgkmcnt(0)
	v_add_f32_e32 v2, v2, v15
.LBB337_14:
	s_or_b32 exec_lo, exec_lo, s0
	ds_bpermute_b32 v15, v1, v11
	s_waitcnt lgkmcnt(0)
	s_barrier
	buffer_gl0_inv
	v_add_f32_e32 v11, v11, v15
	ds_bpermute_b32 v15, v3, v11
	s_waitcnt lgkmcnt(0)
	v_add_f32_e32 v11, v11, v15
	ds_bpermute_b32 v15, v4, v11
	s_waitcnt lgkmcnt(0)
	v_add_f32_e32 v11, v11, v15
	ds_bpermute_b32 v15, v12, v11
	s_waitcnt lgkmcnt(0)
	v_add_f32_e32 v11, v11, v15
	ds_bpermute_b32 v15, v13, v11
	s_waitcnt lgkmcnt(0)
	v_add_f32_e32 v11, v11, v15
	ds_write_b32 v14, v11
	s_waitcnt lgkmcnt(0)
	s_barrier
	buffer_gl0_inv
	s_and_saveexec_b32 s0, vcc_lo
	s_cbranch_execz .LBB337_16
; %bb.15:
	ds_read_b32 v11, v5
	s_waitcnt lgkmcnt(0)
	ds_bpermute_b32 v15, v1, v11
	s_waitcnt lgkmcnt(0)
	v_add_f32_e32 v11, v11, v15
	ds_bpermute_b32 v15, v3, v11
	s_waitcnt lgkmcnt(0)
	v_add_f32_e32 v11, v11, v15
	ds_bpermute_b32 v15, v4, v11
	s_waitcnt lgkmcnt(0)
	v_add_f32_e32 v11, v11, v15
	ds_bpermute_b32 v15, v12, v11
	s_waitcnt lgkmcnt(0)
	v_add_f32_e32 v11, v11, v15
	ds_bpermute_b32 v15, v13, v11
	s_waitcnt lgkmcnt(0)
	v_add_f32_e32 v11, v11, v15
.LBB337_16:
	s_or_b32 exec_lo, exec_lo, s0
	ds_bpermute_b32 v15, v1, v10
	s_waitcnt lgkmcnt(0)
	s_barrier
	buffer_gl0_inv
	v_add_f32_e32 v10, v10, v15
	ds_bpermute_b32 v15, v3, v10
	s_waitcnt lgkmcnt(0)
	v_add_f32_e32 v10, v10, v15
	ds_bpermute_b32 v15, v4, v10
	s_waitcnt lgkmcnt(0)
	v_add_f32_e32 v10, v10, v15
	ds_bpermute_b32 v15, v12, v10
	s_waitcnt lgkmcnt(0)
	v_add_f32_e32 v10, v10, v15
	ds_bpermute_b32 v15, v13, v10
	;; [unrolled: 43-line block ×6, first 2 shown]
	s_waitcnt lgkmcnt(0)
	v_add_f32_e32 v6, v6, v15
	ds_write_b32 v14, v6
	s_waitcnt lgkmcnt(0)
	s_barrier
	buffer_gl0_inv
	s_and_saveexec_b32 s0, vcc_lo
	s_cbranch_execz .LBB337_26
; %bb.25:
	ds_read_b32 v5, v5
	s_waitcnt lgkmcnt(0)
	ds_bpermute_b32 v1, v1, v5
	s_waitcnt lgkmcnt(0)
	v_add_f32_e32 v1, v5, v1
	ds_bpermute_b32 v3, v3, v1
	s_waitcnt lgkmcnt(0)
	v_add_f32_e32 v1, v1, v3
	;; [unrolled: 3-line block ×5, first 2 shown]
.LBB337_26:
	s_or_b32 exec_lo, exec_lo, s0
	s_barrier
	buffer_gl0_inv
	s_mov_b32 s0, exec_lo
	v_cmpx_gt_u32_e32 7, v0
	s_cbranch_execz .LBB337_28
; %bb.27:
	v_cmp_eq_u32_e32 vcc_lo, 1, v0
	s_load_dwordx2 s[0:1], s[4:5], 0x38
	s_mul_hi_i32 s3, s22, s10
	s_mul_i32 s2, s22, s10
	s_mul_i32 s4, s26, s7
	v_cndmask_b32_e32 v1, v2, v11, vcc_lo
	v_cmp_eq_u32_e32 vcc_lo, 2, v0
	s_lshl_b64 s[2:3], s[2:3], 2
	s_ashr_i32 s5, s4, 31
	v_cndmask_b32_e32 v3, v1, v10, vcc_lo
	v_cmp_eq_u32_e32 vcc_lo, 3, v0
	v_mad_u64_u32 v[1:2], null, s18, v0, s[6:7]
	v_cndmask_b32_e32 v2, v3, v9, vcc_lo
	v_cmp_eq_u32_e32 vcc_lo, 4, v0
	s_waitcnt lgkmcnt(0)
	s_add_u32 s2, s0, s2
	s_addc_u32 s3, s1, s3
	v_cndmask_b32_e32 v3, v2, v8, vcc_lo
	v_ashrrev_i32_e32 v2, 31, v1
	v_cmp_eq_u32_e32 vcc_lo, 5, v0
	s_lshl_b64 s[0:1], s[4:5], 2
	s_add_u32 s0, s2, s0
	v_lshlrev_b64 v[1:2], 2, v[1:2]
	v_cndmask_b32_e32 v3, v3, v7, vcc_lo
	v_cmp_eq_u32_e32 vcc_lo, 6, v0
	s_addc_u32 s1, s3, s1
	v_cndmask_b32_e32 v3, v3, v6, vcc_lo
	v_add_co_u32 v0, vcc_lo, s0, v1
	v_add_co_ci_u32_e64 v1, null, s1, v2, vcc_lo
	global_store_dword v[0:1], v3, off
.LBB337_28:
	s_endpgm
	.section	.rodata,"a",@progbits
	.p2align	6, 0x0
	.amdhsa_kernel _ZL13mul_mat_vec_fI14__hip_bfloat16fLi7ELi64ELb0ELb0EEvPKT_PKfPKi31ggml_cuda_mm_fusion_args_devicePfi15HIP_vector_typeIjLj3EEiiiSB_iiiSB_iiii
		.amdhsa_group_segment_fixed_size 0
		.amdhsa_private_segment_fixed_size 0
		.amdhsa_kernarg_size 144
		.amdhsa_user_sgpr_count 6
		.amdhsa_user_sgpr_private_segment_buffer 1
		.amdhsa_user_sgpr_dispatch_ptr 0
		.amdhsa_user_sgpr_queue_ptr 0
		.amdhsa_user_sgpr_kernarg_segment_ptr 1
		.amdhsa_user_sgpr_dispatch_id 0
		.amdhsa_user_sgpr_flat_scratch_init 0
		.amdhsa_user_sgpr_private_segment_size 0
		.amdhsa_wavefront_size32 1
		.amdhsa_uses_dynamic_stack 0
		.amdhsa_system_sgpr_private_segment_wavefront_offset 0
		.amdhsa_system_sgpr_workgroup_id_x 1
		.amdhsa_system_sgpr_workgroup_id_y 1
		.amdhsa_system_sgpr_workgroup_id_z 1
		.amdhsa_system_sgpr_workgroup_info 0
		.amdhsa_system_vgpr_workitem_id 0
		.amdhsa_next_free_vgpr 30
		.amdhsa_next_free_sgpr 36
		.amdhsa_reserve_vcc 1
		.amdhsa_reserve_flat_scratch 0
		.amdhsa_float_round_mode_32 0
		.amdhsa_float_round_mode_16_64 0
		.amdhsa_float_denorm_mode_32 3
		.amdhsa_float_denorm_mode_16_64 3
		.amdhsa_dx10_clamp 1
		.amdhsa_ieee_mode 1
		.amdhsa_fp16_overflow 0
		.amdhsa_workgroup_processor_mode 1
		.amdhsa_memory_ordered 1
		.amdhsa_forward_progress 1
		.amdhsa_shared_vgpr_count 0
		.amdhsa_exception_fp_ieee_invalid_op 0
		.amdhsa_exception_fp_denorm_src 0
		.amdhsa_exception_fp_ieee_div_zero 0
		.amdhsa_exception_fp_ieee_overflow 0
		.amdhsa_exception_fp_ieee_underflow 0
		.amdhsa_exception_fp_ieee_inexact 0
		.amdhsa_exception_int_div_zero 0
	.end_amdhsa_kernel
	.section	.text._ZL13mul_mat_vec_fI14__hip_bfloat16fLi7ELi64ELb0ELb0EEvPKT_PKfPKi31ggml_cuda_mm_fusion_args_devicePfi15HIP_vector_typeIjLj3EEiiiSB_iiiSB_iiii,"axG",@progbits,_ZL13mul_mat_vec_fI14__hip_bfloat16fLi7ELi64ELb0ELb0EEvPKT_PKfPKi31ggml_cuda_mm_fusion_args_devicePfi15HIP_vector_typeIjLj3EEiiiSB_iiiSB_iiii,comdat
.Lfunc_end337:
	.size	_ZL13mul_mat_vec_fI14__hip_bfloat16fLi7ELi64ELb0ELb0EEvPKT_PKfPKi31ggml_cuda_mm_fusion_args_devicePfi15HIP_vector_typeIjLj3EEiiiSB_iiiSB_iiii, .Lfunc_end337-_ZL13mul_mat_vec_fI14__hip_bfloat16fLi7ELi64ELb0ELb0EEvPKT_PKfPKi31ggml_cuda_mm_fusion_args_devicePfi15HIP_vector_typeIjLj3EEiiiSB_iiiSB_iiii
                                        ; -- End function
	.set _ZL13mul_mat_vec_fI14__hip_bfloat16fLi7ELi64ELb0ELb0EEvPKT_PKfPKi31ggml_cuda_mm_fusion_args_devicePfi15HIP_vector_typeIjLj3EEiiiSB_iiiSB_iiii.num_vgpr, 30
	.set _ZL13mul_mat_vec_fI14__hip_bfloat16fLi7ELi64ELb0ELb0EEvPKT_PKfPKi31ggml_cuda_mm_fusion_args_devicePfi15HIP_vector_typeIjLj3EEiiiSB_iiiSB_iiii.num_agpr, 0
	.set _ZL13mul_mat_vec_fI14__hip_bfloat16fLi7ELi64ELb0ELb0EEvPKT_PKfPKi31ggml_cuda_mm_fusion_args_devicePfi15HIP_vector_typeIjLj3EEiiiSB_iiiSB_iiii.numbered_sgpr, 36
	.set _ZL13mul_mat_vec_fI14__hip_bfloat16fLi7ELi64ELb0ELb0EEvPKT_PKfPKi31ggml_cuda_mm_fusion_args_devicePfi15HIP_vector_typeIjLj3EEiiiSB_iiiSB_iiii.num_named_barrier, 0
	.set _ZL13mul_mat_vec_fI14__hip_bfloat16fLi7ELi64ELb0ELb0EEvPKT_PKfPKi31ggml_cuda_mm_fusion_args_devicePfi15HIP_vector_typeIjLj3EEiiiSB_iiiSB_iiii.private_seg_size, 0
	.set _ZL13mul_mat_vec_fI14__hip_bfloat16fLi7ELi64ELb0ELb0EEvPKT_PKfPKi31ggml_cuda_mm_fusion_args_devicePfi15HIP_vector_typeIjLj3EEiiiSB_iiiSB_iiii.uses_vcc, 1
	.set _ZL13mul_mat_vec_fI14__hip_bfloat16fLi7ELi64ELb0ELb0EEvPKT_PKfPKi31ggml_cuda_mm_fusion_args_devicePfi15HIP_vector_typeIjLj3EEiiiSB_iiiSB_iiii.uses_flat_scratch, 0
	.set _ZL13mul_mat_vec_fI14__hip_bfloat16fLi7ELi64ELb0ELb0EEvPKT_PKfPKi31ggml_cuda_mm_fusion_args_devicePfi15HIP_vector_typeIjLj3EEiiiSB_iiiSB_iiii.has_dyn_sized_stack, 0
	.set _ZL13mul_mat_vec_fI14__hip_bfloat16fLi7ELi64ELb0ELb0EEvPKT_PKfPKi31ggml_cuda_mm_fusion_args_devicePfi15HIP_vector_typeIjLj3EEiiiSB_iiiSB_iiii.has_recursion, 0
	.set _ZL13mul_mat_vec_fI14__hip_bfloat16fLi7ELi64ELb0ELb0EEvPKT_PKfPKi31ggml_cuda_mm_fusion_args_devicePfi15HIP_vector_typeIjLj3EEiiiSB_iiiSB_iiii.has_indirect_call, 0
	.section	.AMDGPU.csdata,"",@progbits
; Kernel info:
; codeLenInByte = 2788
; TotalNumSgprs: 38
; NumVgprs: 30
; ScratchSize: 0
; MemoryBound: 0
; FloatMode: 240
; IeeeMode: 1
; LDSByteSize: 0 bytes/workgroup (compile time only)
; SGPRBlocks: 0
; VGPRBlocks: 3
; NumSGPRsForWavesPerEU: 38
; NumVGPRsForWavesPerEU: 30
; Occupancy: 16
; WaveLimiterHint : 0
; COMPUTE_PGM_RSRC2:SCRATCH_EN: 0
; COMPUTE_PGM_RSRC2:USER_SGPR: 6
; COMPUTE_PGM_RSRC2:TRAP_HANDLER: 0
; COMPUTE_PGM_RSRC2:TGID_X_EN: 1
; COMPUTE_PGM_RSRC2:TGID_Y_EN: 1
; COMPUTE_PGM_RSRC2:TGID_Z_EN: 1
; COMPUTE_PGM_RSRC2:TIDIG_COMP_CNT: 0
	.section	.text._ZL13mul_mat_vec_fI14__hip_bfloat16fLi7ELi96ELb0ELb0EEvPKT_PKfPKi31ggml_cuda_mm_fusion_args_devicePfi15HIP_vector_typeIjLj3EEiiiSB_iiiSB_iiii,"axG",@progbits,_ZL13mul_mat_vec_fI14__hip_bfloat16fLi7ELi96ELb0ELb0EEvPKT_PKfPKi31ggml_cuda_mm_fusion_args_devicePfi15HIP_vector_typeIjLj3EEiiiSB_iiiSB_iiii,comdat
	.globl	_ZL13mul_mat_vec_fI14__hip_bfloat16fLi7ELi96ELb0ELb0EEvPKT_PKfPKi31ggml_cuda_mm_fusion_args_devicePfi15HIP_vector_typeIjLj3EEiiiSB_iiiSB_iiii ; -- Begin function _ZL13mul_mat_vec_fI14__hip_bfloat16fLi7ELi96ELb0ELb0EEvPKT_PKfPKi31ggml_cuda_mm_fusion_args_devicePfi15HIP_vector_typeIjLj3EEiiiSB_iiiSB_iiii
	.p2align	8
	.type	_ZL13mul_mat_vec_fI14__hip_bfloat16fLi7ELi96ELb0ELb0EEvPKT_PKfPKi31ggml_cuda_mm_fusion_args_devicePfi15HIP_vector_typeIjLj3EEiiiSB_iiiSB_iiii,@function
_ZL13mul_mat_vec_fI14__hip_bfloat16fLi7ELi96ELb0ELb0EEvPKT_PKfPKi31ggml_cuda_mm_fusion_args_devicePfi15HIP_vector_typeIjLj3EEiiiSB_iiiSB_iiii: ; @_ZL13mul_mat_vec_fI14__hip_bfloat16fLi7ELi96ELb0ELb0EEvPKT_PKfPKi31ggml_cuda_mm_fusion_args_devicePfi15HIP_vector_typeIjLj3EEiiiSB_iiiSB_iiii
; %bb.0:
	s_clause 0x2
	s_load_dwordx2 s[0:1], s[4:5], 0x10
	s_load_dwordx8 s[12:19], s[4:5], 0x40
	s_load_dwordx4 s[20:23], s[4:5], 0x80
	s_waitcnt lgkmcnt(0)
	s_cmp_eq_u64 s[0:1], 0
	s_cselect_b32 s10, -1, 0
	s_cmp_lg_u64 s[0:1], 0
	s_cselect_b32 s11, -1, 0
	s_and_b32 vcc_lo, exec_lo, s10
	s_cbranch_vccnz .LBB338_2
; %bb.1:
	s_mul_i32 s2, s23, s8
	s_mov_b32 s3, 0
	s_add_i32 s2, s2, s7
	s_lshl_b64 s[24:25], s[2:3], 2
	s_add_u32 s0, s0, s24
	s_addc_u32 s1, s1, s25
	s_load_dword s9, s[0:1], 0x0
	s_cbranch_execz .LBB338_3
	s_branch .LBB338_4
.LBB338_2:
                                        ; implicit-def: $sgpr9
.LBB338_3:
	s_load_dwordx2 s[0:1], s[4:5], 0x5c
	s_waitcnt lgkmcnt(0)
	s_mul_hi_u32 s0, s0, s7
	s_add_i32 s0, s7, s0
	s_lshr_b32 s9, s0, s1
.LBB338_4:
	s_load_dwordx4 s[24:27], s[4:5], 0x68
	s_andn2_b32 vcc_lo, exec_lo, s11
	s_mov_b32 s19, s7
	s_cbranch_vccnz .LBB338_6
; %bb.5:
	s_mul_hi_u32 s0, s13, s7
	s_add_i32 s0, s7, s0
	s_lshr_b32 s0, s0, s14
	s_mul_i32 s0, s0, s15
	s_sub_i32 s19, s7, s0
.LBB338_6:
	s_load_dword s14, s[4:5], 0x78
	v_cmp_gt_u32_e32 vcc_lo, 32, v0
	v_lshl_add_u32 v5, v0, 2, 0
	s_and_saveexec_b32 s0, vcc_lo
; %bb.7:
	v_mov_b32_e32 v1, 0
	ds_write_b32 v5, v1
; %bb.8:
	s_or_b32 exec_lo, exec_lo, s0
	v_mov_b32_e32 v6, 0
	v_mov_b32_e32 v7, 0
	;; [unrolled: 1-line block ×7, first 2 shown]
	s_and_b32 s0, exec_lo, s10
	s_mov_b32 s11, 0
	s_cselect_b32 s10, s8, 0
	s_mov_b32 s13, exec_lo
	s_waitcnt lgkmcnt(0)
	s_barrier
	buffer_gl0_inv
	v_cmpx_gt_i32_e64 s12, v0
	s_cbranch_execz .LBB338_12
; %bb.9:
	s_load_dwordx4 s[0:3], s[4:5], 0x0
	s_mul_hi_u32 s15, s27, s10
	s_mul_hi_i32 s29, s21, s10
	s_mul_i32 s28, s21, s10
	s_mul_i32 s8, s9, s24
	;; [unrolled: 1-line block ×4, first 2 shown]
	s_add_i32 s15, s10, s15
	s_lshl_b64 s[28:29], s[28:29], 2
	s_ashr_i32 s9, s8, 31
	s_ashr_i32 s25, s24, 31
	;; [unrolled: 1-line block ×3, first 2 shown]
	s_lshr_b32 s14, s15, s14
	s_mov_b32 s34, s17
	s_mul_hi_i32 s21, s14, s20
	s_mul_i32 s20, s14, s20
	v_lshlrev_b32_e32 v2, 3, v0
	v_lshlrev_b32_e32 v1, 2, v0
	v_mov_b32_e32 v12, 0
	v_mov_b32_e32 v13, v0
	s_waitcnt lgkmcnt(0)
	s_add_u32 s15, s2, s28
	s_addc_u32 s16, s3, s29
	s_lshl_b64 s[30:31], s[30:31], 2
	v_mov_b32_e32 v11, 0
	s_add_u32 s14, s15, s30
	s_addc_u32 s15, s16, s31
	s_lshl_b64 s[8:9], s[8:9], 1
	s_ashr_i32 s35, s17, 31
	s_add_i32 s16, s17, s17
	s_lshl_b32 s19, s17, 2
	s_lshl_b64 s[20:21], s[20:21], 1
	s_lshl_b64 s[24:25], s[24:25], 1
	s_add_u32 s0, s0, s8
	s_addc_u32 s1, s1, s9
	s_add_u32 s0, s0, s24
	s_addc_u32 s1, s1, s25
	;; [unrolled: 2-line block ×3, first 2 shown]
	s_lshl_b64 s[8:9], s[34:35], 3
	s_add_u32 s2, s2, s30
	s_addc_u32 s3, s3, s31
	s_add_u32 s2, s2, s28
	s_addc_u32 s3, s3, s29
	v_add_co_u32 v3, s2, s2, v2
	v_add_co_ci_u32_e64 v4, null, s3, 0, s2
	v_add_co_u32 v1, s0, s0, v1
	v_add_co_ci_u32_e64 v2, null, s1, 0, s0
	;; [unrolled: 2-line block ×3, first 2 shown]
	v_mov_b32_e32 v10, 0
	v_mov_b32_e32 v9, 0
	;; [unrolled: 1-line block ×5, first 2 shown]
	s_mul_i32 s1, s17, 3
	s_mul_i32 s2, s17, 5
	;; [unrolled: 1-line block ×3, first 2 shown]
.LBB338_10:                             ; =>This Inner Loop Header: Depth=1
	v_add_nc_u32_e32 v18, s16, v13
	v_add_nc_u32_e32 v20, s1, v13
	;; [unrolled: 1-line block ×5, first 2 shown]
	v_ashrrev_i32_e32 v19, 31, v18
	v_ashrrev_i32_e32 v21, 31, v20
	;; [unrolled: 1-line block ×5, first 2 shown]
	v_lshlrev_b64 v[18:19], 3, v[18:19]
	v_lshlrev_b64 v[20:21], 3, v[20:21]
	v_add_co_u32 v16, s0, v3, s8
	v_lshlrev_b64 v[22:23], 3, v[22:23]
	v_add_co_ci_u32_e64 v17, null, s9, v4, s0
	v_lshlrev_b64 v[24:25], 3, v[24:25]
	v_add_co_u32 v18, s0, s14, v18
	v_lshlrev_b64 v[26:27], 3, v[26:27]
	v_add_co_ci_u32_e64 v19, null, s15, v19, s0
	v_add_co_u32 v20, s0, s14, v20
	v_add_co_ci_u32_e64 v21, null, s15, v21, s0
	v_add_co_u32 v22, s0, s14, v22
	;; [unrolled: 2-line block ×3, first 2 shown]
	global_load_dword v28, v[1:2], off
	global_load_dwordx2 v[14:15], v[3:4], off offset:-4
	v_add_co_ci_u32_e64 v25, null, s15, v25, s0
	v_add_co_u32 v26, s0, s14, v26
	v_add_co_ci_u32_e64 v27, null, s15, v27, s0
	global_load_dwordx2 v[16:17], v[16:17], off offset:-4
	s_clause 0x4
	global_load_dwordx2 v[18:19], v[18:19], off
	global_load_dwordx2 v[20:21], v[20:21], off
	;; [unrolled: 1-line block ×5, first 2 shown]
	v_add_nc_u32_e32 v13, 0x60, v13
	v_add_co_u32 v1, s0, 0x180, v1
	v_add_co_ci_u32_e64 v2, null, 0, v2, s0
	v_add_co_u32 v3, s0, 0x300, v3
	v_add_co_ci_u32_e64 v4, null, 0, v4, s0
	v_cmp_le_i32_e64 s0, s12, v13
	s_or_b32 s11, s0, s11
	s_waitcnt vmcnt(7)
	v_lshlrev_b32_e32 v29, 16, v28
	v_and_b32_e32 v28, 0xffff0000, v28
	s_waitcnt vmcnt(6)
	v_fmac_f32_e32 v12, v14, v29
	s_waitcnt vmcnt(4)
	v_fmac_f32_e32 v10, v18, v29
	;; [unrolled: 2-line block ×3, first 2 shown]
	v_fmac_f32_e32 v11, v16, v29
	s_waitcnt vmcnt(2)
	v_fmac_f32_e32 v8, v22, v29
	s_waitcnt vmcnt(1)
	;; [unrolled: 2-line block ×3, first 2 shown]
	v_fmac_f32_e32 v6, v26, v29
	v_fmac_f32_e32 v12, v15, v28
	;; [unrolled: 1-line block ×8, first 2 shown]
	s_andn2_b32 exec_lo, exec_lo, s11
	s_cbranch_execnz .LBB338_10
; %bb.11:
	s_or_b32 exec_lo, exec_lo, s11
.LBB338_12:
	s_or_b32 exec_lo, exec_lo, s13
	v_mbcnt_lo_u32_b32 v2, -1, 0
	v_xor_b32_e32 v1, 16, v2
	v_xor_b32_e32 v3, 8, v2
	v_cmp_gt_i32_e64 s0, 32, v1
	v_cndmask_b32_e64 v1, v2, v1, s0
	v_cmp_gt_i32_e64 s0, 32, v3
	v_lshlrev_b32_e32 v1, 2, v1
	v_cndmask_b32_e64 v3, v2, v3, s0
	ds_bpermute_b32 v4, v1, v12
	v_lshlrev_b32_e32 v3, 2, v3
	s_waitcnt lgkmcnt(0)
	v_add_f32_e32 v12, v12, v4
	v_xor_b32_e32 v4, 4, v2
	ds_bpermute_b32 v13, v3, v12
	v_cmp_gt_i32_e64 s0, 32, v4
	v_cndmask_b32_e64 v4, v2, v4, s0
	v_lshlrev_b32_e32 v4, 2, v4
	s_waitcnt lgkmcnt(0)
	v_add_f32_e32 v13, v12, v13
	v_xor_b32_e32 v12, 2, v2
	ds_bpermute_b32 v14, v4, v13
	v_cmp_gt_i32_e64 s0, 32, v12
	v_cndmask_b32_e64 v12, v2, v12, s0
	;; [unrolled: 7-line block ×3, first 2 shown]
	v_lshlrev_b32_e32 v13, 2, v2
	s_waitcnt lgkmcnt(0)
	v_add_f32_e32 v2, v14, v15
	v_lshrrev_b32_e32 v14, 3, v0
	ds_bpermute_b32 v15, v13, v2
	v_and_b32_e32 v14, 0x7c, v14
	v_add_nc_u32_e32 v14, 0, v14
	s_waitcnt lgkmcnt(0)
	v_add_f32_e32 v2, v2, v15
	ds_write_b32 v14, v2
	s_waitcnt lgkmcnt(0)
	s_barrier
	buffer_gl0_inv
	s_and_saveexec_b32 s0, vcc_lo
	s_cbranch_execz .LBB338_14
; %bb.13:
	ds_read_b32 v2, v5
	s_waitcnt lgkmcnt(0)
	ds_bpermute_b32 v15, v1, v2
	s_waitcnt lgkmcnt(0)
	v_add_f32_e32 v2, v2, v15
	ds_bpermute_b32 v15, v3, v2
	s_waitcnt lgkmcnt(0)
	v_add_f32_e32 v2, v2, v15
	ds_bpermute_b32 v15, v4, v2
	s_waitcnt lgkmcnt(0)
	v_add_f32_e32 v2, v2, v15
	ds_bpermute_b32 v15, v12, v2
	s_waitcnt lgkmcnt(0)
	v_add_f32_e32 v2, v2, v15
	ds_bpermute_b32 v15, v13, v2
	s_waitcnt lgkmcnt(0)
	v_add_f32_e32 v2, v2, v15
.LBB338_14:
	s_or_b32 exec_lo, exec_lo, s0
	ds_bpermute_b32 v15, v1, v11
	s_waitcnt lgkmcnt(0)
	s_barrier
	buffer_gl0_inv
	v_add_f32_e32 v11, v11, v15
	ds_bpermute_b32 v15, v3, v11
	s_waitcnt lgkmcnt(0)
	v_add_f32_e32 v11, v11, v15
	ds_bpermute_b32 v15, v4, v11
	s_waitcnt lgkmcnt(0)
	v_add_f32_e32 v11, v11, v15
	ds_bpermute_b32 v15, v12, v11
	s_waitcnt lgkmcnt(0)
	v_add_f32_e32 v11, v11, v15
	ds_bpermute_b32 v15, v13, v11
	s_waitcnt lgkmcnt(0)
	v_add_f32_e32 v11, v11, v15
	ds_write_b32 v14, v11
	s_waitcnt lgkmcnt(0)
	s_barrier
	buffer_gl0_inv
	s_and_saveexec_b32 s0, vcc_lo
	s_cbranch_execz .LBB338_16
; %bb.15:
	ds_read_b32 v11, v5
	s_waitcnt lgkmcnt(0)
	ds_bpermute_b32 v15, v1, v11
	s_waitcnt lgkmcnt(0)
	v_add_f32_e32 v11, v11, v15
	ds_bpermute_b32 v15, v3, v11
	s_waitcnt lgkmcnt(0)
	v_add_f32_e32 v11, v11, v15
	ds_bpermute_b32 v15, v4, v11
	s_waitcnt lgkmcnt(0)
	v_add_f32_e32 v11, v11, v15
	ds_bpermute_b32 v15, v12, v11
	s_waitcnt lgkmcnt(0)
	v_add_f32_e32 v11, v11, v15
	ds_bpermute_b32 v15, v13, v11
	s_waitcnt lgkmcnt(0)
	v_add_f32_e32 v11, v11, v15
.LBB338_16:
	s_or_b32 exec_lo, exec_lo, s0
	ds_bpermute_b32 v15, v1, v10
	s_waitcnt lgkmcnt(0)
	s_barrier
	buffer_gl0_inv
	v_add_f32_e32 v10, v10, v15
	ds_bpermute_b32 v15, v3, v10
	s_waitcnt lgkmcnt(0)
	v_add_f32_e32 v10, v10, v15
	ds_bpermute_b32 v15, v4, v10
	s_waitcnt lgkmcnt(0)
	v_add_f32_e32 v10, v10, v15
	ds_bpermute_b32 v15, v12, v10
	s_waitcnt lgkmcnt(0)
	v_add_f32_e32 v10, v10, v15
	ds_bpermute_b32 v15, v13, v10
	;; [unrolled: 43-line block ×6, first 2 shown]
	s_waitcnt lgkmcnt(0)
	v_add_f32_e32 v6, v6, v15
	ds_write_b32 v14, v6
	s_waitcnt lgkmcnt(0)
	s_barrier
	buffer_gl0_inv
	s_and_saveexec_b32 s0, vcc_lo
	s_cbranch_execz .LBB338_26
; %bb.25:
	ds_read_b32 v5, v5
	s_waitcnt lgkmcnt(0)
	ds_bpermute_b32 v1, v1, v5
	s_waitcnt lgkmcnt(0)
	v_add_f32_e32 v1, v5, v1
	ds_bpermute_b32 v3, v3, v1
	s_waitcnt lgkmcnt(0)
	v_add_f32_e32 v1, v1, v3
	;; [unrolled: 3-line block ×5, first 2 shown]
.LBB338_26:
	s_or_b32 exec_lo, exec_lo, s0
	s_barrier
	buffer_gl0_inv
	s_mov_b32 s0, exec_lo
	v_cmpx_gt_u32_e32 7, v0
	s_cbranch_execz .LBB338_28
; %bb.27:
	v_cmp_eq_u32_e32 vcc_lo, 1, v0
	s_load_dwordx2 s[0:1], s[4:5], 0x38
	s_mul_hi_i32 s3, s22, s10
	s_mul_i32 s2, s22, s10
	s_mul_i32 s4, s26, s7
	v_cndmask_b32_e32 v1, v2, v11, vcc_lo
	v_cmp_eq_u32_e32 vcc_lo, 2, v0
	s_lshl_b64 s[2:3], s[2:3], 2
	s_ashr_i32 s5, s4, 31
	v_cndmask_b32_e32 v3, v1, v10, vcc_lo
	v_cmp_eq_u32_e32 vcc_lo, 3, v0
	v_mad_u64_u32 v[1:2], null, s18, v0, s[6:7]
	v_cndmask_b32_e32 v2, v3, v9, vcc_lo
	v_cmp_eq_u32_e32 vcc_lo, 4, v0
	s_waitcnt lgkmcnt(0)
	s_add_u32 s2, s0, s2
	s_addc_u32 s3, s1, s3
	v_cndmask_b32_e32 v3, v2, v8, vcc_lo
	v_ashrrev_i32_e32 v2, 31, v1
	v_cmp_eq_u32_e32 vcc_lo, 5, v0
	s_lshl_b64 s[0:1], s[4:5], 2
	s_add_u32 s0, s2, s0
	v_lshlrev_b64 v[1:2], 2, v[1:2]
	v_cndmask_b32_e32 v3, v3, v7, vcc_lo
	v_cmp_eq_u32_e32 vcc_lo, 6, v0
	s_addc_u32 s1, s3, s1
	v_cndmask_b32_e32 v3, v3, v6, vcc_lo
	v_add_co_u32 v0, vcc_lo, s0, v1
	v_add_co_ci_u32_e64 v1, null, s1, v2, vcc_lo
	global_store_dword v[0:1], v3, off
.LBB338_28:
	s_endpgm
	.section	.rodata,"a",@progbits
	.p2align	6, 0x0
	.amdhsa_kernel _ZL13mul_mat_vec_fI14__hip_bfloat16fLi7ELi96ELb0ELb0EEvPKT_PKfPKi31ggml_cuda_mm_fusion_args_devicePfi15HIP_vector_typeIjLj3EEiiiSB_iiiSB_iiii
		.amdhsa_group_segment_fixed_size 0
		.amdhsa_private_segment_fixed_size 0
		.amdhsa_kernarg_size 144
		.amdhsa_user_sgpr_count 6
		.amdhsa_user_sgpr_private_segment_buffer 1
		.amdhsa_user_sgpr_dispatch_ptr 0
		.amdhsa_user_sgpr_queue_ptr 0
		.amdhsa_user_sgpr_kernarg_segment_ptr 1
		.amdhsa_user_sgpr_dispatch_id 0
		.amdhsa_user_sgpr_flat_scratch_init 0
		.amdhsa_user_sgpr_private_segment_size 0
		.amdhsa_wavefront_size32 1
		.amdhsa_uses_dynamic_stack 0
		.amdhsa_system_sgpr_private_segment_wavefront_offset 0
		.amdhsa_system_sgpr_workgroup_id_x 1
		.amdhsa_system_sgpr_workgroup_id_y 1
		.amdhsa_system_sgpr_workgroup_id_z 1
		.amdhsa_system_sgpr_workgroup_info 0
		.amdhsa_system_vgpr_workitem_id 0
		.amdhsa_next_free_vgpr 30
		.amdhsa_next_free_sgpr 36
		.amdhsa_reserve_vcc 1
		.amdhsa_reserve_flat_scratch 0
		.amdhsa_float_round_mode_32 0
		.amdhsa_float_round_mode_16_64 0
		.amdhsa_float_denorm_mode_32 3
		.amdhsa_float_denorm_mode_16_64 3
		.amdhsa_dx10_clamp 1
		.amdhsa_ieee_mode 1
		.amdhsa_fp16_overflow 0
		.amdhsa_workgroup_processor_mode 1
		.amdhsa_memory_ordered 1
		.amdhsa_forward_progress 1
		.amdhsa_shared_vgpr_count 0
		.amdhsa_exception_fp_ieee_invalid_op 0
		.amdhsa_exception_fp_denorm_src 0
		.amdhsa_exception_fp_ieee_div_zero 0
		.amdhsa_exception_fp_ieee_overflow 0
		.amdhsa_exception_fp_ieee_underflow 0
		.amdhsa_exception_fp_ieee_inexact 0
		.amdhsa_exception_int_div_zero 0
	.end_amdhsa_kernel
	.section	.text._ZL13mul_mat_vec_fI14__hip_bfloat16fLi7ELi96ELb0ELb0EEvPKT_PKfPKi31ggml_cuda_mm_fusion_args_devicePfi15HIP_vector_typeIjLj3EEiiiSB_iiiSB_iiii,"axG",@progbits,_ZL13mul_mat_vec_fI14__hip_bfloat16fLi7ELi96ELb0ELb0EEvPKT_PKfPKi31ggml_cuda_mm_fusion_args_devicePfi15HIP_vector_typeIjLj3EEiiiSB_iiiSB_iiii,comdat
.Lfunc_end338:
	.size	_ZL13mul_mat_vec_fI14__hip_bfloat16fLi7ELi96ELb0ELb0EEvPKT_PKfPKi31ggml_cuda_mm_fusion_args_devicePfi15HIP_vector_typeIjLj3EEiiiSB_iiiSB_iiii, .Lfunc_end338-_ZL13mul_mat_vec_fI14__hip_bfloat16fLi7ELi96ELb0ELb0EEvPKT_PKfPKi31ggml_cuda_mm_fusion_args_devicePfi15HIP_vector_typeIjLj3EEiiiSB_iiiSB_iiii
                                        ; -- End function
	.set _ZL13mul_mat_vec_fI14__hip_bfloat16fLi7ELi96ELb0ELb0EEvPKT_PKfPKi31ggml_cuda_mm_fusion_args_devicePfi15HIP_vector_typeIjLj3EEiiiSB_iiiSB_iiii.num_vgpr, 30
	.set _ZL13mul_mat_vec_fI14__hip_bfloat16fLi7ELi96ELb0ELb0EEvPKT_PKfPKi31ggml_cuda_mm_fusion_args_devicePfi15HIP_vector_typeIjLj3EEiiiSB_iiiSB_iiii.num_agpr, 0
	.set _ZL13mul_mat_vec_fI14__hip_bfloat16fLi7ELi96ELb0ELb0EEvPKT_PKfPKi31ggml_cuda_mm_fusion_args_devicePfi15HIP_vector_typeIjLj3EEiiiSB_iiiSB_iiii.numbered_sgpr, 36
	.set _ZL13mul_mat_vec_fI14__hip_bfloat16fLi7ELi96ELb0ELb0EEvPKT_PKfPKi31ggml_cuda_mm_fusion_args_devicePfi15HIP_vector_typeIjLj3EEiiiSB_iiiSB_iiii.num_named_barrier, 0
	.set _ZL13mul_mat_vec_fI14__hip_bfloat16fLi7ELi96ELb0ELb0EEvPKT_PKfPKi31ggml_cuda_mm_fusion_args_devicePfi15HIP_vector_typeIjLj3EEiiiSB_iiiSB_iiii.private_seg_size, 0
	.set _ZL13mul_mat_vec_fI14__hip_bfloat16fLi7ELi96ELb0ELb0EEvPKT_PKfPKi31ggml_cuda_mm_fusion_args_devicePfi15HIP_vector_typeIjLj3EEiiiSB_iiiSB_iiii.uses_vcc, 1
	.set _ZL13mul_mat_vec_fI14__hip_bfloat16fLi7ELi96ELb0ELb0EEvPKT_PKfPKi31ggml_cuda_mm_fusion_args_devicePfi15HIP_vector_typeIjLj3EEiiiSB_iiiSB_iiii.uses_flat_scratch, 0
	.set _ZL13mul_mat_vec_fI14__hip_bfloat16fLi7ELi96ELb0ELb0EEvPKT_PKfPKi31ggml_cuda_mm_fusion_args_devicePfi15HIP_vector_typeIjLj3EEiiiSB_iiiSB_iiii.has_dyn_sized_stack, 0
	.set _ZL13mul_mat_vec_fI14__hip_bfloat16fLi7ELi96ELb0ELb0EEvPKT_PKfPKi31ggml_cuda_mm_fusion_args_devicePfi15HIP_vector_typeIjLj3EEiiiSB_iiiSB_iiii.has_recursion, 0
	.set _ZL13mul_mat_vec_fI14__hip_bfloat16fLi7ELi96ELb0ELb0EEvPKT_PKfPKi31ggml_cuda_mm_fusion_args_devicePfi15HIP_vector_typeIjLj3EEiiiSB_iiiSB_iiii.has_indirect_call, 0
	.section	.AMDGPU.csdata,"",@progbits
; Kernel info:
; codeLenInByte = 2792
; TotalNumSgprs: 38
; NumVgprs: 30
; ScratchSize: 0
; MemoryBound: 0
; FloatMode: 240
; IeeeMode: 1
; LDSByteSize: 0 bytes/workgroup (compile time only)
; SGPRBlocks: 0
; VGPRBlocks: 3
; NumSGPRsForWavesPerEU: 38
; NumVGPRsForWavesPerEU: 30
; Occupancy: 16
; WaveLimiterHint : 0
; COMPUTE_PGM_RSRC2:SCRATCH_EN: 0
; COMPUTE_PGM_RSRC2:USER_SGPR: 6
; COMPUTE_PGM_RSRC2:TRAP_HANDLER: 0
; COMPUTE_PGM_RSRC2:TGID_X_EN: 1
; COMPUTE_PGM_RSRC2:TGID_Y_EN: 1
; COMPUTE_PGM_RSRC2:TGID_Z_EN: 1
; COMPUTE_PGM_RSRC2:TIDIG_COMP_CNT: 0
	.section	.text._ZL13mul_mat_vec_fI14__hip_bfloat16fLi7ELi128ELb0ELb0EEvPKT_PKfPKi31ggml_cuda_mm_fusion_args_devicePfi15HIP_vector_typeIjLj3EEiiiSB_iiiSB_iiii,"axG",@progbits,_ZL13mul_mat_vec_fI14__hip_bfloat16fLi7ELi128ELb0ELb0EEvPKT_PKfPKi31ggml_cuda_mm_fusion_args_devicePfi15HIP_vector_typeIjLj3EEiiiSB_iiiSB_iiii,comdat
	.globl	_ZL13mul_mat_vec_fI14__hip_bfloat16fLi7ELi128ELb0ELb0EEvPKT_PKfPKi31ggml_cuda_mm_fusion_args_devicePfi15HIP_vector_typeIjLj3EEiiiSB_iiiSB_iiii ; -- Begin function _ZL13mul_mat_vec_fI14__hip_bfloat16fLi7ELi128ELb0ELb0EEvPKT_PKfPKi31ggml_cuda_mm_fusion_args_devicePfi15HIP_vector_typeIjLj3EEiiiSB_iiiSB_iiii
	.p2align	8
	.type	_ZL13mul_mat_vec_fI14__hip_bfloat16fLi7ELi128ELb0ELb0EEvPKT_PKfPKi31ggml_cuda_mm_fusion_args_devicePfi15HIP_vector_typeIjLj3EEiiiSB_iiiSB_iiii,@function
_ZL13mul_mat_vec_fI14__hip_bfloat16fLi7ELi128ELb0ELb0EEvPKT_PKfPKi31ggml_cuda_mm_fusion_args_devicePfi15HIP_vector_typeIjLj3EEiiiSB_iiiSB_iiii: ; @_ZL13mul_mat_vec_fI14__hip_bfloat16fLi7ELi128ELb0ELb0EEvPKT_PKfPKi31ggml_cuda_mm_fusion_args_devicePfi15HIP_vector_typeIjLj3EEiiiSB_iiiSB_iiii
; %bb.0:
	s_clause 0x2
	s_load_dwordx2 s[0:1], s[4:5], 0x10
	s_load_dwordx8 s[12:19], s[4:5], 0x40
	s_load_dwordx4 s[20:23], s[4:5], 0x80
	s_waitcnt lgkmcnt(0)
	s_cmp_eq_u64 s[0:1], 0
	s_cselect_b32 s10, -1, 0
	s_cmp_lg_u64 s[0:1], 0
	s_cselect_b32 s11, -1, 0
	s_and_b32 vcc_lo, exec_lo, s10
	s_cbranch_vccnz .LBB339_2
; %bb.1:
	s_mul_i32 s2, s23, s8
	s_mov_b32 s3, 0
	s_add_i32 s2, s2, s7
	s_lshl_b64 s[24:25], s[2:3], 2
	s_add_u32 s0, s0, s24
	s_addc_u32 s1, s1, s25
	s_load_dword s9, s[0:1], 0x0
	s_cbranch_execz .LBB339_3
	s_branch .LBB339_4
.LBB339_2:
                                        ; implicit-def: $sgpr9
.LBB339_3:
	s_load_dwordx2 s[0:1], s[4:5], 0x5c
	s_waitcnt lgkmcnt(0)
	s_mul_hi_u32 s0, s0, s7
	s_add_i32 s0, s7, s0
	s_lshr_b32 s9, s0, s1
.LBB339_4:
	s_load_dwordx4 s[24:27], s[4:5], 0x68
	s_andn2_b32 vcc_lo, exec_lo, s11
	s_mov_b32 s19, s7
	s_cbranch_vccnz .LBB339_6
; %bb.5:
	s_mul_hi_u32 s0, s13, s7
	s_add_i32 s0, s7, s0
	s_lshr_b32 s0, s0, s14
	s_mul_i32 s0, s0, s15
	s_sub_i32 s19, s7, s0
.LBB339_6:
	s_load_dword s14, s[4:5], 0x78
	v_cmp_gt_u32_e32 vcc_lo, 32, v0
	v_lshl_add_u32 v5, v0, 2, 0
	s_and_saveexec_b32 s0, vcc_lo
; %bb.7:
	v_mov_b32_e32 v1, 0
	ds_write_b32 v5, v1
; %bb.8:
	s_or_b32 exec_lo, exec_lo, s0
	v_mov_b32_e32 v6, 0
	v_mov_b32_e32 v7, 0
	;; [unrolled: 1-line block ×7, first 2 shown]
	s_and_b32 s0, exec_lo, s10
	s_mov_b32 s11, 0
	s_cselect_b32 s10, s8, 0
	s_mov_b32 s13, exec_lo
	s_waitcnt lgkmcnt(0)
	s_barrier
	buffer_gl0_inv
	v_cmpx_gt_i32_e64 s12, v0
	s_cbranch_execz .LBB339_12
; %bb.9:
	s_load_dwordx4 s[0:3], s[4:5], 0x0
	s_mul_hi_u32 s15, s27, s10
	s_mul_hi_i32 s29, s21, s10
	s_mul_i32 s28, s21, s10
	s_mul_i32 s8, s9, s24
	s_mul_i32 s24, s16, s6
	s_mul_i32 s30, s19, s25
	s_add_i32 s15, s10, s15
	s_lshl_b64 s[28:29], s[28:29], 2
	s_ashr_i32 s9, s8, 31
	s_ashr_i32 s25, s24, 31
	;; [unrolled: 1-line block ×3, first 2 shown]
	s_lshr_b32 s14, s15, s14
	s_mov_b32 s34, s17
	s_mul_hi_i32 s21, s14, s20
	s_mul_i32 s20, s14, s20
	v_lshlrev_b32_e32 v2, 3, v0
	v_lshlrev_b32_e32 v1, 2, v0
	v_mov_b32_e32 v12, 0
	v_mov_b32_e32 v13, v0
	s_waitcnt lgkmcnt(0)
	s_add_u32 s15, s2, s28
	s_addc_u32 s16, s3, s29
	s_lshl_b64 s[30:31], s[30:31], 2
	v_mov_b32_e32 v11, 0
	s_add_u32 s14, s15, s30
	s_addc_u32 s15, s16, s31
	s_lshl_b64 s[8:9], s[8:9], 1
	s_ashr_i32 s35, s17, 31
	s_add_i32 s16, s17, s17
	s_lshl_b32 s19, s17, 2
	s_lshl_b64 s[20:21], s[20:21], 1
	s_lshl_b64 s[24:25], s[24:25], 1
	s_add_u32 s0, s0, s8
	s_addc_u32 s1, s1, s9
	s_add_u32 s0, s0, s24
	s_addc_u32 s1, s1, s25
	;; [unrolled: 2-line block ×3, first 2 shown]
	s_lshl_b64 s[8:9], s[34:35], 3
	s_add_u32 s2, s2, s30
	s_addc_u32 s3, s3, s31
	s_add_u32 s2, s2, s28
	s_addc_u32 s3, s3, s29
	v_add_co_u32 v3, s2, s2, v2
	v_add_co_ci_u32_e64 v4, null, s3, 0, s2
	v_add_co_u32 v1, s0, s0, v1
	v_add_co_ci_u32_e64 v2, null, s1, 0, s0
	;; [unrolled: 2-line block ×3, first 2 shown]
	v_mov_b32_e32 v10, 0
	v_mov_b32_e32 v9, 0
	;; [unrolled: 1-line block ×5, first 2 shown]
	s_mul_i32 s1, s17, 3
	s_mul_i32 s2, s17, 5
	;; [unrolled: 1-line block ×3, first 2 shown]
.LBB339_10:                             ; =>This Inner Loop Header: Depth=1
	v_add_nc_u32_e32 v18, s16, v13
	v_add_nc_u32_e32 v20, s1, v13
	;; [unrolled: 1-line block ×5, first 2 shown]
	v_ashrrev_i32_e32 v19, 31, v18
	v_ashrrev_i32_e32 v21, 31, v20
	;; [unrolled: 1-line block ×5, first 2 shown]
	v_lshlrev_b64 v[18:19], 3, v[18:19]
	v_lshlrev_b64 v[20:21], 3, v[20:21]
	v_add_co_u32 v16, s0, v3, s8
	v_lshlrev_b64 v[22:23], 3, v[22:23]
	v_add_co_ci_u32_e64 v17, null, s9, v4, s0
	v_lshlrev_b64 v[24:25], 3, v[24:25]
	v_add_co_u32 v18, s0, s14, v18
	v_lshlrev_b64 v[26:27], 3, v[26:27]
	v_add_co_ci_u32_e64 v19, null, s15, v19, s0
	v_add_co_u32 v20, s0, s14, v20
	v_add_co_ci_u32_e64 v21, null, s15, v21, s0
	v_add_co_u32 v22, s0, s14, v22
	;; [unrolled: 2-line block ×3, first 2 shown]
	global_load_dword v28, v[1:2], off
	global_load_dwordx2 v[14:15], v[3:4], off offset:-4
	v_add_co_ci_u32_e64 v25, null, s15, v25, s0
	v_add_co_u32 v26, s0, s14, v26
	v_add_co_ci_u32_e64 v27, null, s15, v27, s0
	global_load_dwordx2 v[16:17], v[16:17], off offset:-4
	s_clause 0x4
	global_load_dwordx2 v[18:19], v[18:19], off
	global_load_dwordx2 v[20:21], v[20:21], off
	;; [unrolled: 1-line block ×5, first 2 shown]
	v_add_nc_u32_e32 v13, 0x80, v13
	v_add_co_u32 v1, s0, 0x200, v1
	v_add_co_ci_u32_e64 v2, null, 0, v2, s0
	v_add_co_u32 v3, s0, 0x400, v3
	v_add_co_ci_u32_e64 v4, null, 0, v4, s0
	v_cmp_le_i32_e64 s0, s12, v13
	s_or_b32 s11, s0, s11
	s_waitcnt vmcnt(7)
	v_lshlrev_b32_e32 v29, 16, v28
	v_and_b32_e32 v28, 0xffff0000, v28
	s_waitcnt vmcnt(6)
	v_fmac_f32_e32 v12, v14, v29
	s_waitcnt vmcnt(4)
	v_fmac_f32_e32 v10, v18, v29
	;; [unrolled: 2-line block ×3, first 2 shown]
	v_fmac_f32_e32 v11, v16, v29
	s_waitcnt vmcnt(2)
	v_fmac_f32_e32 v8, v22, v29
	s_waitcnt vmcnt(1)
	;; [unrolled: 2-line block ×3, first 2 shown]
	v_fmac_f32_e32 v6, v26, v29
	v_fmac_f32_e32 v12, v15, v28
	;; [unrolled: 1-line block ×8, first 2 shown]
	s_andn2_b32 exec_lo, exec_lo, s11
	s_cbranch_execnz .LBB339_10
; %bb.11:
	s_or_b32 exec_lo, exec_lo, s11
.LBB339_12:
	s_or_b32 exec_lo, exec_lo, s13
	v_mbcnt_lo_u32_b32 v2, -1, 0
	v_xor_b32_e32 v1, 16, v2
	v_xor_b32_e32 v3, 8, v2
	v_cmp_gt_i32_e64 s0, 32, v1
	v_cndmask_b32_e64 v1, v2, v1, s0
	v_cmp_gt_i32_e64 s0, 32, v3
	v_lshlrev_b32_e32 v1, 2, v1
	v_cndmask_b32_e64 v3, v2, v3, s0
	ds_bpermute_b32 v4, v1, v12
	v_lshlrev_b32_e32 v3, 2, v3
	s_waitcnt lgkmcnt(0)
	v_add_f32_e32 v12, v12, v4
	v_xor_b32_e32 v4, 4, v2
	ds_bpermute_b32 v13, v3, v12
	v_cmp_gt_i32_e64 s0, 32, v4
	v_cndmask_b32_e64 v4, v2, v4, s0
	v_lshlrev_b32_e32 v4, 2, v4
	s_waitcnt lgkmcnt(0)
	v_add_f32_e32 v13, v12, v13
	v_xor_b32_e32 v12, 2, v2
	ds_bpermute_b32 v14, v4, v13
	v_cmp_gt_i32_e64 s0, 32, v12
	v_cndmask_b32_e64 v12, v2, v12, s0
	;; [unrolled: 7-line block ×3, first 2 shown]
	v_lshlrev_b32_e32 v13, 2, v2
	s_waitcnt lgkmcnt(0)
	v_add_f32_e32 v2, v14, v15
	v_lshrrev_b32_e32 v14, 3, v0
	ds_bpermute_b32 v15, v13, v2
	v_and_b32_e32 v14, 0x7c, v14
	v_add_nc_u32_e32 v14, 0, v14
	s_waitcnt lgkmcnt(0)
	v_add_f32_e32 v2, v2, v15
	ds_write_b32 v14, v2
	s_waitcnt lgkmcnt(0)
	s_barrier
	buffer_gl0_inv
	s_and_saveexec_b32 s0, vcc_lo
	s_cbranch_execz .LBB339_14
; %bb.13:
	ds_read_b32 v2, v5
	s_waitcnt lgkmcnt(0)
	ds_bpermute_b32 v15, v1, v2
	s_waitcnt lgkmcnt(0)
	v_add_f32_e32 v2, v2, v15
	ds_bpermute_b32 v15, v3, v2
	s_waitcnt lgkmcnt(0)
	v_add_f32_e32 v2, v2, v15
	ds_bpermute_b32 v15, v4, v2
	s_waitcnt lgkmcnt(0)
	v_add_f32_e32 v2, v2, v15
	ds_bpermute_b32 v15, v12, v2
	s_waitcnt lgkmcnt(0)
	v_add_f32_e32 v2, v2, v15
	ds_bpermute_b32 v15, v13, v2
	s_waitcnt lgkmcnt(0)
	v_add_f32_e32 v2, v2, v15
.LBB339_14:
	s_or_b32 exec_lo, exec_lo, s0
	ds_bpermute_b32 v15, v1, v11
	s_waitcnt lgkmcnt(0)
	s_barrier
	buffer_gl0_inv
	v_add_f32_e32 v11, v11, v15
	ds_bpermute_b32 v15, v3, v11
	s_waitcnt lgkmcnt(0)
	v_add_f32_e32 v11, v11, v15
	ds_bpermute_b32 v15, v4, v11
	s_waitcnt lgkmcnt(0)
	v_add_f32_e32 v11, v11, v15
	ds_bpermute_b32 v15, v12, v11
	s_waitcnt lgkmcnt(0)
	v_add_f32_e32 v11, v11, v15
	ds_bpermute_b32 v15, v13, v11
	s_waitcnt lgkmcnt(0)
	v_add_f32_e32 v11, v11, v15
	ds_write_b32 v14, v11
	s_waitcnt lgkmcnt(0)
	s_barrier
	buffer_gl0_inv
	s_and_saveexec_b32 s0, vcc_lo
	s_cbranch_execz .LBB339_16
; %bb.15:
	ds_read_b32 v11, v5
	s_waitcnt lgkmcnt(0)
	ds_bpermute_b32 v15, v1, v11
	s_waitcnt lgkmcnt(0)
	v_add_f32_e32 v11, v11, v15
	ds_bpermute_b32 v15, v3, v11
	s_waitcnt lgkmcnt(0)
	v_add_f32_e32 v11, v11, v15
	ds_bpermute_b32 v15, v4, v11
	s_waitcnt lgkmcnt(0)
	v_add_f32_e32 v11, v11, v15
	ds_bpermute_b32 v15, v12, v11
	s_waitcnt lgkmcnt(0)
	v_add_f32_e32 v11, v11, v15
	ds_bpermute_b32 v15, v13, v11
	s_waitcnt lgkmcnt(0)
	v_add_f32_e32 v11, v11, v15
.LBB339_16:
	s_or_b32 exec_lo, exec_lo, s0
	ds_bpermute_b32 v15, v1, v10
	s_waitcnt lgkmcnt(0)
	s_barrier
	buffer_gl0_inv
	v_add_f32_e32 v10, v10, v15
	ds_bpermute_b32 v15, v3, v10
	s_waitcnt lgkmcnt(0)
	v_add_f32_e32 v10, v10, v15
	ds_bpermute_b32 v15, v4, v10
	s_waitcnt lgkmcnt(0)
	v_add_f32_e32 v10, v10, v15
	ds_bpermute_b32 v15, v12, v10
	s_waitcnt lgkmcnt(0)
	v_add_f32_e32 v10, v10, v15
	ds_bpermute_b32 v15, v13, v10
	;; [unrolled: 43-line block ×6, first 2 shown]
	s_waitcnt lgkmcnt(0)
	v_add_f32_e32 v6, v6, v15
	ds_write_b32 v14, v6
	s_waitcnt lgkmcnt(0)
	s_barrier
	buffer_gl0_inv
	s_and_saveexec_b32 s0, vcc_lo
	s_cbranch_execz .LBB339_26
; %bb.25:
	ds_read_b32 v5, v5
	s_waitcnt lgkmcnt(0)
	ds_bpermute_b32 v1, v1, v5
	s_waitcnt lgkmcnt(0)
	v_add_f32_e32 v1, v5, v1
	ds_bpermute_b32 v3, v3, v1
	s_waitcnt lgkmcnt(0)
	v_add_f32_e32 v1, v1, v3
	;; [unrolled: 3-line block ×5, first 2 shown]
.LBB339_26:
	s_or_b32 exec_lo, exec_lo, s0
	s_barrier
	buffer_gl0_inv
	s_mov_b32 s0, exec_lo
	v_cmpx_gt_u32_e32 7, v0
	s_cbranch_execz .LBB339_28
; %bb.27:
	v_cmp_eq_u32_e32 vcc_lo, 1, v0
	s_load_dwordx2 s[0:1], s[4:5], 0x38
	s_mul_hi_i32 s3, s22, s10
	s_mul_i32 s2, s22, s10
	s_mul_i32 s4, s26, s7
	v_cndmask_b32_e32 v1, v2, v11, vcc_lo
	v_cmp_eq_u32_e32 vcc_lo, 2, v0
	s_lshl_b64 s[2:3], s[2:3], 2
	s_ashr_i32 s5, s4, 31
	v_cndmask_b32_e32 v3, v1, v10, vcc_lo
	v_cmp_eq_u32_e32 vcc_lo, 3, v0
	v_mad_u64_u32 v[1:2], null, s18, v0, s[6:7]
	v_cndmask_b32_e32 v2, v3, v9, vcc_lo
	v_cmp_eq_u32_e32 vcc_lo, 4, v0
	s_waitcnt lgkmcnt(0)
	s_add_u32 s2, s0, s2
	s_addc_u32 s3, s1, s3
	v_cndmask_b32_e32 v3, v2, v8, vcc_lo
	v_ashrrev_i32_e32 v2, 31, v1
	v_cmp_eq_u32_e32 vcc_lo, 5, v0
	s_lshl_b64 s[0:1], s[4:5], 2
	s_add_u32 s0, s2, s0
	v_lshlrev_b64 v[1:2], 2, v[1:2]
	v_cndmask_b32_e32 v3, v3, v7, vcc_lo
	v_cmp_eq_u32_e32 vcc_lo, 6, v0
	s_addc_u32 s1, s3, s1
	v_cndmask_b32_e32 v3, v3, v6, vcc_lo
	v_add_co_u32 v0, vcc_lo, s0, v1
	v_add_co_ci_u32_e64 v1, null, s1, v2, vcc_lo
	global_store_dword v[0:1], v3, off
.LBB339_28:
	s_endpgm
	.section	.rodata,"a",@progbits
	.p2align	6, 0x0
	.amdhsa_kernel _ZL13mul_mat_vec_fI14__hip_bfloat16fLi7ELi128ELb0ELb0EEvPKT_PKfPKi31ggml_cuda_mm_fusion_args_devicePfi15HIP_vector_typeIjLj3EEiiiSB_iiiSB_iiii
		.amdhsa_group_segment_fixed_size 0
		.amdhsa_private_segment_fixed_size 0
		.amdhsa_kernarg_size 144
		.amdhsa_user_sgpr_count 6
		.amdhsa_user_sgpr_private_segment_buffer 1
		.amdhsa_user_sgpr_dispatch_ptr 0
		.amdhsa_user_sgpr_queue_ptr 0
		.amdhsa_user_sgpr_kernarg_segment_ptr 1
		.amdhsa_user_sgpr_dispatch_id 0
		.amdhsa_user_sgpr_flat_scratch_init 0
		.amdhsa_user_sgpr_private_segment_size 0
		.amdhsa_wavefront_size32 1
		.amdhsa_uses_dynamic_stack 0
		.amdhsa_system_sgpr_private_segment_wavefront_offset 0
		.amdhsa_system_sgpr_workgroup_id_x 1
		.amdhsa_system_sgpr_workgroup_id_y 1
		.amdhsa_system_sgpr_workgroup_id_z 1
		.amdhsa_system_sgpr_workgroup_info 0
		.amdhsa_system_vgpr_workitem_id 0
		.amdhsa_next_free_vgpr 30
		.amdhsa_next_free_sgpr 36
		.amdhsa_reserve_vcc 1
		.amdhsa_reserve_flat_scratch 0
		.amdhsa_float_round_mode_32 0
		.amdhsa_float_round_mode_16_64 0
		.amdhsa_float_denorm_mode_32 3
		.amdhsa_float_denorm_mode_16_64 3
		.amdhsa_dx10_clamp 1
		.amdhsa_ieee_mode 1
		.amdhsa_fp16_overflow 0
		.amdhsa_workgroup_processor_mode 1
		.amdhsa_memory_ordered 1
		.amdhsa_forward_progress 1
		.amdhsa_shared_vgpr_count 0
		.amdhsa_exception_fp_ieee_invalid_op 0
		.amdhsa_exception_fp_denorm_src 0
		.amdhsa_exception_fp_ieee_div_zero 0
		.amdhsa_exception_fp_ieee_overflow 0
		.amdhsa_exception_fp_ieee_underflow 0
		.amdhsa_exception_fp_ieee_inexact 0
		.amdhsa_exception_int_div_zero 0
	.end_amdhsa_kernel
	.section	.text._ZL13mul_mat_vec_fI14__hip_bfloat16fLi7ELi128ELb0ELb0EEvPKT_PKfPKi31ggml_cuda_mm_fusion_args_devicePfi15HIP_vector_typeIjLj3EEiiiSB_iiiSB_iiii,"axG",@progbits,_ZL13mul_mat_vec_fI14__hip_bfloat16fLi7ELi128ELb0ELb0EEvPKT_PKfPKi31ggml_cuda_mm_fusion_args_devicePfi15HIP_vector_typeIjLj3EEiiiSB_iiiSB_iiii,comdat
.Lfunc_end339:
	.size	_ZL13mul_mat_vec_fI14__hip_bfloat16fLi7ELi128ELb0ELb0EEvPKT_PKfPKi31ggml_cuda_mm_fusion_args_devicePfi15HIP_vector_typeIjLj3EEiiiSB_iiiSB_iiii, .Lfunc_end339-_ZL13mul_mat_vec_fI14__hip_bfloat16fLi7ELi128ELb0ELb0EEvPKT_PKfPKi31ggml_cuda_mm_fusion_args_devicePfi15HIP_vector_typeIjLj3EEiiiSB_iiiSB_iiii
                                        ; -- End function
	.set _ZL13mul_mat_vec_fI14__hip_bfloat16fLi7ELi128ELb0ELb0EEvPKT_PKfPKi31ggml_cuda_mm_fusion_args_devicePfi15HIP_vector_typeIjLj3EEiiiSB_iiiSB_iiii.num_vgpr, 30
	.set _ZL13mul_mat_vec_fI14__hip_bfloat16fLi7ELi128ELb0ELb0EEvPKT_PKfPKi31ggml_cuda_mm_fusion_args_devicePfi15HIP_vector_typeIjLj3EEiiiSB_iiiSB_iiii.num_agpr, 0
	.set _ZL13mul_mat_vec_fI14__hip_bfloat16fLi7ELi128ELb0ELb0EEvPKT_PKfPKi31ggml_cuda_mm_fusion_args_devicePfi15HIP_vector_typeIjLj3EEiiiSB_iiiSB_iiii.numbered_sgpr, 36
	.set _ZL13mul_mat_vec_fI14__hip_bfloat16fLi7ELi128ELb0ELb0EEvPKT_PKfPKi31ggml_cuda_mm_fusion_args_devicePfi15HIP_vector_typeIjLj3EEiiiSB_iiiSB_iiii.num_named_barrier, 0
	.set _ZL13mul_mat_vec_fI14__hip_bfloat16fLi7ELi128ELb0ELb0EEvPKT_PKfPKi31ggml_cuda_mm_fusion_args_devicePfi15HIP_vector_typeIjLj3EEiiiSB_iiiSB_iiii.private_seg_size, 0
	.set _ZL13mul_mat_vec_fI14__hip_bfloat16fLi7ELi128ELb0ELb0EEvPKT_PKfPKi31ggml_cuda_mm_fusion_args_devicePfi15HIP_vector_typeIjLj3EEiiiSB_iiiSB_iiii.uses_vcc, 1
	.set _ZL13mul_mat_vec_fI14__hip_bfloat16fLi7ELi128ELb0ELb0EEvPKT_PKfPKi31ggml_cuda_mm_fusion_args_devicePfi15HIP_vector_typeIjLj3EEiiiSB_iiiSB_iiii.uses_flat_scratch, 0
	.set _ZL13mul_mat_vec_fI14__hip_bfloat16fLi7ELi128ELb0ELb0EEvPKT_PKfPKi31ggml_cuda_mm_fusion_args_devicePfi15HIP_vector_typeIjLj3EEiiiSB_iiiSB_iiii.has_dyn_sized_stack, 0
	.set _ZL13mul_mat_vec_fI14__hip_bfloat16fLi7ELi128ELb0ELb0EEvPKT_PKfPKi31ggml_cuda_mm_fusion_args_devicePfi15HIP_vector_typeIjLj3EEiiiSB_iiiSB_iiii.has_recursion, 0
	.set _ZL13mul_mat_vec_fI14__hip_bfloat16fLi7ELi128ELb0ELb0EEvPKT_PKfPKi31ggml_cuda_mm_fusion_args_devicePfi15HIP_vector_typeIjLj3EEiiiSB_iiiSB_iiii.has_indirect_call, 0
	.section	.AMDGPU.csdata,"",@progbits
; Kernel info:
; codeLenInByte = 2792
; TotalNumSgprs: 38
; NumVgprs: 30
; ScratchSize: 0
; MemoryBound: 0
; FloatMode: 240
; IeeeMode: 1
; LDSByteSize: 0 bytes/workgroup (compile time only)
; SGPRBlocks: 0
; VGPRBlocks: 3
; NumSGPRsForWavesPerEU: 38
; NumVGPRsForWavesPerEU: 30
; Occupancy: 16
; WaveLimiterHint : 0
; COMPUTE_PGM_RSRC2:SCRATCH_EN: 0
; COMPUTE_PGM_RSRC2:USER_SGPR: 6
; COMPUTE_PGM_RSRC2:TRAP_HANDLER: 0
; COMPUTE_PGM_RSRC2:TGID_X_EN: 1
; COMPUTE_PGM_RSRC2:TGID_Y_EN: 1
; COMPUTE_PGM_RSRC2:TGID_Z_EN: 1
; COMPUTE_PGM_RSRC2:TIDIG_COMP_CNT: 0
	.section	.text._ZL13mul_mat_vec_fI14__hip_bfloat16fLi7ELi160ELb0ELb0EEvPKT_PKfPKi31ggml_cuda_mm_fusion_args_devicePfi15HIP_vector_typeIjLj3EEiiiSB_iiiSB_iiii,"axG",@progbits,_ZL13mul_mat_vec_fI14__hip_bfloat16fLi7ELi160ELb0ELb0EEvPKT_PKfPKi31ggml_cuda_mm_fusion_args_devicePfi15HIP_vector_typeIjLj3EEiiiSB_iiiSB_iiii,comdat
	.globl	_ZL13mul_mat_vec_fI14__hip_bfloat16fLi7ELi160ELb0ELb0EEvPKT_PKfPKi31ggml_cuda_mm_fusion_args_devicePfi15HIP_vector_typeIjLj3EEiiiSB_iiiSB_iiii ; -- Begin function _ZL13mul_mat_vec_fI14__hip_bfloat16fLi7ELi160ELb0ELb0EEvPKT_PKfPKi31ggml_cuda_mm_fusion_args_devicePfi15HIP_vector_typeIjLj3EEiiiSB_iiiSB_iiii
	.p2align	8
	.type	_ZL13mul_mat_vec_fI14__hip_bfloat16fLi7ELi160ELb0ELb0EEvPKT_PKfPKi31ggml_cuda_mm_fusion_args_devicePfi15HIP_vector_typeIjLj3EEiiiSB_iiiSB_iiii,@function
_ZL13mul_mat_vec_fI14__hip_bfloat16fLi7ELi160ELb0ELb0EEvPKT_PKfPKi31ggml_cuda_mm_fusion_args_devicePfi15HIP_vector_typeIjLj3EEiiiSB_iiiSB_iiii: ; @_ZL13mul_mat_vec_fI14__hip_bfloat16fLi7ELi160ELb0ELb0EEvPKT_PKfPKi31ggml_cuda_mm_fusion_args_devicePfi15HIP_vector_typeIjLj3EEiiiSB_iiiSB_iiii
; %bb.0:
	s_clause 0x2
	s_load_dwordx2 s[0:1], s[4:5], 0x10
	s_load_dwordx8 s[12:19], s[4:5], 0x40
	s_load_dwordx4 s[20:23], s[4:5], 0x80
	s_waitcnt lgkmcnt(0)
	s_cmp_eq_u64 s[0:1], 0
	s_cselect_b32 s10, -1, 0
	s_cmp_lg_u64 s[0:1], 0
	s_cselect_b32 s11, -1, 0
	s_and_b32 vcc_lo, exec_lo, s10
	s_cbranch_vccnz .LBB340_2
; %bb.1:
	s_mul_i32 s2, s23, s8
	s_mov_b32 s3, 0
	s_add_i32 s2, s2, s7
	s_lshl_b64 s[24:25], s[2:3], 2
	s_add_u32 s0, s0, s24
	s_addc_u32 s1, s1, s25
	s_load_dword s9, s[0:1], 0x0
	s_cbranch_execz .LBB340_3
	s_branch .LBB340_4
.LBB340_2:
                                        ; implicit-def: $sgpr9
.LBB340_3:
	s_load_dwordx2 s[0:1], s[4:5], 0x5c
	s_waitcnt lgkmcnt(0)
	s_mul_hi_u32 s0, s0, s7
	s_add_i32 s0, s7, s0
	s_lshr_b32 s9, s0, s1
.LBB340_4:
	s_load_dwordx4 s[24:27], s[4:5], 0x68
	s_andn2_b32 vcc_lo, exec_lo, s11
	s_mov_b32 s19, s7
	s_cbranch_vccnz .LBB340_6
; %bb.5:
	s_mul_hi_u32 s0, s13, s7
	s_add_i32 s0, s7, s0
	s_lshr_b32 s0, s0, s14
	s_mul_i32 s0, s0, s15
	s_sub_i32 s19, s7, s0
.LBB340_6:
	s_load_dword s14, s[4:5], 0x78
	v_cmp_gt_u32_e32 vcc_lo, 32, v0
	v_lshl_add_u32 v5, v0, 2, 0
	s_and_saveexec_b32 s0, vcc_lo
; %bb.7:
	v_mov_b32_e32 v1, 0
	ds_write_b32 v5, v1
; %bb.8:
	s_or_b32 exec_lo, exec_lo, s0
	v_mov_b32_e32 v6, 0
	v_mov_b32_e32 v7, 0
	;; [unrolled: 1-line block ×7, first 2 shown]
	s_and_b32 s0, exec_lo, s10
	s_mov_b32 s11, 0
	s_cselect_b32 s10, s8, 0
	s_mov_b32 s13, exec_lo
	s_waitcnt lgkmcnt(0)
	s_barrier
	buffer_gl0_inv
	v_cmpx_gt_i32_e64 s12, v0
	s_cbranch_execz .LBB340_12
; %bb.9:
	s_load_dwordx4 s[0:3], s[4:5], 0x0
	s_mul_hi_u32 s15, s27, s10
	s_mul_hi_i32 s29, s21, s10
	s_mul_i32 s28, s21, s10
	s_mul_i32 s8, s9, s24
	s_mul_i32 s24, s16, s6
	s_mul_i32 s30, s19, s25
	s_add_i32 s15, s10, s15
	s_lshl_b64 s[28:29], s[28:29], 2
	s_ashr_i32 s9, s8, 31
	s_ashr_i32 s25, s24, 31
	;; [unrolled: 1-line block ×3, first 2 shown]
	s_lshr_b32 s14, s15, s14
	s_mov_b32 s34, s17
	s_mul_hi_i32 s21, s14, s20
	s_mul_i32 s20, s14, s20
	v_lshlrev_b32_e32 v2, 3, v0
	v_lshlrev_b32_e32 v1, 2, v0
	v_mov_b32_e32 v12, 0
	v_mov_b32_e32 v13, v0
	s_waitcnt lgkmcnt(0)
	s_add_u32 s15, s2, s28
	s_addc_u32 s16, s3, s29
	s_lshl_b64 s[30:31], s[30:31], 2
	v_mov_b32_e32 v11, 0
	s_add_u32 s14, s15, s30
	s_addc_u32 s15, s16, s31
	s_lshl_b64 s[8:9], s[8:9], 1
	s_ashr_i32 s35, s17, 31
	s_add_i32 s16, s17, s17
	s_lshl_b32 s19, s17, 2
	s_lshl_b64 s[20:21], s[20:21], 1
	s_lshl_b64 s[24:25], s[24:25], 1
	s_add_u32 s0, s0, s8
	s_addc_u32 s1, s1, s9
	s_add_u32 s0, s0, s24
	s_addc_u32 s1, s1, s25
	;; [unrolled: 2-line block ×3, first 2 shown]
	s_lshl_b64 s[8:9], s[34:35], 3
	s_add_u32 s2, s2, s30
	s_addc_u32 s3, s3, s31
	s_add_u32 s2, s2, s28
	s_addc_u32 s3, s3, s29
	v_add_co_u32 v3, s2, s2, v2
	v_add_co_ci_u32_e64 v4, null, s3, 0, s2
	v_add_co_u32 v1, s0, s0, v1
	v_add_co_ci_u32_e64 v2, null, s1, 0, s0
	;; [unrolled: 2-line block ×3, first 2 shown]
	v_mov_b32_e32 v10, 0
	v_mov_b32_e32 v9, 0
	v_mov_b32_e32 v8, 0
	v_mov_b32_e32 v7, 0
	v_mov_b32_e32 v6, 0
	s_mul_i32 s1, s17, 3
	s_mul_i32 s2, s17, 5
	;; [unrolled: 1-line block ×3, first 2 shown]
.LBB340_10:                             ; =>This Inner Loop Header: Depth=1
	v_add_nc_u32_e32 v18, s16, v13
	v_add_nc_u32_e32 v20, s1, v13
	;; [unrolled: 1-line block ×5, first 2 shown]
	v_ashrrev_i32_e32 v19, 31, v18
	v_ashrrev_i32_e32 v21, 31, v20
	;; [unrolled: 1-line block ×5, first 2 shown]
	v_lshlrev_b64 v[18:19], 3, v[18:19]
	v_lshlrev_b64 v[20:21], 3, v[20:21]
	v_add_co_u32 v16, s0, v3, s8
	v_lshlrev_b64 v[22:23], 3, v[22:23]
	v_add_co_ci_u32_e64 v17, null, s9, v4, s0
	v_lshlrev_b64 v[24:25], 3, v[24:25]
	v_add_co_u32 v18, s0, s14, v18
	v_lshlrev_b64 v[26:27], 3, v[26:27]
	v_add_co_ci_u32_e64 v19, null, s15, v19, s0
	v_add_co_u32 v20, s0, s14, v20
	v_add_co_ci_u32_e64 v21, null, s15, v21, s0
	v_add_co_u32 v22, s0, s14, v22
	;; [unrolled: 2-line block ×3, first 2 shown]
	global_load_dword v28, v[1:2], off
	global_load_dwordx2 v[14:15], v[3:4], off offset:-4
	v_add_co_ci_u32_e64 v25, null, s15, v25, s0
	v_add_co_u32 v26, s0, s14, v26
	v_add_co_ci_u32_e64 v27, null, s15, v27, s0
	global_load_dwordx2 v[16:17], v[16:17], off offset:-4
	s_clause 0x4
	global_load_dwordx2 v[18:19], v[18:19], off
	global_load_dwordx2 v[20:21], v[20:21], off
	;; [unrolled: 1-line block ×5, first 2 shown]
	v_add_nc_u32_e32 v13, 0xa0, v13
	v_add_co_u32 v1, s0, 0x280, v1
	v_add_co_ci_u32_e64 v2, null, 0, v2, s0
	v_add_co_u32 v3, s0, 0x500, v3
	v_add_co_ci_u32_e64 v4, null, 0, v4, s0
	v_cmp_le_i32_e64 s0, s12, v13
	s_or_b32 s11, s0, s11
	s_waitcnt vmcnt(7)
	v_lshlrev_b32_e32 v29, 16, v28
	v_and_b32_e32 v28, 0xffff0000, v28
	s_waitcnt vmcnt(6)
	v_fmac_f32_e32 v12, v14, v29
	s_waitcnt vmcnt(4)
	v_fmac_f32_e32 v10, v18, v29
	s_waitcnt vmcnt(3)
	v_fmac_f32_e32 v9, v20, v29
	v_fmac_f32_e32 v11, v16, v29
	s_waitcnt vmcnt(2)
	v_fmac_f32_e32 v8, v22, v29
	s_waitcnt vmcnt(1)
	;; [unrolled: 2-line block ×3, first 2 shown]
	v_fmac_f32_e32 v6, v26, v29
	v_fmac_f32_e32 v12, v15, v28
	;; [unrolled: 1-line block ×8, first 2 shown]
	s_andn2_b32 exec_lo, exec_lo, s11
	s_cbranch_execnz .LBB340_10
; %bb.11:
	s_or_b32 exec_lo, exec_lo, s11
.LBB340_12:
	s_or_b32 exec_lo, exec_lo, s13
	v_mbcnt_lo_u32_b32 v2, -1, 0
	v_xor_b32_e32 v1, 16, v2
	v_xor_b32_e32 v3, 8, v2
	v_cmp_gt_i32_e64 s0, 32, v1
	v_cndmask_b32_e64 v1, v2, v1, s0
	v_cmp_gt_i32_e64 s0, 32, v3
	v_lshlrev_b32_e32 v1, 2, v1
	v_cndmask_b32_e64 v3, v2, v3, s0
	ds_bpermute_b32 v4, v1, v12
	v_lshlrev_b32_e32 v3, 2, v3
	s_waitcnt lgkmcnt(0)
	v_add_f32_e32 v12, v12, v4
	v_xor_b32_e32 v4, 4, v2
	ds_bpermute_b32 v13, v3, v12
	v_cmp_gt_i32_e64 s0, 32, v4
	v_cndmask_b32_e64 v4, v2, v4, s0
	v_lshlrev_b32_e32 v4, 2, v4
	s_waitcnt lgkmcnt(0)
	v_add_f32_e32 v13, v12, v13
	v_xor_b32_e32 v12, 2, v2
	ds_bpermute_b32 v14, v4, v13
	v_cmp_gt_i32_e64 s0, 32, v12
	v_cndmask_b32_e64 v12, v2, v12, s0
	;; [unrolled: 7-line block ×3, first 2 shown]
	v_lshlrev_b32_e32 v13, 2, v2
	s_waitcnt lgkmcnt(0)
	v_add_f32_e32 v2, v14, v15
	v_lshrrev_b32_e32 v14, 3, v0
	ds_bpermute_b32 v15, v13, v2
	v_and_b32_e32 v14, 0x7c, v14
	v_add_nc_u32_e32 v14, 0, v14
	s_waitcnt lgkmcnt(0)
	v_add_f32_e32 v2, v2, v15
	ds_write_b32 v14, v2
	s_waitcnt lgkmcnt(0)
	s_barrier
	buffer_gl0_inv
	s_and_saveexec_b32 s0, vcc_lo
	s_cbranch_execz .LBB340_14
; %bb.13:
	ds_read_b32 v2, v5
	s_waitcnt lgkmcnt(0)
	ds_bpermute_b32 v15, v1, v2
	s_waitcnt lgkmcnt(0)
	v_add_f32_e32 v2, v2, v15
	ds_bpermute_b32 v15, v3, v2
	s_waitcnt lgkmcnt(0)
	v_add_f32_e32 v2, v2, v15
	ds_bpermute_b32 v15, v4, v2
	s_waitcnt lgkmcnt(0)
	v_add_f32_e32 v2, v2, v15
	ds_bpermute_b32 v15, v12, v2
	s_waitcnt lgkmcnt(0)
	v_add_f32_e32 v2, v2, v15
	ds_bpermute_b32 v15, v13, v2
	s_waitcnt lgkmcnt(0)
	v_add_f32_e32 v2, v2, v15
.LBB340_14:
	s_or_b32 exec_lo, exec_lo, s0
	ds_bpermute_b32 v15, v1, v11
	s_waitcnt lgkmcnt(0)
	s_barrier
	buffer_gl0_inv
	v_add_f32_e32 v11, v11, v15
	ds_bpermute_b32 v15, v3, v11
	s_waitcnt lgkmcnt(0)
	v_add_f32_e32 v11, v11, v15
	ds_bpermute_b32 v15, v4, v11
	s_waitcnt lgkmcnt(0)
	v_add_f32_e32 v11, v11, v15
	ds_bpermute_b32 v15, v12, v11
	s_waitcnt lgkmcnt(0)
	v_add_f32_e32 v11, v11, v15
	ds_bpermute_b32 v15, v13, v11
	s_waitcnt lgkmcnt(0)
	v_add_f32_e32 v11, v11, v15
	ds_write_b32 v14, v11
	s_waitcnt lgkmcnt(0)
	s_barrier
	buffer_gl0_inv
	s_and_saveexec_b32 s0, vcc_lo
	s_cbranch_execz .LBB340_16
; %bb.15:
	ds_read_b32 v11, v5
	s_waitcnt lgkmcnt(0)
	ds_bpermute_b32 v15, v1, v11
	s_waitcnt lgkmcnt(0)
	v_add_f32_e32 v11, v11, v15
	ds_bpermute_b32 v15, v3, v11
	s_waitcnt lgkmcnt(0)
	v_add_f32_e32 v11, v11, v15
	ds_bpermute_b32 v15, v4, v11
	s_waitcnt lgkmcnt(0)
	v_add_f32_e32 v11, v11, v15
	ds_bpermute_b32 v15, v12, v11
	s_waitcnt lgkmcnt(0)
	v_add_f32_e32 v11, v11, v15
	ds_bpermute_b32 v15, v13, v11
	s_waitcnt lgkmcnt(0)
	v_add_f32_e32 v11, v11, v15
.LBB340_16:
	s_or_b32 exec_lo, exec_lo, s0
	ds_bpermute_b32 v15, v1, v10
	s_waitcnt lgkmcnt(0)
	s_barrier
	buffer_gl0_inv
	v_add_f32_e32 v10, v10, v15
	ds_bpermute_b32 v15, v3, v10
	s_waitcnt lgkmcnt(0)
	v_add_f32_e32 v10, v10, v15
	ds_bpermute_b32 v15, v4, v10
	s_waitcnt lgkmcnt(0)
	v_add_f32_e32 v10, v10, v15
	ds_bpermute_b32 v15, v12, v10
	s_waitcnt lgkmcnt(0)
	v_add_f32_e32 v10, v10, v15
	ds_bpermute_b32 v15, v13, v10
	;; [unrolled: 43-line block ×6, first 2 shown]
	s_waitcnt lgkmcnt(0)
	v_add_f32_e32 v6, v6, v15
	ds_write_b32 v14, v6
	s_waitcnt lgkmcnt(0)
	s_barrier
	buffer_gl0_inv
	s_and_saveexec_b32 s0, vcc_lo
	s_cbranch_execz .LBB340_26
; %bb.25:
	ds_read_b32 v5, v5
	s_waitcnt lgkmcnt(0)
	ds_bpermute_b32 v1, v1, v5
	s_waitcnt lgkmcnt(0)
	v_add_f32_e32 v1, v5, v1
	ds_bpermute_b32 v3, v3, v1
	s_waitcnt lgkmcnt(0)
	v_add_f32_e32 v1, v1, v3
	;; [unrolled: 3-line block ×5, first 2 shown]
.LBB340_26:
	s_or_b32 exec_lo, exec_lo, s0
	s_barrier
	buffer_gl0_inv
	s_mov_b32 s0, exec_lo
	v_cmpx_gt_u32_e32 7, v0
	s_cbranch_execz .LBB340_28
; %bb.27:
	v_cmp_eq_u32_e32 vcc_lo, 1, v0
	s_load_dwordx2 s[0:1], s[4:5], 0x38
	s_mul_hi_i32 s3, s22, s10
	s_mul_i32 s2, s22, s10
	s_mul_i32 s4, s26, s7
	v_cndmask_b32_e32 v1, v2, v11, vcc_lo
	v_cmp_eq_u32_e32 vcc_lo, 2, v0
	s_lshl_b64 s[2:3], s[2:3], 2
	s_ashr_i32 s5, s4, 31
	v_cndmask_b32_e32 v3, v1, v10, vcc_lo
	v_cmp_eq_u32_e32 vcc_lo, 3, v0
	v_mad_u64_u32 v[1:2], null, s18, v0, s[6:7]
	v_cndmask_b32_e32 v2, v3, v9, vcc_lo
	v_cmp_eq_u32_e32 vcc_lo, 4, v0
	s_waitcnt lgkmcnt(0)
	s_add_u32 s2, s0, s2
	s_addc_u32 s3, s1, s3
	v_cndmask_b32_e32 v3, v2, v8, vcc_lo
	v_ashrrev_i32_e32 v2, 31, v1
	v_cmp_eq_u32_e32 vcc_lo, 5, v0
	s_lshl_b64 s[0:1], s[4:5], 2
	s_add_u32 s0, s2, s0
	v_lshlrev_b64 v[1:2], 2, v[1:2]
	v_cndmask_b32_e32 v3, v3, v7, vcc_lo
	v_cmp_eq_u32_e32 vcc_lo, 6, v0
	s_addc_u32 s1, s3, s1
	v_cndmask_b32_e32 v3, v3, v6, vcc_lo
	v_add_co_u32 v0, vcc_lo, s0, v1
	v_add_co_ci_u32_e64 v1, null, s1, v2, vcc_lo
	global_store_dword v[0:1], v3, off
.LBB340_28:
	s_endpgm
	.section	.rodata,"a",@progbits
	.p2align	6, 0x0
	.amdhsa_kernel _ZL13mul_mat_vec_fI14__hip_bfloat16fLi7ELi160ELb0ELb0EEvPKT_PKfPKi31ggml_cuda_mm_fusion_args_devicePfi15HIP_vector_typeIjLj3EEiiiSB_iiiSB_iiii
		.amdhsa_group_segment_fixed_size 0
		.amdhsa_private_segment_fixed_size 0
		.amdhsa_kernarg_size 144
		.amdhsa_user_sgpr_count 6
		.amdhsa_user_sgpr_private_segment_buffer 1
		.amdhsa_user_sgpr_dispatch_ptr 0
		.amdhsa_user_sgpr_queue_ptr 0
		.amdhsa_user_sgpr_kernarg_segment_ptr 1
		.amdhsa_user_sgpr_dispatch_id 0
		.amdhsa_user_sgpr_flat_scratch_init 0
		.amdhsa_user_sgpr_private_segment_size 0
		.amdhsa_wavefront_size32 1
		.amdhsa_uses_dynamic_stack 0
		.amdhsa_system_sgpr_private_segment_wavefront_offset 0
		.amdhsa_system_sgpr_workgroup_id_x 1
		.amdhsa_system_sgpr_workgroup_id_y 1
		.amdhsa_system_sgpr_workgroup_id_z 1
		.amdhsa_system_sgpr_workgroup_info 0
		.amdhsa_system_vgpr_workitem_id 0
		.amdhsa_next_free_vgpr 30
		.amdhsa_next_free_sgpr 36
		.amdhsa_reserve_vcc 1
		.amdhsa_reserve_flat_scratch 0
		.amdhsa_float_round_mode_32 0
		.amdhsa_float_round_mode_16_64 0
		.amdhsa_float_denorm_mode_32 3
		.amdhsa_float_denorm_mode_16_64 3
		.amdhsa_dx10_clamp 1
		.amdhsa_ieee_mode 1
		.amdhsa_fp16_overflow 0
		.amdhsa_workgroup_processor_mode 1
		.amdhsa_memory_ordered 1
		.amdhsa_forward_progress 1
		.amdhsa_shared_vgpr_count 0
		.amdhsa_exception_fp_ieee_invalid_op 0
		.amdhsa_exception_fp_denorm_src 0
		.amdhsa_exception_fp_ieee_div_zero 0
		.amdhsa_exception_fp_ieee_overflow 0
		.amdhsa_exception_fp_ieee_underflow 0
		.amdhsa_exception_fp_ieee_inexact 0
		.amdhsa_exception_int_div_zero 0
	.end_amdhsa_kernel
	.section	.text._ZL13mul_mat_vec_fI14__hip_bfloat16fLi7ELi160ELb0ELb0EEvPKT_PKfPKi31ggml_cuda_mm_fusion_args_devicePfi15HIP_vector_typeIjLj3EEiiiSB_iiiSB_iiii,"axG",@progbits,_ZL13mul_mat_vec_fI14__hip_bfloat16fLi7ELi160ELb0ELb0EEvPKT_PKfPKi31ggml_cuda_mm_fusion_args_devicePfi15HIP_vector_typeIjLj3EEiiiSB_iiiSB_iiii,comdat
.Lfunc_end340:
	.size	_ZL13mul_mat_vec_fI14__hip_bfloat16fLi7ELi160ELb0ELb0EEvPKT_PKfPKi31ggml_cuda_mm_fusion_args_devicePfi15HIP_vector_typeIjLj3EEiiiSB_iiiSB_iiii, .Lfunc_end340-_ZL13mul_mat_vec_fI14__hip_bfloat16fLi7ELi160ELb0ELb0EEvPKT_PKfPKi31ggml_cuda_mm_fusion_args_devicePfi15HIP_vector_typeIjLj3EEiiiSB_iiiSB_iiii
                                        ; -- End function
	.set _ZL13mul_mat_vec_fI14__hip_bfloat16fLi7ELi160ELb0ELb0EEvPKT_PKfPKi31ggml_cuda_mm_fusion_args_devicePfi15HIP_vector_typeIjLj3EEiiiSB_iiiSB_iiii.num_vgpr, 30
	.set _ZL13mul_mat_vec_fI14__hip_bfloat16fLi7ELi160ELb0ELb0EEvPKT_PKfPKi31ggml_cuda_mm_fusion_args_devicePfi15HIP_vector_typeIjLj3EEiiiSB_iiiSB_iiii.num_agpr, 0
	.set _ZL13mul_mat_vec_fI14__hip_bfloat16fLi7ELi160ELb0ELb0EEvPKT_PKfPKi31ggml_cuda_mm_fusion_args_devicePfi15HIP_vector_typeIjLj3EEiiiSB_iiiSB_iiii.numbered_sgpr, 36
	.set _ZL13mul_mat_vec_fI14__hip_bfloat16fLi7ELi160ELb0ELb0EEvPKT_PKfPKi31ggml_cuda_mm_fusion_args_devicePfi15HIP_vector_typeIjLj3EEiiiSB_iiiSB_iiii.num_named_barrier, 0
	.set _ZL13mul_mat_vec_fI14__hip_bfloat16fLi7ELi160ELb0ELb0EEvPKT_PKfPKi31ggml_cuda_mm_fusion_args_devicePfi15HIP_vector_typeIjLj3EEiiiSB_iiiSB_iiii.private_seg_size, 0
	.set _ZL13mul_mat_vec_fI14__hip_bfloat16fLi7ELi160ELb0ELb0EEvPKT_PKfPKi31ggml_cuda_mm_fusion_args_devicePfi15HIP_vector_typeIjLj3EEiiiSB_iiiSB_iiii.uses_vcc, 1
	.set _ZL13mul_mat_vec_fI14__hip_bfloat16fLi7ELi160ELb0ELb0EEvPKT_PKfPKi31ggml_cuda_mm_fusion_args_devicePfi15HIP_vector_typeIjLj3EEiiiSB_iiiSB_iiii.uses_flat_scratch, 0
	.set _ZL13mul_mat_vec_fI14__hip_bfloat16fLi7ELi160ELb0ELb0EEvPKT_PKfPKi31ggml_cuda_mm_fusion_args_devicePfi15HIP_vector_typeIjLj3EEiiiSB_iiiSB_iiii.has_dyn_sized_stack, 0
	.set _ZL13mul_mat_vec_fI14__hip_bfloat16fLi7ELi160ELb0ELb0EEvPKT_PKfPKi31ggml_cuda_mm_fusion_args_devicePfi15HIP_vector_typeIjLj3EEiiiSB_iiiSB_iiii.has_recursion, 0
	.set _ZL13mul_mat_vec_fI14__hip_bfloat16fLi7ELi160ELb0ELb0EEvPKT_PKfPKi31ggml_cuda_mm_fusion_args_devicePfi15HIP_vector_typeIjLj3EEiiiSB_iiiSB_iiii.has_indirect_call, 0
	.section	.AMDGPU.csdata,"",@progbits
; Kernel info:
; codeLenInByte = 2792
; TotalNumSgprs: 38
; NumVgprs: 30
; ScratchSize: 0
; MemoryBound: 0
; FloatMode: 240
; IeeeMode: 1
; LDSByteSize: 0 bytes/workgroup (compile time only)
; SGPRBlocks: 0
; VGPRBlocks: 3
; NumSGPRsForWavesPerEU: 38
; NumVGPRsForWavesPerEU: 30
; Occupancy: 16
; WaveLimiterHint : 0
; COMPUTE_PGM_RSRC2:SCRATCH_EN: 0
; COMPUTE_PGM_RSRC2:USER_SGPR: 6
; COMPUTE_PGM_RSRC2:TRAP_HANDLER: 0
; COMPUTE_PGM_RSRC2:TGID_X_EN: 1
; COMPUTE_PGM_RSRC2:TGID_Y_EN: 1
; COMPUTE_PGM_RSRC2:TGID_Z_EN: 1
; COMPUTE_PGM_RSRC2:TIDIG_COMP_CNT: 0
	.section	.text._ZL13mul_mat_vec_fI14__hip_bfloat16fLi7ELi192ELb0ELb0EEvPKT_PKfPKi31ggml_cuda_mm_fusion_args_devicePfi15HIP_vector_typeIjLj3EEiiiSB_iiiSB_iiii,"axG",@progbits,_ZL13mul_mat_vec_fI14__hip_bfloat16fLi7ELi192ELb0ELb0EEvPKT_PKfPKi31ggml_cuda_mm_fusion_args_devicePfi15HIP_vector_typeIjLj3EEiiiSB_iiiSB_iiii,comdat
	.globl	_ZL13mul_mat_vec_fI14__hip_bfloat16fLi7ELi192ELb0ELb0EEvPKT_PKfPKi31ggml_cuda_mm_fusion_args_devicePfi15HIP_vector_typeIjLj3EEiiiSB_iiiSB_iiii ; -- Begin function _ZL13mul_mat_vec_fI14__hip_bfloat16fLi7ELi192ELb0ELb0EEvPKT_PKfPKi31ggml_cuda_mm_fusion_args_devicePfi15HIP_vector_typeIjLj3EEiiiSB_iiiSB_iiii
	.p2align	8
	.type	_ZL13mul_mat_vec_fI14__hip_bfloat16fLi7ELi192ELb0ELb0EEvPKT_PKfPKi31ggml_cuda_mm_fusion_args_devicePfi15HIP_vector_typeIjLj3EEiiiSB_iiiSB_iiii,@function
_ZL13mul_mat_vec_fI14__hip_bfloat16fLi7ELi192ELb0ELb0EEvPKT_PKfPKi31ggml_cuda_mm_fusion_args_devicePfi15HIP_vector_typeIjLj3EEiiiSB_iiiSB_iiii: ; @_ZL13mul_mat_vec_fI14__hip_bfloat16fLi7ELi192ELb0ELb0EEvPKT_PKfPKi31ggml_cuda_mm_fusion_args_devicePfi15HIP_vector_typeIjLj3EEiiiSB_iiiSB_iiii
; %bb.0:
	s_clause 0x2
	s_load_dwordx2 s[0:1], s[4:5], 0x10
	s_load_dwordx8 s[12:19], s[4:5], 0x40
	s_load_dwordx4 s[20:23], s[4:5], 0x80
	s_waitcnt lgkmcnt(0)
	s_cmp_eq_u64 s[0:1], 0
	s_cselect_b32 s10, -1, 0
	s_cmp_lg_u64 s[0:1], 0
	s_cselect_b32 s11, -1, 0
	s_and_b32 vcc_lo, exec_lo, s10
	s_cbranch_vccnz .LBB341_2
; %bb.1:
	s_mul_i32 s2, s23, s8
	s_mov_b32 s3, 0
	s_add_i32 s2, s2, s7
	s_lshl_b64 s[24:25], s[2:3], 2
	s_add_u32 s0, s0, s24
	s_addc_u32 s1, s1, s25
	s_load_dword s9, s[0:1], 0x0
	s_cbranch_execz .LBB341_3
	s_branch .LBB341_4
.LBB341_2:
                                        ; implicit-def: $sgpr9
.LBB341_3:
	s_load_dwordx2 s[0:1], s[4:5], 0x5c
	s_waitcnt lgkmcnt(0)
	s_mul_hi_u32 s0, s0, s7
	s_add_i32 s0, s7, s0
	s_lshr_b32 s9, s0, s1
.LBB341_4:
	s_load_dwordx4 s[24:27], s[4:5], 0x68
	s_andn2_b32 vcc_lo, exec_lo, s11
	s_mov_b32 s19, s7
	s_cbranch_vccnz .LBB341_6
; %bb.5:
	s_mul_hi_u32 s0, s13, s7
	s_add_i32 s0, s7, s0
	s_lshr_b32 s0, s0, s14
	s_mul_i32 s0, s0, s15
	s_sub_i32 s19, s7, s0
.LBB341_6:
	s_load_dword s14, s[4:5], 0x78
	v_cmp_gt_u32_e32 vcc_lo, 32, v0
	v_lshl_add_u32 v5, v0, 2, 0
	s_and_saveexec_b32 s0, vcc_lo
; %bb.7:
	v_mov_b32_e32 v1, 0
	ds_write_b32 v5, v1
; %bb.8:
	s_or_b32 exec_lo, exec_lo, s0
	v_mov_b32_e32 v6, 0
	v_mov_b32_e32 v7, 0
	;; [unrolled: 1-line block ×7, first 2 shown]
	s_and_b32 s0, exec_lo, s10
	s_mov_b32 s11, 0
	s_cselect_b32 s10, s8, 0
	s_mov_b32 s13, exec_lo
	s_waitcnt lgkmcnt(0)
	s_barrier
	buffer_gl0_inv
	v_cmpx_gt_i32_e64 s12, v0
	s_cbranch_execz .LBB341_12
; %bb.9:
	s_load_dwordx4 s[0:3], s[4:5], 0x0
	s_mul_hi_u32 s15, s27, s10
	s_mul_hi_i32 s29, s21, s10
	s_mul_i32 s28, s21, s10
	s_mul_i32 s8, s9, s24
	;; [unrolled: 1-line block ×4, first 2 shown]
	s_add_i32 s15, s10, s15
	s_lshl_b64 s[28:29], s[28:29], 2
	s_ashr_i32 s9, s8, 31
	s_ashr_i32 s25, s24, 31
	;; [unrolled: 1-line block ×3, first 2 shown]
	s_lshr_b32 s14, s15, s14
	s_mov_b32 s34, s17
	s_mul_hi_i32 s21, s14, s20
	s_mul_i32 s20, s14, s20
	v_lshlrev_b32_e32 v2, 3, v0
	v_lshlrev_b32_e32 v1, 2, v0
	v_mov_b32_e32 v12, 0
	v_mov_b32_e32 v13, v0
	s_waitcnt lgkmcnt(0)
	s_add_u32 s15, s2, s28
	s_addc_u32 s16, s3, s29
	s_lshl_b64 s[30:31], s[30:31], 2
	v_mov_b32_e32 v11, 0
	s_add_u32 s14, s15, s30
	s_addc_u32 s15, s16, s31
	s_lshl_b64 s[8:9], s[8:9], 1
	s_ashr_i32 s35, s17, 31
	s_add_i32 s16, s17, s17
	s_lshl_b32 s19, s17, 2
	s_lshl_b64 s[20:21], s[20:21], 1
	s_lshl_b64 s[24:25], s[24:25], 1
	s_add_u32 s0, s0, s8
	s_addc_u32 s1, s1, s9
	s_add_u32 s0, s0, s24
	s_addc_u32 s1, s1, s25
	;; [unrolled: 2-line block ×3, first 2 shown]
	s_lshl_b64 s[8:9], s[34:35], 3
	s_add_u32 s2, s2, s30
	s_addc_u32 s3, s3, s31
	s_add_u32 s2, s2, s28
	s_addc_u32 s3, s3, s29
	v_add_co_u32 v3, s2, s2, v2
	v_add_co_ci_u32_e64 v4, null, s3, 0, s2
	v_add_co_u32 v1, s0, s0, v1
	v_add_co_ci_u32_e64 v2, null, s1, 0, s0
	;; [unrolled: 2-line block ×3, first 2 shown]
	v_mov_b32_e32 v10, 0
	v_mov_b32_e32 v9, 0
	;; [unrolled: 1-line block ×5, first 2 shown]
	s_mul_i32 s1, s17, 3
	s_mul_i32 s2, s17, 5
	;; [unrolled: 1-line block ×3, first 2 shown]
.LBB341_10:                             ; =>This Inner Loop Header: Depth=1
	v_add_nc_u32_e32 v18, s16, v13
	v_add_nc_u32_e32 v20, s1, v13
	;; [unrolled: 1-line block ×5, first 2 shown]
	v_ashrrev_i32_e32 v19, 31, v18
	v_ashrrev_i32_e32 v21, 31, v20
	;; [unrolled: 1-line block ×5, first 2 shown]
	v_lshlrev_b64 v[18:19], 3, v[18:19]
	v_lshlrev_b64 v[20:21], 3, v[20:21]
	v_add_co_u32 v16, s0, v3, s8
	v_lshlrev_b64 v[22:23], 3, v[22:23]
	v_add_co_ci_u32_e64 v17, null, s9, v4, s0
	v_lshlrev_b64 v[24:25], 3, v[24:25]
	v_add_co_u32 v18, s0, s14, v18
	v_lshlrev_b64 v[26:27], 3, v[26:27]
	v_add_co_ci_u32_e64 v19, null, s15, v19, s0
	v_add_co_u32 v20, s0, s14, v20
	v_add_co_ci_u32_e64 v21, null, s15, v21, s0
	v_add_co_u32 v22, s0, s14, v22
	;; [unrolled: 2-line block ×3, first 2 shown]
	global_load_dword v28, v[1:2], off
	global_load_dwordx2 v[14:15], v[3:4], off offset:-4
	v_add_co_ci_u32_e64 v25, null, s15, v25, s0
	v_add_co_u32 v26, s0, s14, v26
	v_add_co_ci_u32_e64 v27, null, s15, v27, s0
	global_load_dwordx2 v[16:17], v[16:17], off offset:-4
	s_clause 0x4
	global_load_dwordx2 v[18:19], v[18:19], off
	global_load_dwordx2 v[20:21], v[20:21], off
	global_load_dwordx2 v[22:23], v[22:23], off
	global_load_dwordx2 v[24:25], v[24:25], off
	global_load_dwordx2 v[26:27], v[26:27], off
	v_add_nc_u32_e32 v13, 0xc0, v13
	v_add_co_u32 v1, s0, 0x300, v1
	v_add_co_ci_u32_e64 v2, null, 0, v2, s0
	v_add_co_u32 v3, s0, 0x600, v3
	v_add_co_ci_u32_e64 v4, null, 0, v4, s0
	v_cmp_le_i32_e64 s0, s12, v13
	s_or_b32 s11, s0, s11
	s_waitcnt vmcnt(7)
	v_lshlrev_b32_e32 v29, 16, v28
	v_and_b32_e32 v28, 0xffff0000, v28
	s_waitcnt vmcnt(6)
	v_fmac_f32_e32 v12, v14, v29
	s_waitcnt vmcnt(4)
	v_fmac_f32_e32 v10, v18, v29
	;; [unrolled: 2-line block ×3, first 2 shown]
	v_fmac_f32_e32 v11, v16, v29
	s_waitcnt vmcnt(2)
	v_fmac_f32_e32 v8, v22, v29
	s_waitcnt vmcnt(1)
	;; [unrolled: 2-line block ×3, first 2 shown]
	v_fmac_f32_e32 v6, v26, v29
	v_fmac_f32_e32 v12, v15, v28
	;; [unrolled: 1-line block ×8, first 2 shown]
	s_andn2_b32 exec_lo, exec_lo, s11
	s_cbranch_execnz .LBB341_10
; %bb.11:
	s_or_b32 exec_lo, exec_lo, s11
.LBB341_12:
	s_or_b32 exec_lo, exec_lo, s13
	v_mbcnt_lo_u32_b32 v2, -1, 0
	v_xor_b32_e32 v1, 16, v2
	v_xor_b32_e32 v3, 8, v2
	v_cmp_gt_i32_e64 s0, 32, v1
	v_cndmask_b32_e64 v1, v2, v1, s0
	v_cmp_gt_i32_e64 s0, 32, v3
	v_lshlrev_b32_e32 v1, 2, v1
	v_cndmask_b32_e64 v3, v2, v3, s0
	ds_bpermute_b32 v4, v1, v12
	v_lshlrev_b32_e32 v3, 2, v3
	s_waitcnt lgkmcnt(0)
	v_add_f32_e32 v12, v12, v4
	v_xor_b32_e32 v4, 4, v2
	ds_bpermute_b32 v13, v3, v12
	v_cmp_gt_i32_e64 s0, 32, v4
	v_cndmask_b32_e64 v4, v2, v4, s0
	v_lshlrev_b32_e32 v4, 2, v4
	s_waitcnt lgkmcnt(0)
	v_add_f32_e32 v13, v12, v13
	v_xor_b32_e32 v12, 2, v2
	ds_bpermute_b32 v14, v4, v13
	v_cmp_gt_i32_e64 s0, 32, v12
	v_cndmask_b32_e64 v12, v2, v12, s0
	;; [unrolled: 7-line block ×3, first 2 shown]
	v_lshlrev_b32_e32 v13, 2, v2
	s_waitcnt lgkmcnt(0)
	v_add_f32_e32 v2, v14, v15
	v_lshrrev_b32_e32 v14, 3, v0
	ds_bpermute_b32 v15, v13, v2
	v_and_b32_e32 v14, 0x7c, v14
	v_add_nc_u32_e32 v14, 0, v14
	s_waitcnt lgkmcnt(0)
	v_add_f32_e32 v2, v2, v15
	ds_write_b32 v14, v2
	s_waitcnt lgkmcnt(0)
	s_barrier
	buffer_gl0_inv
	s_and_saveexec_b32 s0, vcc_lo
	s_cbranch_execz .LBB341_14
; %bb.13:
	ds_read_b32 v2, v5
	s_waitcnt lgkmcnt(0)
	ds_bpermute_b32 v15, v1, v2
	s_waitcnt lgkmcnt(0)
	v_add_f32_e32 v2, v2, v15
	ds_bpermute_b32 v15, v3, v2
	s_waitcnt lgkmcnt(0)
	v_add_f32_e32 v2, v2, v15
	ds_bpermute_b32 v15, v4, v2
	s_waitcnt lgkmcnt(0)
	v_add_f32_e32 v2, v2, v15
	ds_bpermute_b32 v15, v12, v2
	s_waitcnt lgkmcnt(0)
	v_add_f32_e32 v2, v2, v15
	ds_bpermute_b32 v15, v13, v2
	s_waitcnt lgkmcnt(0)
	v_add_f32_e32 v2, v2, v15
.LBB341_14:
	s_or_b32 exec_lo, exec_lo, s0
	ds_bpermute_b32 v15, v1, v11
	s_waitcnt lgkmcnt(0)
	s_barrier
	buffer_gl0_inv
	v_add_f32_e32 v11, v11, v15
	ds_bpermute_b32 v15, v3, v11
	s_waitcnt lgkmcnt(0)
	v_add_f32_e32 v11, v11, v15
	ds_bpermute_b32 v15, v4, v11
	s_waitcnt lgkmcnt(0)
	v_add_f32_e32 v11, v11, v15
	ds_bpermute_b32 v15, v12, v11
	s_waitcnt lgkmcnt(0)
	v_add_f32_e32 v11, v11, v15
	ds_bpermute_b32 v15, v13, v11
	s_waitcnt lgkmcnt(0)
	v_add_f32_e32 v11, v11, v15
	ds_write_b32 v14, v11
	s_waitcnt lgkmcnt(0)
	s_barrier
	buffer_gl0_inv
	s_and_saveexec_b32 s0, vcc_lo
	s_cbranch_execz .LBB341_16
; %bb.15:
	ds_read_b32 v11, v5
	s_waitcnt lgkmcnt(0)
	ds_bpermute_b32 v15, v1, v11
	s_waitcnt lgkmcnt(0)
	v_add_f32_e32 v11, v11, v15
	ds_bpermute_b32 v15, v3, v11
	s_waitcnt lgkmcnt(0)
	v_add_f32_e32 v11, v11, v15
	ds_bpermute_b32 v15, v4, v11
	s_waitcnt lgkmcnt(0)
	v_add_f32_e32 v11, v11, v15
	ds_bpermute_b32 v15, v12, v11
	s_waitcnt lgkmcnt(0)
	v_add_f32_e32 v11, v11, v15
	ds_bpermute_b32 v15, v13, v11
	s_waitcnt lgkmcnt(0)
	v_add_f32_e32 v11, v11, v15
.LBB341_16:
	s_or_b32 exec_lo, exec_lo, s0
	ds_bpermute_b32 v15, v1, v10
	s_waitcnt lgkmcnt(0)
	s_barrier
	buffer_gl0_inv
	v_add_f32_e32 v10, v10, v15
	ds_bpermute_b32 v15, v3, v10
	s_waitcnt lgkmcnt(0)
	v_add_f32_e32 v10, v10, v15
	ds_bpermute_b32 v15, v4, v10
	s_waitcnt lgkmcnt(0)
	v_add_f32_e32 v10, v10, v15
	ds_bpermute_b32 v15, v12, v10
	s_waitcnt lgkmcnt(0)
	v_add_f32_e32 v10, v10, v15
	ds_bpermute_b32 v15, v13, v10
	;; [unrolled: 43-line block ×6, first 2 shown]
	s_waitcnt lgkmcnt(0)
	v_add_f32_e32 v6, v6, v15
	ds_write_b32 v14, v6
	s_waitcnt lgkmcnt(0)
	s_barrier
	buffer_gl0_inv
	s_and_saveexec_b32 s0, vcc_lo
	s_cbranch_execz .LBB341_26
; %bb.25:
	ds_read_b32 v5, v5
	s_waitcnt lgkmcnt(0)
	ds_bpermute_b32 v1, v1, v5
	s_waitcnt lgkmcnt(0)
	v_add_f32_e32 v1, v5, v1
	ds_bpermute_b32 v3, v3, v1
	s_waitcnt lgkmcnt(0)
	v_add_f32_e32 v1, v1, v3
	;; [unrolled: 3-line block ×5, first 2 shown]
.LBB341_26:
	s_or_b32 exec_lo, exec_lo, s0
	s_barrier
	buffer_gl0_inv
	s_mov_b32 s0, exec_lo
	v_cmpx_gt_u32_e32 7, v0
	s_cbranch_execz .LBB341_28
; %bb.27:
	v_cmp_eq_u32_e32 vcc_lo, 1, v0
	s_load_dwordx2 s[0:1], s[4:5], 0x38
	s_mul_hi_i32 s3, s22, s10
	s_mul_i32 s2, s22, s10
	s_mul_i32 s4, s26, s7
	v_cndmask_b32_e32 v1, v2, v11, vcc_lo
	v_cmp_eq_u32_e32 vcc_lo, 2, v0
	s_lshl_b64 s[2:3], s[2:3], 2
	s_ashr_i32 s5, s4, 31
	v_cndmask_b32_e32 v3, v1, v10, vcc_lo
	v_cmp_eq_u32_e32 vcc_lo, 3, v0
	v_mad_u64_u32 v[1:2], null, s18, v0, s[6:7]
	v_cndmask_b32_e32 v2, v3, v9, vcc_lo
	v_cmp_eq_u32_e32 vcc_lo, 4, v0
	s_waitcnt lgkmcnt(0)
	s_add_u32 s2, s0, s2
	s_addc_u32 s3, s1, s3
	v_cndmask_b32_e32 v3, v2, v8, vcc_lo
	v_ashrrev_i32_e32 v2, 31, v1
	v_cmp_eq_u32_e32 vcc_lo, 5, v0
	s_lshl_b64 s[0:1], s[4:5], 2
	s_add_u32 s0, s2, s0
	v_lshlrev_b64 v[1:2], 2, v[1:2]
	v_cndmask_b32_e32 v3, v3, v7, vcc_lo
	v_cmp_eq_u32_e32 vcc_lo, 6, v0
	s_addc_u32 s1, s3, s1
	v_cndmask_b32_e32 v3, v3, v6, vcc_lo
	v_add_co_u32 v0, vcc_lo, s0, v1
	v_add_co_ci_u32_e64 v1, null, s1, v2, vcc_lo
	global_store_dword v[0:1], v3, off
.LBB341_28:
	s_endpgm
	.section	.rodata,"a",@progbits
	.p2align	6, 0x0
	.amdhsa_kernel _ZL13mul_mat_vec_fI14__hip_bfloat16fLi7ELi192ELb0ELb0EEvPKT_PKfPKi31ggml_cuda_mm_fusion_args_devicePfi15HIP_vector_typeIjLj3EEiiiSB_iiiSB_iiii
		.amdhsa_group_segment_fixed_size 0
		.amdhsa_private_segment_fixed_size 0
		.amdhsa_kernarg_size 144
		.amdhsa_user_sgpr_count 6
		.amdhsa_user_sgpr_private_segment_buffer 1
		.amdhsa_user_sgpr_dispatch_ptr 0
		.amdhsa_user_sgpr_queue_ptr 0
		.amdhsa_user_sgpr_kernarg_segment_ptr 1
		.amdhsa_user_sgpr_dispatch_id 0
		.amdhsa_user_sgpr_flat_scratch_init 0
		.amdhsa_user_sgpr_private_segment_size 0
		.amdhsa_wavefront_size32 1
		.amdhsa_uses_dynamic_stack 0
		.amdhsa_system_sgpr_private_segment_wavefront_offset 0
		.amdhsa_system_sgpr_workgroup_id_x 1
		.amdhsa_system_sgpr_workgroup_id_y 1
		.amdhsa_system_sgpr_workgroup_id_z 1
		.amdhsa_system_sgpr_workgroup_info 0
		.amdhsa_system_vgpr_workitem_id 0
		.amdhsa_next_free_vgpr 30
		.amdhsa_next_free_sgpr 36
		.amdhsa_reserve_vcc 1
		.amdhsa_reserve_flat_scratch 0
		.amdhsa_float_round_mode_32 0
		.amdhsa_float_round_mode_16_64 0
		.amdhsa_float_denorm_mode_32 3
		.amdhsa_float_denorm_mode_16_64 3
		.amdhsa_dx10_clamp 1
		.amdhsa_ieee_mode 1
		.amdhsa_fp16_overflow 0
		.amdhsa_workgroup_processor_mode 1
		.amdhsa_memory_ordered 1
		.amdhsa_forward_progress 1
		.amdhsa_shared_vgpr_count 0
		.amdhsa_exception_fp_ieee_invalid_op 0
		.amdhsa_exception_fp_denorm_src 0
		.amdhsa_exception_fp_ieee_div_zero 0
		.amdhsa_exception_fp_ieee_overflow 0
		.amdhsa_exception_fp_ieee_underflow 0
		.amdhsa_exception_fp_ieee_inexact 0
		.amdhsa_exception_int_div_zero 0
	.end_amdhsa_kernel
	.section	.text._ZL13mul_mat_vec_fI14__hip_bfloat16fLi7ELi192ELb0ELb0EEvPKT_PKfPKi31ggml_cuda_mm_fusion_args_devicePfi15HIP_vector_typeIjLj3EEiiiSB_iiiSB_iiii,"axG",@progbits,_ZL13mul_mat_vec_fI14__hip_bfloat16fLi7ELi192ELb0ELb0EEvPKT_PKfPKi31ggml_cuda_mm_fusion_args_devicePfi15HIP_vector_typeIjLj3EEiiiSB_iiiSB_iiii,comdat
.Lfunc_end341:
	.size	_ZL13mul_mat_vec_fI14__hip_bfloat16fLi7ELi192ELb0ELb0EEvPKT_PKfPKi31ggml_cuda_mm_fusion_args_devicePfi15HIP_vector_typeIjLj3EEiiiSB_iiiSB_iiii, .Lfunc_end341-_ZL13mul_mat_vec_fI14__hip_bfloat16fLi7ELi192ELb0ELb0EEvPKT_PKfPKi31ggml_cuda_mm_fusion_args_devicePfi15HIP_vector_typeIjLj3EEiiiSB_iiiSB_iiii
                                        ; -- End function
	.set _ZL13mul_mat_vec_fI14__hip_bfloat16fLi7ELi192ELb0ELb0EEvPKT_PKfPKi31ggml_cuda_mm_fusion_args_devicePfi15HIP_vector_typeIjLj3EEiiiSB_iiiSB_iiii.num_vgpr, 30
	.set _ZL13mul_mat_vec_fI14__hip_bfloat16fLi7ELi192ELb0ELb0EEvPKT_PKfPKi31ggml_cuda_mm_fusion_args_devicePfi15HIP_vector_typeIjLj3EEiiiSB_iiiSB_iiii.num_agpr, 0
	.set _ZL13mul_mat_vec_fI14__hip_bfloat16fLi7ELi192ELb0ELb0EEvPKT_PKfPKi31ggml_cuda_mm_fusion_args_devicePfi15HIP_vector_typeIjLj3EEiiiSB_iiiSB_iiii.numbered_sgpr, 36
	.set _ZL13mul_mat_vec_fI14__hip_bfloat16fLi7ELi192ELb0ELb0EEvPKT_PKfPKi31ggml_cuda_mm_fusion_args_devicePfi15HIP_vector_typeIjLj3EEiiiSB_iiiSB_iiii.num_named_barrier, 0
	.set _ZL13mul_mat_vec_fI14__hip_bfloat16fLi7ELi192ELb0ELb0EEvPKT_PKfPKi31ggml_cuda_mm_fusion_args_devicePfi15HIP_vector_typeIjLj3EEiiiSB_iiiSB_iiii.private_seg_size, 0
	.set _ZL13mul_mat_vec_fI14__hip_bfloat16fLi7ELi192ELb0ELb0EEvPKT_PKfPKi31ggml_cuda_mm_fusion_args_devicePfi15HIP_vector_typeIjLj3EEiiiSB_iiiSB_iiii.uses_vcc, 1
	.set _ZL13mul_mat_vec_fI14__hip_bfloat16fLi7ELi192ELb0ELb0EEvPKT_PKfPKi31ggml_cuda_mm_fusion_args_devicePfi15HIP_vector_typeIjLj3EEiiiSB_iiiSB_iiii.uses_flat_scratch, 0
	.set _ZL13mul_mat_vec_fI14__hip_bfloat16fLi7ELi192ELb0ELb0EEvPKT_PKfPKi31ggml_cuda_mm_fusion_args_devicePfi15HIP_vector_typeIjLj3EEiiiSB_iiiSB_iiii.has_dyn_sized_stack, 0
	.set _ZL13mul_mat_vec_fI14__hip_bfloat16fLi7ELi192ELb0ELb0EEvPKT_PKfPKi31ggml_cuda_mm_fusion_args_devicePfi15HIP_vector_typeIjLj3EEiiiSB_iiiSB_iiii.has_recursion, 0
	.set _ZL13mul_mat_vec_fI14__hip_bfloat16fLi7ELi192ELb0ELb0EEvPKT_PKfPKi31ggml_cuda_mm_fusion_args_devicePfi15HIP_vector_typeIjLj3EEiiiSB_iiiSB_iiii.has_indirect_call, 0
	.section	.AMDGPU.csdata,"",@progbits
; Kernel info:
; codeLenInByte = 2792
; TotalNumSgprs: 38
; NumVgprs: 30
; ScratchSize: 0
; MemoryBound: 0
; FloatMode: 240
; IeeeMode: 1
; LDSByteSize: 0 bytes/workgroup (compile time only)
; SGPRBlocks: 0
; VGPRBlocks: 3
; NumSGPRsForWavesPerEU: 38
; NumVGPRsForWavesPerEU: 30
; Occupancy: 16
; WaveLimiterHint : 0
; COMPUTE_PGM_RSRC2:SCRATCH_EN: 0
; COMPUTE_PGM_RSRC2:USER_SGPR: 6
; COMPUTE_PGM_RSRC2:TRAP_HANDLER: 0
; COMPUTE_PGM_RSRC2:TGID_X_EN: 1
; COMPUTE_PGM_RSRC2:TGID_Y_EN: 1
; COMPUTE_PGM_RSRC2:TGID_Z_EN: 1
; COMPUTE_PGM_RSRC2:TIDIG_COMP_CNT: 0
	.section	.text._ZL13mul_mat_vec_fI14__hip_bfloat16fLi7ELi224ELb0ELb0EEvPKT_PKfPKi31ggml_cuda_mm_fusion_args_devicePfi15HIP_vector_typeIjLj3EEiiiSB_iiiSB_iiii,"axG",@progbits,_ZL13mul_mat_vec_fI14__hip_bfloat16fLi7ELi224ELb0ELb0EEvPKT_PKfPKi31ggml_cuda_mm_fusion_args_devicePfi15HIP_vector_typeIjLj3EEiiiSB_iiiSB_iiii,comdat
	.globl	_ZL13mul_mat_vec_fI14__hip_bfloat16fLi7ELi224ELb0ELb0EEvPKT_PKfPKi31ggml_cuda_mm_fusion_args_devicePfi15HIP_vector_typeIjLj3EEiiiSB_iiiSB_iiii ; -- Begin function _ZL13mul_mat_vec_fI14__hip_bfloat16fLi7ELi224ELb0ELb0EEvPKT_PKfPKi31ggml_cuda_mm_fusion_args_devicePfi15HIP_vector_typeIjLj3EEiiiSB_iiiSB_iiii
	.p2align	8
	.type	_ZL13mul_mat_vec_fI14__hip_bfloat16fLi7ELi224ELb0ELb0EEvPKT_PKfPKi31ggml_cuda_mm_fusion_args_devicePfi15HIP_vector_typeIjLj3EEiiiSB_iiiSB_iiii,@function
_ZL13mul_mat_vec_fI14__hip_bfloat16fLi7ELi224ELb0ELb0EEvPKT_PKfPKi31ggml_cuda_mm_fusion_args_devicePfi15HIP_vector_typeIjLj3EEiiiSB_iiiSB_iiii: ; @_ZL13mul_mat_vec_fI14__hip_bfloat16fLi7ELi224ELb0ELb0EEvPKT_PKfPKi31ggml_cuda_mm_fusion_args_devicePfi15HIP_vector_typeIjLj3EEiiiSB_iiiSB_iiii
; %bb.0:
	s_clause 0x2
	s_load_dwordx2 s[0:1], s[4:5], 0x10
	s_load_dwordx8 s[12:19], s[4:5], 0x40
	s_load_dwordx4 s[20:23], s[4:5], 0x80
	s_waitcnt lgkmcnt(0)
	s_cmp_eq_u64 s[0:1], 0
	s_cselect_b32 s10, -1, 0
	s_cmp_lg_u64 s[0:1], 0
	s_cselect_b32 s11, -1, 0
	s_and_b32 vcc_lo, exec_lo, s10
	s_cbranch_vccnz .LBB342_2
; %bb.1:
	s_mul_i32 s2, s23, s8
	s_mov_b32 s3, 0
	s_add_i32 s2, s2, s7
	s_lshl_b64 s[24:25], s[2:3], 2
	s_add_u32 s0, s0, s24
	s_addc_u32 s1, s1, s25
	s_load_dword s9, s[0:1], 0x0
	s_cbranch_execz .LBB342_3
	s_branch .LBB342_4
.LBB342_2:
                                        ; implicit-def: $sgpr9
.LBB342_3:
	s_load_dwordx2 s[0:1], s[4:5], 0x5c
	s_waitcnt lgkmcnt(0)
	s_mul_hi_u32 s0, s0, s7
	s_add_i32 s0, s7, s0
	s_lshr_b32 s9, s0, s1
.LBB342_4:
	s_load_dwordx4 s[24:27], s[4:5], 0x68
	s_andn2_b32 vcc_lo, exec_lo, s11
	s_mov_b32 s19, s7
	s_cbranch_vccnz .LBB342_6
; %bb.5:
	s_mul_hi_u32 s0, s13, s7
	s_add_i32 s0, s7, s0
	s_lshr_b32 s0, s0, s14
	s_mul_i32 s0, s0, s15
	s_sub_i32 s19, s7, s0
.LBB342_6:
	s_load_dword s14, s[4:5], 0x78
	v_cmp_gt_u32_e32 vcc_lo, 32, v0
	v_lshl_add_u32 v5, v0, 2, 0
	s_and_saveexec_b32 s0, vcc_lo
; %bb.7:
	v_mov_b32_e32 v1, 0
	ds_write_b32 v5, v1
; %bb.8:
	s_or_b32 exec_lo, exec_lo, s0
	v_mov_b32_e32 v6, 0
	v_mov_b32_e32 v7, 0
	;; [unrolled: 1-line block ×7, first 2 shown]
	s_and_b32 s0, exec_lo, s10
	s_mov_b32 s11, 0
	s_cselect_b32 s10, s8, 0
	s_mov_b32 s13, exec_lo
	s_waitcnt lgkmcnt(0)
	s_barrier
	buffer_gl0_inv
	v_cmpx_gt_i32_e64 s12, v0
	s_cbranch_execz .LBB342_12
; %bb.9:
	s_load_dwordx4 s[0:3], s[4:5], 0x0
	s_mul_hi_u32 s15, s27, s10
	s_mul_hi_i32 s29, s21, s10
	s_mul_i32 s28, s21, s10
	s_mul_i32 s8, s9, s24
	s_mul_i32 s24, s16, s6
	s_mul_i32 s30, s19, s25
	s_add_i32 s15, s10, s15
	s_lshl_b64 s[28:29], s[28:29], 2
	s_ashr_i32 s9, s8, 31
	s_ashr_i32 s25, s24, 31
	;; [unrolled: 1-line block ×3, first 2 shown]
	s_lshr_b32 s14, s15, s14
	s_mov_b32 s34, s17
	s_mul_hi_i32 s21, s14, s20
	s_mul_i32 s20, s14, s20
	v_lshlrev_b32_e32 v2, 3, v0
	v_lshlrev_b32_e32 v1, 2, v0
	v_mov_b32_e32 v12, 0
	v_mov_b32_e32 v13, v0
	s_waitcnt lgkmcnt(0)
	s_add_u32 s15, s2, s28
	s_addc_u32 s16, s3, s29
	s_lshl_b64 s[30:31], s[30:31], 2
	v_mov_b32_e32 v11, 0
	s_add_u32 s14, s15, s30
	s_addc_u32 s15, s16, s31
	s_lshl_b64 s[8:9], s[8:9], 1
	s_ashr_i32 s35, s17, 31
	s_add_i32 s16, s17, s17
	s_lshl_b32 s19, s17, 2
	s_lshl_b64 s[20:21], s[20:21], 1
	s_lshl_b64 s[24:25], s[24:25], 1
	s_add_u32 s0, s0, s8
	s_addc_u32 s1, s1, s9
	s_add_u32 s0, s0, s24
	s_addc_u32 s1, s1, s25
	;; [unrolled: 2-line block ×3, first 2 shown]
	s_lshl_b64 s[8:9], s[34:35], 3
	s_add_u32 s2, s2, s30
	s_addc_u32 s3, s3, s31
	s_add_u32 s2, s2, s28
	s_addc_u32 s3, s3, s29
	v_add_co_u32 v3, s2, s2, v2
	v_add_co_ci_u32_e64 v4, null, s3, 0, s2
	v_add_co_u32 v1, s0, s0, v1
	v_add_co_ci_u32_e64 v2, null, s1, 0, s0
	;; [unrolled: 2-line block ×3, first 2 shown]
	v_mov_b32_e32 v10, 0
	v_mov_b32_e32 v9, 0
	;; [unrolled: 1-line block ×5, first 2 shown]
	s_mul_i32 s1, s17, 3
	s_mul_i32 s2, s17, 5
	;; [unrolled: 1-line block ×3, first 2 shown]
.LBB342_10:                             ; =>This Inner Loop Header: Depth=1
	v_add_nc_u32_e32 v18, s16, v13
	v_add_nc_u32_e32 v20, s1, v13
	;; [unrolled: 1-line block ×5, first 2 shown]
	v_ashrrev_i32_e32 v19, 31, v18
	v_ashrrev_i32_e32 v21, 31, v20
	;; [unrolled: 1-line block ×5, first 2 shown]
	v_lshlrev_b64 v[18:19], 3, v[18:19]
	v_lshlrev_b64 v[20:21], 3, v[20:21]
	v_add_co_u32 v16, s0, v3, s8
	v_lshlrev_b64 v[22:23], 3, v[22:23]
	v_add_co_ci_u32_e64 v17, null, s9, v4, s0
	v_lshlrev_b64 v[24:25], 3, v[24:25]
	v_add_co_u32 v18, s0, s14, v18
	v_lshlrev_b64 v[26:27], 3, v[26:27]
	v_add_co_ci_u32_e64 v19, null, s15, v19, s0
	v_add_co_u32 v20, s0, s14, v20
	v_add_co_ci_u32_e64 v21, null, s15, v21, s0
	v_add_co_u32 v22, s0, s14, v22
	;; [unrolled: 2-line block ×3, first 2 shown]
	global_load_dword v28, v[1:2], off
	global_load_dwordx2 v[14:15], v[3:4], off offset:-4
	v_add_co_ci_u32_e64 v25, null, s15, v25, s0
	v_add_co_u32 v26, s0, s14, v26
	v_add_co_ci_u32_e64 v27, null, s15, v27, s0
	global_load_dwordx2 v[16:17], v[16:17], off offset:-4
	s_clause 0x4
	global_load_dwordx2 v[18:19], v[18:19], off
	global_load_dwordx2 v[20:21], v[20:21], off
	;; [unrolled: 1-line block ×5, first 2 shown]
	v_add_nc_u32_e32 v13, 0xe0, v13
	v_add_co_u32 v1, s0, 0x380, v1
	v_add_co_ci_u32_e64 v2, null, 0, v2, s0
	v_add_co_u32 v3, s0, 0x700, v3
	v_add_co_ci_u32_e64 v4, null, 0, v4, s0
	v_cmp_le_i32_e64 s0, s12, v13
	s_or_b32 s11, s0, s11
	s_waitcnt vmcnt(7)
	v_lshlrev_b32_e32 v29, 16, v28
	v_and_b32_e32 v28, 0xffff0000, v28
	s_waitcnt vmcnt(6)
	v_fmac_f32_e32 v12, v14, v29
	s_waitcnt vmcnt(4)
	v_fmac_f32_e32 v10, v18, v29
	;; [unrolled: 2-line block ×3, first 2 shown]
	v_fmac_f32_e32 v11, v16, v29
	s_waitcnt vmcnt(2)
	v_fmac_f32_e32 v8, v22, v29
	s_waitcnt vmcnt(1)
	;; [unrolled: 2-line block ×3, first 2 shown]
	v_fmac_f32_e32 v6, v26, v29
	v_fmac_f32_e32 v12, v15, v28
	;; [unrolled: 1-line block ×8, first 2 shown]
	s_andn2_b32 exec_lo, exec_lo, s11
	s_cbranch_execnz .LBB342_10
; %bb.11:
	s_or_b32 exec_lo, exec_lo, s11
.LBB342_12:
	s_or_b32 exec_lo, exec_lo, s13
	v_mbcnt_lo_u32_b32 v2, -1, 0
	v_xor_b32_e32 v1, 16, v2
	v_xor_b32_e32 v3, 8, v2
	v_cmp_gt_i32_e64 s0, 32, v1
	v_cndmask_b32_e64 v1, v2, v1, s0
	v_cmp_gt_i32_e64 s0, 32, v3
	v_lshlrev_b32_e32 v1, 2, v1
	v_cndmask_b32_e64 v3, v2, v3, s0
	ds_bpermute_b32 v4, v1, v12
	v_lshlrev_b32_e32 v3, 2, v3
	s_waitcnt lgkmcnt(0)
	v_add_f32_e32 v12, v12, v4
	v_xor_b32_e32 v4, 4, v2
	ds_bpermute_b32 v13, v3, v12
	v_cmp_gt_i32_e64 s0, 32, v4
	v_cndmask_b32_e64 v4, v2, v4, s0
	v_lshlrev_b32_e32 v4, 2, v4
	s_waitcnt lgkmcnt(0)
	v_add_f32_e32 v13, v12, v13
	v_xor_b32_e32 v12, 2, v2
	ds_bpermute_b32 v14, v4, v13
	v_cmp_gt_i32_e64 s0, 32, v12
	v_cndmask_b32_e64 v12, v2, v12, s0
	;; [unrolled: 7-line block ×3, first 2 shown]
	v_lshlrev_b32_e32 v13, 2, v2
	s_waitcnt lgkmcnt(0)
	v_add_f32_e32 v2, v14, v15
	v_lshrrev_b32_e32 v14, 3, v0
	ds_bpermute_b32 v15, v13, v2
	v_and_b32_e32 v14, 0x7c, v14
	v_add_nc_u32_e32 v14, 0, v14
	s_waitcnt lgkmcnt(0)
	v_add_f32_e32 v2, v2, v15
	ds_write_b32 v14, v2
	s_waitcnt lgkmcnt(0)
	s_barrier
	buffer_gl0_inv
	s_and_saveexec_b32 s0, vcc_lo
	s_cbranch_execz .LBB342_14
; %bb.13:
	ds_read_b32 v2, v5
	s_waitcnt lgkmcnt(0)
	ds_bpermute_b32 v15, v1, v2
	s_waitcnt lgkmcnt(0)
	v_add_f32_e32 v2, v2, v15
	ds_bpermute_b32 v15, v3, v2
	s_waitcnt lgkmcnt(0)
	v_add_f32_e32 v2, v2, v15
	ds_bpermute_b32 v15, v4, v2
	s_waitcnt lgkmcnt(0)
	v_add_f32_e32 v2, v2, v15
	ds_bpermute_b32 v15, v12, v2
	s_waitcnt lgkmcnt(0)
	v_add_f32_e32 v2, v2, v15
	ds_bpermute_b32 v15, v13, v2
	s_waitcnt lgkmcnt(0)
	v_add_f32_e32 v2, v2, v15
.LBB342_14:
	s_or_b32 exec_lo, exec_lo, s0
	ds_bpermute_b32 v15, v1, v11
	s_waitcnt lgkmcnt(0)
	s_barrier
	buffer_gl0_inv
	v_add_f32_e32 v11, v11, v15
	ds_bpermute_b32 v15, v3, v11
	s_waitcnt lgkmcnt(0)
	v_add_f32_e32 v11, v11, v15
	ds_bpermute_b32 v15, v4, v11
	s_waitcnt lgkmcnt(0)
	v_add_f32_e32 v11, v11, v15
	ds_bpermute_b32 v15, v12, v11
	s_waitcnt lgkmcnt(0)
	v_add_f32_e32 v11, v11, v15
	ds_bpermute_b32 v15, v13, v11
	s_waitcnt lgkmcnt(0)
	v_add_f32_e32 v11, v11, v15
	ds_write_b32 v14, v11
	s_waitcnt lgkmcnt(0)
	s_barrier
	buffer_gl0_inv
	s_and_saveexec_b32 s0, vcc_lo
	s_cbranch_execz .LBB342_16
; %bb.15:
	ds_read_b32 v11, v5
	s_waitcnt lgkmcnt(0)
	ds_bpermute_b32 v15, v1, v11
	s_waitcnt lgkmcnt(0)
	v_add_f32_e32 v11, v11, v15
	ds_bpermute_b32 v15, v3, v11
	s_waitcnt lgkmcnt(0)
	v_add_f32_e32 v11, v11, v15
	ds_bpermute_b32 v15, v4, v11
	s_waitcnt lgkmcnt(0)
	v_add_f32_e32 v11, v11, v15
	ds_bpermute_b32 v15, v12, v11
	s_waitcnt lgkmcnt(0)
	v_add_f32_e32 v11, v11, v15
	ds_bpermute_b32 v15, v13, v11
	s_waitcnt lgkmcnt(0)
	v_add_f32_e32 v11, v11, v15
.LBB342_16:
	s_or_b32 exec_lo, exec_lo, s0
	ds_bpermute_b32 v15, v1, v10
	s_waitcnt lgkmcnt(0)
	s_barrier
	buffer_gl0_inv
	v_add_f32_e32 v10, v10, v15
	ds_bpermute_b32 v15, v3, v10
	s_waitcnt lgkmcnt(0)
	v_add_f32_e32 v10, v10, v15
	ds_bpermute_b32 v15, v4, v10
	s_waitcnt lgkmcnt(0)
	v_add_f32_e32 v10, v10, v15
	ds_bpermute_b32 v15, v12, v10
	s_waitcnt lgkmcnt(0)
	v_add_f32_e32 v10, v10, v15
	ds_bpermute_b32 v15, v13, v10
	;; [unrolled: 43-line block ×6, first 2 shown]
	s_waitcnt lgkmcnt(0)
	v_add_f32_e32 v6, v6, v15
	ds_write_b32 v14, v6
	s_waitcnt lgkmcnt(0)
	s_barrier
	buffer_gl0_inv
	s_and_saveexec_b32 s0, vcc_lo
	s_cbranch_execz .LBB342_26
; %bb.25:
	ds_read_b32 v5, v5
	s_waitcnt lgkmcnt(0)
	ds_bpermute_b32 v1, v1, v5
	s_waitcnt lgkmcnt(0)
	v_add_f32_e32 v1, v5, v1
	ds_bpermute_b32 v3, v3, v1
	s_waitcnt lgkmcnt(0)
	v_add_f32_e32 v1, v1, v3
	;; [unrolled: 3-line block ×5, first 2 shown]
.LBB342_26:
	s_or_b32 exec_lo, exec_lo, s0
	s_barrier
	buffer_gl0_inv
	s_mov_b32 s0, exec_lo
	v_cmpx_gt_u32_e32 7, v0
	s_cbranch_execz .LBB342_28
; %bb.27:
	v_cmp_eq_u32_e32 vcc_lo, 1, v0
	s_load_dwordx2 s[0:1], s[4:5], 0x38
	s_mul_hi_i32 s3, s22, s10
	s_mul_i32 s2, s22, s10
	s_mul_i32 s4, s26, s7
	v_cndmask_b32_e32 v1, v2, v11, vcc_lo
	v_cmp_eq_u32_e32 vcc_lo, 2, v0
	s_lshl_b64 s[2:3], s[2:3], 2
	s_ashr_i32 s5, s4, 31
	v_cndmask_b32_e32 v3, v1, v10, vcc_lo
	v_cmp_eq_u32_e32 vcc_lo, 3, v0
	v_mad_u64_u32 v[1:2], null, s18, v0, s[6:7]
	v_cndmask_b32_e32 v2, v3, v9, vcc_lo
	v_cmp_eq_u32_e32 vcc_lo, 4, v0
	s_waitcnt lgkmcnt(0)
	s_add_u32 s2, s0, s2
	s_addc_u32 s3, s1, s3
	v_cndmask_b32_e32 v3, v2, v8, vcc_lo
	v_ashrrev_i32_e32 v2, 31, v1
	v_cmp_eq_u32_e32 vcc_lo, 5, v0
	s_lshl_b64 s[0:1], s[4:5], 2
	s_add_u32 s0, s2, s0
	v_lshlrev_b64 v[1:2], 2, v[1:2]
	v_cndmask_b32_e32 v3, v3, v7, vcc_lo
	v_cmp_eq_u32_e32 vcc_lo, 6, v0
	s_addc_u32 s1, s3, s1
	v_cndmask_b32_e32 v3, v3, v6, vcc_lo
	v_add_co_u32 v0, vcc_lo, s0, v1
	v_add_co_ci_u32_e64 v1, null, s1, v2, vcc_lo
	global_store_dword v[0:1], v3, off
.LBB342_28:
	s_endpgm
	.section	.rodata,"a",@progbits
	.p2align	6, 0x0
	.amdhsa_kernel _ZL13mul_mat_vec_fI14__hip_bfloat16fLi7ELi224ELb0ELb0EEvPKT_PKfPKi31ggml_cuda_mm_fusion_args_devicePfi15HIP_vector_typeIjLj3EEiiiSB_iiiSB_iiii
		.amdhsa_group_segment_fixed_size 0
		.amdhsa_private_segment_fixed_size 0
		.amdhsa_kernarg_size 144
		.amdhsa_user_sgpr_count 6
		.amdhsa_user_sgpr_private_segment_buffer 1
		.amdhsa_user_sgpr_dispatch_ptr 0
		.amdhsa_user_sgpr_queue_ptr 0
		.amdhsa_user_sgpr_kernarg_segment_ptr 1
		.amdhsa_user_sgpr_dispatch_id 0
		.amdhsa_user_sgpr_flat_scratch_init 0
		.amdhsa_user_sgpr_private_segment_size 0
		.amdhsa_wavefront_size32 1
		.amdhsa_uses_dynamic_stack 0
		.amdhsa_system_sgpr_private_segment_wavefront_offset 0
		.amdhsa_system_sgpr_workgroup_id_x 1
		.amdhsa_system_sgpr_workgroup_id_y 1
		.amdhsa_system_sgpr_workgroup_id_z 1
		.amdhsa_system_sgpr_workgroup_info 0
		.amdhsa_system_vgpr_workitem_id 0
		.amdhsa_next_free_vgpr 30
		.amdhsa_next_free_sgpr 36
		.amdhsa_reserve_vcc 1
		.amdhsa_reserve_flat_scratch 0
		.amdhsa_float_round_mode_32 0
		.amdhsa_float_round_mode_16_64 0
		.amdhsa_float_denorm_mode_32 3
		.amdhsa_float_denorm_mode_16_64 3
		.amdhsa_dx10_clamp 1
		.amdhsa_ieee_mode 1
		.amdhsa_fp16_overflow 0
		.amdhsa_workgroup_processor_mode 1
		.amdhsa_memory_ordered 1
		.amdhsa_forward_progress 1
		.amdhsa_shared_vgpr_count 0
		.amdhsa_exception_fp_ieee_invalid_op 0
		.amdhsa_exception_fp_denorm_src 0
		.amdhsa_exception_fp_ieee_div_zero 0
		.amdhsa_exception_fp_ieee_overflow 0
		.amdhsa_exception_fp_ieee_underflow 0
		.amdhsa_exception_fp_ieee_inexact 0
		.amdhsa_exception_int_div_zero 0
	.end_amdhsa_kernel
	.section	.text._ZL13mul_mat_vec_fI14__hip_bfloat16fLi7ELi224ELb0ELb0EEvPKT_PKfPKi31ggml_cuda_mm_fusion_args_devicePfi15HIP_vector_typeIjLj3EEiiiSB_iiiSB_iiii,"axG",@progbits,_ZL13mul_mat_vec_fI14__hip_bfloat16fLi7ELi224ELb0ELb0EEvPKT_PKfPKi31ggml_cuda_mm_fusion_args_devicePfi15HIP_vector_typeIjLj3EEiiiSB_iiiSB_iiii,comdat
.Lfunc_end342:
	.size	_ZL13mul_mat_vec_fI14__hip_bfloat16fLi7ELi224ELb0ELb0EEvPKT_PKfPKi31ggml_cuda_mm_fusion_args_devicePfi15HIP_vector_typeIjLj3EEiiiSB_iiiSB_iiii, .Lfunc_end342-_ZL13mul_mat_vec_fI14__hip_bfloat16fLi7ELi224ELb0ELb0EEvPKT_PKfPKi31ggml_cuda_mm_fusion_args_devicePfi15HIP_vector_typeIjLj3EEiiiSB_iiiSB_iiii
                                        ; -- End function
	.set _ZL13mul_mat_vec_fI14__hip_bfloat16fLi7ELi224ELb0ELb0EEvPKT_PKfPKi31ggml_cuda_mm_fusion_args_devicePfi15HIP_vector_typeIjLj3EEiiiSB_iiiSB_iiii.num_vgpr, 30
	.set _ZL13mul_mat_vec_fI14__hip_bfloat16fLi7ELi224ELb0ELb0EEvPKT_PKfPKi31ggml_cuda_mm_fusion_args_devicePfi15HIP_vector_typeIjLj3EEiiiSB_iiiSB_iiii.num_agpr, 0
	.set _ZL13mul_mat_vec_fI14__hip_bfloat16fLi7ELi224ELb0ELb0EEvPKT_PKfPKi31ggml_cuda_mm_fusion_args_devicePfi15HIP_vector_typeIjLj3EEiiiSB_iiiSB_iiii.numbered_sgpr, 36
	.set _ZL13mul_mat_vec_fI14__hip_bfloat16fLi7ELi224ELb0ELb0EEvPKT_PKfPKi31ggml_cuda_mm_fusion_args_devicePfi15HIP_vector_typeIjLj3EEiiiSB_iiiSB_iiii.num_named_barrier, 0
	.set _ZL13mul_mat_vec_fI14__hip_bfloat16fLi7ELi224ELb0ELb0EEvPKT_PKfPKi31ggml_cuda_mm_fusion_args_devicePfi15HIP_vector_typeIjLj3EEiiiSB_iiiSB_iiii.private_seg_size, 0
	.set _ZL13mul_mat_vec_fI14__hip_bfloat16fLi7ELi224ELb0ELb0EEvPKT_PKfPKi31ggml_cuda_mm_fusion_args_devicePfi15HIP_vector_typeIjLj3EEiiiSB_iiiSB_iiii.uses_vcc, 1
	.set _ZL13mul_mat_vec_fI14__hip_bfloat16fLi7ELi224ELb0ELb0EEvPKT_PKfPKi31ggml_cuda_mm_fusion_args_devicePfi15HIP_vector_typeIjLj3EEiiiSB_iiiSB_iiii.uses_flat_scratch, 0
	.set _ZL13mul_mat_vec_fI14__hip_bfloat16fLi7ELi224ELb0ELb0EEvPKT_PKfPKi31ggml_cuda_mm_fusion_args_devicePfi15HIP_vector_typeIjLj3EEiiiSB_iiiSB_iiii.has_dyn_sized_stack, 0
	.set _ZL13mul_mat_vec_fI14__hip_bfloat16fLi7ELi224ELb0ELb0EEvPKT_PKfPKi31ggml_cuda_mm_fusion_args_devicePfi15HIP_vector_typeIjLj3EEiiiSB_iiiSB_iiii.has_recursion, 0
	.set _ZL13mul_mat_vec_fI14__hip_bfloat16fLi7ELi224ELb0ELb0EEvPKT_PKfPKi31ggml_cuda_mm_fusion_args_devicePfi15HIP_vector_typeIjLj3EEiiiSB_iiiSB_iiii.has_indirect_call, 0
	.section	.AMDGPU.csdata,"",@progbits
; Kernel info:
; codeLenInByte = 2792
; TotalNumSgprs: 38
; NumVgprs: 30
; ScratchSize: 0
; MemoryBound: 0
; FloatMode: 240
; IeeeMode: 1
; LDSByteSize: 0 bytes/workgroup (compile time only)
; SGPRBlocks: 0
; VGPRBlocks: 3
; NumSGPRsForWavesPerEU: 38
; NumVGPRsForWavesPerEU: 30
; Occupancy: 16
; WaveLimiterHint : 0
; COMPUTE_PGM_RSRC2:SCRATCH_EN: 0
; COMPUTE_PGM_RSRC2:USER_SGPR: 6
; COMPUTE_PGM_RSRC2:TRAP_HANDLER: 0
; COMPUTE_PGM_RSRC2:TGID_X_EN: 1
; COMPUTE_PGM_RSRC2:TGID_Y_EN: 1
; COMPUTE_PGM_RSRC2:TGID_Z_EN: 1
; COMPUTE_PGM_RSRC2:TIDIG_COMP_CNT: 0
	.section	.text._ZL13mul_mat_vec_fI14__hip_bfloat16fLi7ELi256ELb0ELb0EEvPKT_PKfPKi31ggml_cuda_mm_fusion_args_devicePfi15HIP_vector_typeIjLj3EEiiiSB_iiiSB_iiii,"axG",@progbits,_ZL13mul_mat_vec_fI14__hip_bfloat16fLi7ELi256ELb0ELb0EEvPKT_PKfPKi31ggml_cuda_mm_fusion_args_devicePfi15HIP_vector_typeIjLj3EEiiiSB_iiiSB_iiii,comdat
	.globl	_ZL13mul_mat_vec_fI14__hip_bfloat16fLi7ELi256ELb0ELb0EEvPKT_PKfPKi31ggml_cuda_mm_fusion_args_devicePfi15HIP_vector_typeIjLj3EEiiiSB_iiiSB_iiii ; -- Begin function _ZL13mul_mat_vec_fI14__hip_bfloat16fLi7ELi256ELb0ELb0EEvPKT_PKfPKi31ggml_cuda_mm_fusion_args_devicePfi15HIP_vector_typeIjLj3EEiiiSB_iiiSB_iiii
	.p2align	8
	.type	_ZL13mul_mat_vec_fI14__hip_bfloat16fLi7ELi256ELb0ELb0EEvPKT_PKfPKi31ggml_cuda_mm_fusion_args_devicePfi15HIP_vector_typeIjLj3EEiiiSB_iiiSB_iiii,@function
_ZL13mul_mat_vec_fI14__hip_bfloat16fLi7ELi256ELb0ELb0EEvPKT_PKfPKi31ggml_cuda_mm_fusion_args_devicePfi15HIP_vector_typeIjLj3EEiiiSB_iiiSB_iiii: ; @_ZL13mul_mat_vec_fI14__hip_bfloat16fLi7ELi256ELb0ELb0EEvPKT_PKfPKi31ggml_cuda_mm_fusion_args_devicePfi15HIP_vector_typeIjLj3EEiiiSB_iiiSB_iiii
; %bb.0:
	s_clause 0x2
	s_load_dwordx2 s[0:1], s[4:5], 0x10
	s_load_dwordx8 s[12:19], s[4:5], 0x40
	s_load_dwordx4 s[20:23], s[4:5], 0x80
	s_waitcnt lgkmcnt(0)
	s_cmp_eq_u64 s[0:1], 0
	s_cselect_b32 s10, -1, 0
	s_cmp_lg_u64 s[0:1], 0
	s_cselect_b32 s11, -1, 0
	s_and_b32 vcc_lo, exec_lo, s10
	s_cbranch_vccnz .LBB343_2
; %bb.1:
	s_mul_i32 s2, s23, s8
	s_mov_b32 s3, 0
	s_add_i32 s2, s2, s7
	s_lshl_b64 s[24:25], s[2:3], 2
	s_add_u32 s0, s0, s24
	s_addc_u32 s1, s1, s25
	s_load_dword s9, s[0:1], 0x0
	s_cbranch_execz .LBB343_3
	s_branch .LBB343_4
.LBB343_2:
                                        ; implicit-def: $sgpr9
.LBB343_3:
	s_load_dwordx2 s[0:1], s[4:5], 0x5c
	s_waitcnt lgkmcnt(0)
	s_mul_hi_u32 s0, s0, s7
	s_add_i32 s0, s7, s0
	s_lshr_b32 s9, s0, s1
.LBB343_4:
	s_load_dwordx4 s[24:27], s[4:5], 0x68
	s_andn2_b32 vcc_lo, exec_lo, s11
	s_mov_b32 s19, s7
	s_cbranch_vccnz .LBB343_6
; %bb.5:
	s_mul_hi_u32 s0, s13, s7
	s_add_i32 s0, s7, s0
	s_lshr_b32 s0, s0, s14
	s_mul_i32 s0, s0, s15
	s_sub_i32 s19, s7, s0
.LBB343_6:
	s_load_dword s14, s[4:5], 0x78
	v_cmp_gt_u32_e32 vcc_lo, 32, v0
	v_lshl_add_u32 v5, v0, 2, 0
	s_and_saveexec_b32 s0, vcc_lo
; %bb.7:
	v_mov_b32_e32 v1, 0
	ds_write_b32 v5, v1
; %bb.8:
	s_or_b32 exec_lo, exec_lo, s0
	v_mov_b32_e32 v6, 0
	v_mov_b32_e32 v7, 0
	;; [unrolled: 1-line block ×7, first 2 shown]
	s_and_b32 s0, exec_lo, s10
	s_mov_b32 s11, 0
	s_cselect_b32 s10, s8, 0
	s_mov_b32 s13, exec_lo
	s_waitcnt lgkmcnt(0)
	s_barrier
	buffer_gl0_inv
	v_cmpx_gt_i32_e64 s12, v0
	s_cbranch_execz .LBB343_12
; %bb.9:
	s_load_dwordx4 s[0:3], s[4:5], 0x0
	s_mul_hi_u32 s15, s27, s10
	s_mul_hi_i32 s29, s21, s10
	s_mul_i32 s28, s21, s10
	s_mul_i32 s8, s9, s24
	;; [unrolled: 1-line block ×4, first 2 shown]
	s_add_i32 s15, s10, s15
	s_lshl_b64 s[28:29], s[28:29], 2
	s_ashr_i32 s9, s8, 31
	s_ashr_i32 s25, s24, 31
	;; [unrolled: 1-line block ×3, first 2 shown]
	s_lshr_b32 s14, s15, s14
	s_mov_b32 s34, s17
	s_mul_hi_i32 s21, s14, s20
	s_mul_i32 s20, s14, s20
	v_lshlrev_b32_e32 v2, 3, v0
	v_lshlrev_b32_e32 v1, 2, v0
	v_mov_b32_e32 v12, 0
	v_mov_b32_e32 v13, v0
	s_waitcnt lgkmcnt(0)
	s_add_u32 s15, s2, s28
	s_addc_u32 s16, s3, s29
	s_lshl_b64 s[30:31], s[30:31], 2
	v_mov_b32_e32 v11, 0
	s_add_u32 s14, s15, s30
	s_addc_u32 s15, s16, s31
	s_lshl_b64 s[8:9], s[8:9], 1
	s_ashr_i32 s35, s17, 31
	s_add_i32 s16, s17, s17
	s_lshl_b32 s19, s17, 2
	s_lshl_b64 s[20:21], s[20:21], 1
	s_lshl_b64 s[24:25], s[24:25], 1
	s_add_u32 s0, s0, s8
	s_addc_u32 s1, s1, s9
	s_add_u32 s0, s0, s24
	s_addc_u32 s1, s1, s25
	s_add_u32 s0, s0, s20
	s_addc_u32 s1, s1, s21
	s_lshl_b64 s[8:9], s[34:35], 3
	s_add_u32 s2, s2, s30
	s_addc_u32 s3, s3, s31
	s_add_u32 s2, s2, s28
	s_addc_u32 s3, s3, s29
	v_add_co_u32 v3, s2, s2, v2
	v_add_co_ci_u32_e64 v4, null, s3, 0, s2
	v_add_co_u32 v1, s0, s0, v1
	v_add_co_ci_u32_e64 v2, null, s1, 0, s0
	;; [unrolled: 2-line block ×3, first 2 shown]
	v_mov_b32_e32 v10, 0
	v_mov_b32_e32 v9, 0
	;; [unrolled: 1-line block ×5, first 2 shown]
	s_mul_i32 s1, s17, 3
	s_mul_i32 s2, s17, 5
	;; [unrolled: 1-line block ×3, first 2 shown]
.LBB343_10:                             ; =>This Inner Loop Header: Depth=1
	v_add_nc_u32_e32 v18, s16, v13
	v_add_nc_u32_e32 v20, s1, v13
	;; [unrolled: 1-line block ×5, first 2 shown]
	v_ashrrev_i32_e32 v19, 31, v18
	v_ashrrev_i32_e32 v21, 31, v20
	;; [unrolled: 1-line block ×5, first 2 shown]
	v_lshlrev_b64 v[18:19], 3, v[18:19]
	v_lshlrev_b64 v[20:21], 3, v[20:21]
	v_add_co_u32 v16, s0, v3, s8
	v_lshlrev_b64 v[22:23], 3, v[22:23]
	v_add_co_ci_u32_e64 v17, null, s9, v4, s0
	v_lshlrev_b64 v[24:25], 3, v[24:25]
	v_add_co_u32 v18, s0, s14, v18
	v_lshlrev_b64 v[26:27], 3, v[26:27]
	v_add_co_ci_u32_e64 v19, null, s15, v19, s0
	v_add_co_u32 v20, s0, s14, v20
	v_add_co_ci_u32_e64 v21, null, s15, v21, s0
	v_add_co_u32 v22, s0, s14, v22
	;; [unrolled: 2-line block ×3, first 2 shown]
	global_load_dword v28, v[1:2], off
	global_load_dwordx2 v[14:15], v[3:4], off offset:-4
	v_add_co_ci_u32_e64 v25, null, s15, v25, s0
	v_add_co_u32 v26, s0, s14, v26
	v_add_co_ci_u32_e64 v27, null, s15, v27, s0
	global_load_dwordx2 v[16:17], v[16:17], off offset:-4
	s_clause 0x4
	global_load_dwordx2 v[18:19], v[18:19], off
	global_load_dwordx2 v[20:21], v[20:21], off
	;; [unrolled: 1-line block ×5, first 2 shown]
	v_add_nc_u32_e32 v13, 0x100, v13
	v_add_co_u32 v1, s0, 0x400, v1
	v_add_co_ci_u32_e64 v2, null, 0, v2, s0
	v_add_co_u32 v3, s0, 0x800, v3
	v_add_co_ci_u32_e64 v4, null, 0, v4, s0
	v_cmp_le_i32_e64 s0, s12, v13
	s_or_b32 s11, s0, s11
	s_waitcnt vmcnt(7)
	v_lshlrev_b32_e32 v29, 16, v28
	v_and_b32_e32 v28, 0xffff0000, v28
	s_waitcnt vmcnt(6)
	v_fmac_f32_e32 v12, v14, v29
	s_waitcnt vmcnt(4)
	v_fmac_f32_e32 v10, v18, v29
	;; [unrolled: 2-line block ×3, first 2 shown]
	v_fmac_f32_e32 v11, v16, v29
	s_waitcnt vmcnt(2)
	v_fmac_f32_e32 v8, v22, v29
	s_waitcnt vmcnt(1)
	;; [unrolled: 2-line block ×3, first 2 shown]
	v_fmac_f32_e32 v6, v26, v29
	v_fmac_f32_e32 v12, v15, v28
	;; [unrolled: 1-line block ×8, first 2 shown]
	s_andn2_b32 exec_lo, exec_lo, s11
	s_cbranch_execnz .LBB343_10
; %bb.11:
	s_or_b32 exec_lo, exec_lo, s11
.LBB343_12:
	s_or_b32 exec_lo, exec_lo, s13
	v_mbcnt_lo_u32_b32 v2, -1, 0
	v_xor_b32_e32 v1, 16, v2
	v_xor_b32_e32 v3, 8, v2
	v_cmp_gt_i32_e64 s0, 32, v1
	v_cndmask_b32_e64 v1, v2, v1, s0
	v_cmp_gt_i32_e64 s0, 32, v3
	v_lshlrev_b32_e32 v1, 2, v1
	v_cndmask_b32_e64 v3, v2, v3, s0
	ds_bpermute_b32 v4, v1, v12
	v_lshlrev_b32_e32 v3, 2, v3
	s_waitcnt lgkmcnt(0)
	v_add_f32_e32 v12, v12, v4
	v_xor_b32_e32 v4, 4, v2
	ds_bpermute_b32 v13, v3, v12
	v_cmp_gt_i32_e64 s0, 32, v4
	v_cndmask_b32_e64 v4, v2, v4, s0
	v_lshlrev_b32_e32 v4, 2, v4
	s_waitcnt lgkmcnt(0)
	v_add_f32_e32 v13, v12, v13
	v_xor_b32_e32 v12, 2, v2
	ds_bpermute_b32 v14, v4, v13
	v_cmp_gt_i32_e64 s0, 32, v12
	v_cndmask_b32_e64 v12, v2, v12, s0
	;; [unrolled: 7-line block ×3, first 2 shown]
	v_lshlrev_b32_e32 v13, 2, v2
	s_waitcnt lgkmcnt(0)
	v_add_f32_e32 v2, v14, v15
	v_lshrrev_b32_e32 v14, 3, v0
	ds_bpermute_b32 v15, v13, v2
	v_and_b32_e32 v14, 0x7c, v14
	v_add_nc_u32_e32 v14, 0, v14
	s_waitcnt lgkmcnt(0)
	v_add_f32_e32 v2, v2, v15
	ds_write_b32 v14, v2
	s_waitcnt lgkmcnt(0)
	s_barrier
	buffer_gl0_inv
	s_and_saveexec_b32 s0, vcc_lo
	s_cbranch_execz .LBB343_14
; %bb.13:
	ds_read_b32 v2, v5
	s_waitcnt lgkmcnt(0)
	ds_bpermute_b32 v15, v1, v2
	s_waitcnt lgkmcnt(0)
	v_add_f32_e32 v2, v2, v15
	ds_bpermute_b32 v15, v3, v2
	s_waitcnt lgkmcnt(0)
	v_add_f32_e32 v2, v2, v15
	ds_bpermute_b32 v15, v4, v2
	s_waitcnt lgkmcnt(0)
	v_add_f32_e32 v2, v2, v15
	ds_bpermute_b32 v15, v12, v2
	s_waitcnt lgkmcnt(0)
	v_add_f32_e32 v2, v2, v15
	ds_bpermute_b32 v15, v13, v2
	s_waitcnt lgkmcnt(0)
	v_add_f32_e32 v2, v2, v15
.LBB343_14:
	s_or_b32 exec_lo, exec_lo, s0
	ds_bpermute_b32 v15, v1, v11
	s_waitcnt lgkmcnt(0)
	s_barrier
	buffer_gl0_inv
	v_add_f32_e32 v11, v11, v15
	ds_bpermute_b32 v15, v3, v11
	s_waitcnt lgkmcnt(0)
	v_add_f32_e32 v11, v11, v15
	ds_bpermute_b32 v15, v4, v11
	s_waitcnt lgkmcnt(0)
	v_add_f32_e32 v11, v11, v15
	ds_bpermute_b32 v15, v12, v11
	s_waitcnt lgkmcnt(0)
	v_add_f32_e32 v11, v11, v15
	ds_bpermute_b32 v15, v13, v11
	s_waitcnt lgkmcnt(0)
	v_add_f32_e32 v11, v11, v15
	ds_write_b32 v14, v11
	s_waitcnt lgkmcnt(0)
	s_barrier
	buffer_gl0_inv
	s_and_saveexec_b32 s0, vcc_lo
	s_cbranch_execz .LBB343_16
; %bb.15:
	ds_read_b32 v11, v5
	s_waitcnt lgkmcnt(0)
	ds_bpermute_b32 v15, v1, v11
	s_waitcnt lgkmcnt(0)
	v_add_f32_e32 v11, v11, v15
	ds_bpermute_b32 v15, v3, v11
	s_waitcnt lgkmcnt(0)
	v_add_f32_e32 v11, v11, v15
	ds_bpermute_b32 v15, v4, v11
	s_waitcnt lgkmcnt(0)
	v_add_f32_e32 v11, v11, v15
	ds_bpermute_b32 v15, v12, v11
	s_waitcnt lgkmcnt(0)
	v_add_f32_e32 v11, v11, v15
	ds_bpermute_b32 v15, v13, v11
	s_waitcnt lgkmcnt(0)
	v_add_f32_e32 v11, v11, v15
.LBB343_16:
	s_or_b32 exec_lo, exec_lo, s0
	ds_bpermute_b32 v15, v1, v10
	s_waitcnt lgkmcnt(0)
	s_barrier
	buffer_gl0_inv
	v_add_f32_e32 v10, v10, v15
	ds_bpermute_b32 v15, v3, v10
	s_waitcnt lgkmcnt(0)
	v_add_f32_e32 v10, v10, v15
	ds_bpermute_b32 v15, v4, v10
	s_waitcnt lgkmcnt(0)
	v_add_f32_e32 v10, v10, v15
	ds_bpermute_b32 v15, v12, v10
	s_waitcnt lgkmcnt(0)
	v_add_f32_e32 v10, v10, v15
	ds_bpermute_b32 v15, v13, v10
	;; [unrolled: 43-line block ×6, first 2 shown]
	s_waitcnt lgkmcnt(0)
	v_add_f32_e32 v6, v6, v15
	ds_write_b32 v14, v6
	s_waitcnt lgkmcnt(0)
	s_barrier
	buffer_gl0_inv
	s_and_saveexec_b32 s0, vcc_lo
	s_cbranch_execz .LBB343_26
; %bb.25:
	ds_read_b32 v5, v5
	s_waitcnt lgkmcnt(0)
	ds_bpermute_b32 v1, v1, v5
	s_waitcnt lgkmcnt(0)
	v_add_f32_e32 v1, v5, v1
	ds_bpermute_b32 v3, v3, v1
	s_waitcnt lgkmcnt(0)
	v_add_f32_e32 v1, v1, v3
	;; [unrolled: 3-line block ×5, first 2 shown]
.LBB343_26:
	s_or_b32 exec_lo, exec_lo, s0
	s_barrier
	buffer_gl0_inv
	s_mov_b32 s0, exec_lo
	v_cmpx_gt_u32_e32 7, v0
	s_cbranch_execz .LBB343_28
; %bb.27:
	v_cmp_eq_u32_e32 vcc_lo, 1, v0
	s_load_dwordx2 s[0:1], s[4:5], 0x38
	s_mul_hi_i32 s3, s22, s10
	s_mul_i32 s2, s22, s10
	s_mul_i32 s4, s26, s7
	v_cndmask_b32_e32 v1, v2, v11, vcc_lo
	v_cmp_eq_u32_e32 vcc_lo, 2, v0
	s_lshl_b64 s[2:3], s[2:3], 2
	s_ashr_i32 s5, s4, 31
	v_cndmask_b32_e32 v3, v1, v10, vcc_lo
	v_cmp_eq_u32_e32 vcc_lo, 3, v0
	v_mad_u64_u32 v[1:2], null, s18, v0, s[6:7]
	v_cndmask_b32_e32 v2, v3, v9, vcc_lo
	v_cmp_eq_u32_e32 vcc_lo, 4, v0
	s_waitcnt lgkmcnt(0)
	s_add_u32 s2, s0, s2
	s_addc_u32 s3, s1, s3
	v_cndmask_b32_e32 v3, v2, v8, vcc_lo
	v_ashrrev_i32_e32 v2, 31, v1
	v_cmp_eq_u32_e32 vcc_lo, 5, v0
	s_lshl_b64 s[0:1], s[4:5], 2
	s_add_u32 s0, s2, s0
	v_lshlrev_b64 v[1:2], 2, v[1:2]
	v_cndmask_b32_e32 v3, v3, v7, vcc_lo
	v_cmp_eq_u32_e32 vcc_lo, 6, v0
	s_addc_u32 s1, s3, s1
	v_cndmask_b32_e32 v3, v3, v6, vcc_lo
	v_add_co_u32 v0, vcc_lo, s0, v1
	v_add_co_ci_u32_e64 v1, null, s1, v2, vcc_lo
	global_store_dword v[0:1], v3, off
.LBB343_28:
	s_endpgm
	.section	.rodata,"a",@progbits
	.p2align	6, 0x0
	.amdhsa_kernel _ZL13mul_mat_vec_fI14__hip_bfloat16fLi7ELi256ELb0ELb0EEvPKT_PKfPKi31ggml_cuda_mm_fusion_args_devicePfi15HIP_vector_typeIjLj3EEiiiSB_iiiSB_iiii
		.amdhsa_group_segment_fixed_size 0
		.amdhsa_private_segment_fixed_size 0
		.amdhsa_kernarg_size 144
		.amdhsa_user_sgpr_count 6
		.amdhsa_user_sgpr_private_segment_buffer 1
		.amdhsa_user_sgpr_dispatch_ptr 0
		.amdhsa_user_sgpr_queue_ptr 0
		.amdhsa_user_sgpr_kernarg_segment_ptr 1
		.amdhsa_user_sgpr_dispatch_id 0
		.amdhsa_user_sgpr_flat_scratch_init 0
		.amdhsa_user_sgpr_private_segment_size 0
		.amdhsa_wavefront_size32 1
		.amdhsa_uses_dynamic_stack 0
		.amdhsa_system_sgpr_private_segment_wavefront_offset 0
		.amdhsa_system_sgpr_workgroup_id_x 1
		.amdhsa_system_sgpr_workgroup_id_y 1
		.amdhsa_system_sgpr_workgroup_id_z 1
		.amdhsa_system_sgpr_workgroup_info 0
		.amdhsa_system_vgpr_workitem_id 0
		.amdhsa_next_free_vgpr 30
		.amdhsa_next_free_sgpr 36
		.amdhsa_reserve_vcc 1
		.amdhsa_reserve_flat_scratch 0
		.amdhsa_float_round_mode_32 0
		.amdhsa_float_round_mode_16_64 0
		.amdhsa_float_denorm_mode_32 3
		.amdhsa_float_denorm_mode_16_64 3
		.amdhsa_dx10_clamp 1
		.amdhsa_ieee_mode 1
		.amdhsa_fp16_overflow 0
		.amdhsa_workgroup_processor_mode 1
		.amdhsa_memory_ordered 1
		.amdhsa_forward_progress 1
		.amdhsa_shared_vgpr_count 0
		.amdhsa_exception_fp_ieee_invalid_op 0
		.amdhsa_exception_fp_denorm_src 0
		.amdhsa_exception_fp_ieee_div_zero 0
		.amdhsa_exception_fp_ieee_overflow 0
		.amdhsa_exception_fp_ieee_underflow 0
		.amdhsa_exception_fp_ieee_inexact 0
		.amdhsa_exception_int_div_zero 0
	.end_amdhsa_kernel
	.section	.text._ZL13mul_mat_vec_fI14__hip_bfloat16fLi7ELi256ELb0ELb0EEvPKT_PKfPKi31ggml_cuda_mm_fusion_args_devicePfi15HIP_vector_typeIjLj3EEiiiSB_iiiSB_iiii,"axG",@progbits,_ZL13mul_mat_vec_fI14__hip_bfloat16fLi7ELi256ELb0ELb0EEvPKT_PKfPKi31ggml_cuda_mm_fusion_args_devicePfi15HIP_vector_typeIjLj3EEiiiSB_iiiSB_iiii,comdat
.Lfunc_end343:
	.size	_ZL13mul_mat_vec_fI14__hip_bfloat16fLi7ELi256ELb0ELb0EEvPKT_PKfPKi31ggml_cuda_mm_fusion_args_devicePfi15HIP_vector_typeIjLj3EEiiiSB_iiiSB_iiii, .Lfunc_end343-_ZL13mul_mat_vec_fI14__hip_bfloat16fLi7ELi256ELb0ELb0EEvPKT_PKfPKi31ggml_cuda_mm_fusion_args_devicePfi15HIP_vector_typeIjLj3EEiiiSB_iiiSB_iiii
                                        ; -- End function
	.set _ZL13mul_mat_vec_fI14__hip_bfloat16fLi7ELi256ELb0ELb0EEvPKT_PKfPKi31ggml_cuda_mm_fusion_args_devicePfi15HIP_vector_typeIjLj3EEiiiSB_iiiSB_iiii.num_vgpr, 30
	.set _ZL13mul_mat_vec_fI14__hip_bfloat16fLi7ELi256ELb0ELb0EEvPKT_PKfPKi31ggml_cuda_mm_fusion_args_devicePfi15HIP_vector_typeIjLj3EEiiiSB_iiiSB_iiii.num_agpr, 0
	.set _ZL13mul_mat_vec_fI14__hip_bfloat16fLi7ELi256ELb0ELb0EEvPKT_PKfPKi31ggml_cuda_mm_fusion_args_devicePfi15HIP_vector_typeIjLj3EEiiiSB_iiiSB_iiii.numbered_sgpr, 36
	.set _ZL13mul_mat_vec_fI14__hip_bfloat16fLi7ELi256ELb0ELb0EEvPKT_PKfPKi31ggml_cuda_mm_fusion_args_devicePfi15HIP_vector_typeIjLj3EEiiiSB_iiiSB_iiii.num_named_barrier, 0
	.set _ZL13mul_mat_vec_fI14__hip_bfloat16fLi7ELi256ELb0ELb0EEvPKT_PKfPKi31ggml_cuda_mm_fusion_args_devicePfi15HIP_vector_typeIjLj3EEiiiSB_iiiSB_iiii.private_seg_size, 0
	.set _ZL13mul_mat_vec_fI14__hip_bfloat16fLi7ELi256ELb0ELb0EEvPKT_PKfPKi31ggml_cuda_mm_fusion_args_devicePfi15HIP_vector_typeIjLj3EEiiiSB_iiiSB_iiii.uses_vcc, 1
	.set _ZL13mul_mat_vec_fI14__hip_bfloat16fLi7ELi256ELb0ELb0EEvPKT_PKfPKi31ggml_cuda_mm_fusion_args_devicePfi15HIP_vector_typeIjLj3EEiiiSB_iiiSB_iiii.uses_flat_scratch, 0
	.set _ZL13mul_mat_vec_fI14__hip_bfloat16fLi7ELi256ELb0ELb0EEvPKT_PKfPKi31ggml_cuda_mm_fusion_args_devicePfi15HIP_vector_typeIjLj3EEiiiSB_iiiSB_iiii.has_dyn_sized_stack, 0
	.set _ZL13mul_mat_vec_fI14__hip_bfloat16fLi7ELi256ELb0ELb0EEvPKT_PKfPKi31ggml_cuda_mm_fusion_args_devicePfi15HIP_vector_typeIjLj3EEiiiSB_iiiSB_iiii.has_recursion, 0
	.set _ZL13mul_mat_vec_fI14__hip_bfloat16fLi7ELi256ELb0ELb0EEvPKT_PKfPKi31ggml_cuda_mm_fusion_args_devicePfi15HIP_vector_typeIjLj3EEiiiSB_iiiSB_iiii.has_indirect_call, 0
	.section	.AMDGPU.csdata,"",@progbits
; Kernel info:
; codeLenInByte = 2792
; TotalNumSgprs: 38
; NumVgprs: 30
; ScratchSize: 0
; MemoryBound: 0
; FloatMode: 240
; IeeeMode: 1
; LDSByteSize: 0 bytes/workgroup (compile time only)
; SGPRBlocks: 0
; VGPRBlocks: 3
; NumSGPRsForWavesPerEU: 38
; NumVGPRsForWavesPerEU: 30
; Occupancy: 16
; WaveLimiterHint : 0
; COMPUTE_PGM_RSRC2:SCRATCH_EN: 0
; COMPUTE_PGM_RSRC2:USER_SGPR: 6
; COMPUTE_PGM_RSRC2:TRAP_HANDLER: 0
; COMPUTE_PGM_RSRC2:TGID_X_EN: 1
; COMPUTE_PGM_RSRC2:TGID_Y_EN: 1
; COMPUTE_PGM_RSRC2:TGID_Z_EN: 1
; COMPUTE_PGM_RSRC2:TIDIG_COMP_CNT: 0
	.section	.text._ZL13mul_mat_vec_fI14__hip_bfloat16fLi8ELi32ELb0ELb0EEvPKT_PKfPKi31ggml_cuda_mm_fusion_args_devicePfi15HIP_vector_typeIjLj3EEiiiSB_iiiSB_iiii,"axG",@progbits,_ZL13mul_mat_vec_fI14__hip_bfloat16fLi8ELi32ELb0ELb0EEvPKT_PKfPKi31ggml_cuda_mm_fusion_args_devicePfi15HIP_vector_typeIjLj3EEiiiSB_iiiSB_iiii,comdat
	.globl	_ZL13mul_mat_vec_fI14__hip_bfloat16fLi8ELi32ELb0ELb0EEvPKT_PKfPKi31ggml_cuda_mm_fusion_args_devicePfi15HIP_vector_typeIjLj3EEiiiSB_iiiSB_iiii ; -- Begin function _ZL13mul_mat_vec_fI14__hip_bfloat16fLi8ELi32ELb0ELb0EEvPKT_PKfPKi31ggml_cuda_mm_fusion_args_devicePfi15HIP_vector_typeIjLj3EEiiiSB_iiiSB_iiii
	.p2align	8
	.type	_ZL13mul_mat_vec_fI14__hip_bfloat16fLi8ELi32ELb0ELb0EEvPKT_PKfPKi31ggml_cuda_mm_fusion_args_devicePfi15HIP_vector_typeIjLj3EEiiiSB_iiiSB_iiii,@function
_ZL13mul_mat_vec_fI14__hip_bfloat16fLi8ELi32ELb0ELb0EEvPKT_PKfPKi31ggml_cuda_mm_fusion_args_devicePfi15HIP_vector_typeIjLj3EEiiiSB_iiiSB_iiii: ; @_ZL13mul_mat_vec_fI14__hip_bfloat16fLi8ELi32ELb0ELb0EEvPKT_PKfPKi31ggml_cuda_mm_fusion_args_devicePfi15HIP_vector_typeIjLj3EEiiiSB_iiiSB_iiii
; %bb.0:
	s_clause 0x2
	s_load_dwordx2 s[20:21], s[4:5], 0x10
	s_load_dwordx8 s[12:19], s[4:5], 0x40
	s_load_dwordx4 s[0:3], s[4:5], 0x80
	s_waitcnt lgkmcnt(0)
	s_cmp_eq_u64 s[20:21], 0
	s_cselect_b32 s9, -1, 0
	s_cmp_lg_u64 s[20:21], 0
	s_cselect_b32 s25, -1, 0
	s_and_b32 vcc_lo, exec_lo, s9
	s_cbranch_vccnz .LBB344_2
; %bb.1:
	s_mul_i32 s3, s3, s8
	s_mov_b32 s11, 0
	s_add_i32 s10, s3, s7
	s_lshl_b64 s[22:23], s[10:11], 2
	s_add_u32 s20, s20, s22
	s_addc_u32 s21, s21, s23
	s_load_dword s24, s[20:21], 0x0
	s_load_dwordx4 s[20:23], s[4:5], 0x68
	s_cbranch_execz .LBB344_3
	s_branch .LBB344_4
.LBB344_2:
                                        ; implicit-def: $sgpr24
	s_load_dwordx4 s[20:23], s[4:5], 0x68
.LBB344_3:
	s_load_dwordx2 s[10:11], s[4:5], 0x5c
	s_waitcnt lgkmcnt(0)
	s_mul_hi_u32 s3, s10, s7
	s_add_i32 s3, s7, s3
	s_lshr_b32 s24, s3, s11
.LBB344_4:
	s_load_dword s19, s[4:5], 0x78
	s_andn2_b32 vcc_lo, exec_lo, s25
	s_mov_b32 s25, s7
	s_cbranch_vccnz .LBB344_6
; %bb.5:
	s_mul_hi_u32 s3, s13, s7
	s_add_i32 s3, s7, s3
	s_lshr_b32 s3, s3, s14
	s_mul_i32 s3, s3, s15
	s_sub_i32 s25, s7, s3
.LBB344_6:
	v_mov_b32_e32 v6, 0
	v_mov_b32_e32 v7, 0
	v_mov_b32_e32 v8, 0
	v_mov_b32_e32 v9, 0
	v_mov_b32_e32 v10, 0
	v_mov_b32_e32 v11, 0
	v_mov_b32_e32 v12, 0
	v_mov_b32_e32 v5, 0
	s_and_b32 s3, exec_lo, s9
	s_mov_b32 s14, 0
	s_cselect_b32 s3, s8, 0
	s_mov_b32 s13, exec_lo
	v_cmpx_gt_i32_e64 s12, v0
	s_cbranch_execz .LBB344_10
; %bb.7:
	s_load_dwordx4 s[8:11], s[4:5], 0x0
	s_waitcnt lgkmcnt(0)
	s_mul_hi_u32 s23, s23, s3
	s_mul_hi_i32 s29, s1, s3
	s_mul_i32 s28, s1, s3
	s_mul_i32 s24, s24, s20
	;; [unrolled: 1-line block ×4, first 2 shown]
	s_add_i32 s1, s3, s23
	s_lshl_b64 s[28:29], s[28:29], 2
	s_ashr_i32 s25, s24, 31
	s_ashr_i32 s27, s26, 31
	;; [unrolled: 1-line block ×3, first 2 shown]
	s_lshr_b32 s16, s1, s19
	s_mov_b32 s30, s17
	s_mul_hi_i32 s1, s16, s0
	s_mul_i32 s0, s16, s0
	v_lshlrev_b32_e32 v2, 3, v0
	v_lshlrev_b32_e32 v1, 2, v0
	v_mov_b32_e32 v5, 0
	v_mov_b32_e32 v13, v0
	s_add_u32 s19, s10, s28
	s_addc_u32 s23, s11, s29
	s_lshl_b64 s[34:35], s[20:21], 2
	v_mov_b32_e32 v12, 0
	s_add_u32 s16, s19, s34
	s_addc_u32 s19, s23, s35
	s_lshl_b64 s[24:25], s[24:25], 1
	s_ashr_i32 s31, s17, 31
	s_add_i32 s20, s17, s17
	s_lshl_b32 s21, s17, 2
	s_lshl_b64 s[0:1], s[0:1], 1
	s_lshl_b64 s[26:27], s[26:27], 1
	s_add_u32 s8, s8, s24
	s_addc_u32 s9, s9, s25
	s_add_u32 s8, s8, s26
	s_addc_u32 s9, s9, s27
	;; [unrolled: 2-line block ×3, first 2 shown]
	s_lshl_b64 s[0:1], s[30:31], 3
	s_add_u32 s10, s10, s34
	s_addc_u32 s11, s11, s35
	s_add_u32 s10, s10, s28
	s_addc_u32 s11, s11, s29
	v_add_co_u32 v3, s10, s10, v2
	v_add_co_ci_u32_e64 v4, null, s11, 0, s10
	v_add_co_u32 v1, s8, s8, v1
	v_add_co_u32 v3, vcc_lo, v3, 4
	v_add_co_ci_u32_e64 v2, null, s9, 0, s8
	v_add_co_ci_u32_e64 v4, null, 0, v4, vcc_lo
	v_mov_b32_e32 v11, 0
	v_mov_b32_e32 v10, 0
	;; [unrolled: 1-line block ×6, first 2 shown]
	s_mul_i32 s15, s17, 3
	s_mul_i32 s8, s17, 5
	;; [unrolled: 1-line block ×4, first 2 shown]
.LBB344_8:                              ; =>This Inner Loop Header: Depth=1
	v_add_nc_u32_e32 v18, s20, v13
	v_add_nc_u32_e32 v20, s15, v13
	;; [unrolled: 1-line block ×5, first 2 shown]
	v_ashrrev_i32_e32 v19, 31, v18
	v_ashrrev_i32_e32 v21, 31, v20
	;; [unrolled: 1-line block ×3, first 2 shown]
	v_add_nc_u32_e32 v28, s10, v13
	v_ashrrev_i32_e32 v25, 31, v24
	v_lshlrev_b64 v[18:19], 3, v[18:19]
	v_lshlrev_b64 v[20:21], 3, v[20:21]
	v_ashrrev_i32_e32 v27, 31, v26
	v_add_co_u32 v16, vcc_lo, v3, s0
	v_lshlrev_b64 v[22:23], 3, v[22:23]
	v_ashrrev_i32_e32 v29, 31, v28
	v_add_co_ci_u32_e64 v17, null, s1, v4, vcc_lo
	v_lshlrev_b64 v[24:25], 3, v[24:25]
	v_add_co_u32 v18, vcc_lo, s16, v18
	v_lshlrev_b64 v[26:27], 3, v[26:27]
	v_add_co_ci_u32_e64 v19, null, s19, v19, vcc_lo
	v_add_co_u32 v20, vcc_lo, s16, v20
	v_lshlrev_b64 v[28:29], 3, v[28:29]
	v_add_co_ci_u32_e64 v21, null, s19, v21, vcc_lo
	v_add_co_u32 v22, vcc_lo, s16, v22
	v_add_co_ci_u32_e64 v23, null, s19, v23, vcc_lo
	v_add_co_u32 v24, vcc_lo, s16, v24
	;; [unrolled: 2-line block ×3, first 2 shown]
	global_load_dword v30, v[1:2], off
	global_load_dwordx2 v[14:15], v[3:4], off offset:-4
	v_add_co_ci_u32_e64 v27, null, s19, v27, vcc_lo
	v_add_co_u32 v28, vcc_lo, s16, v28
	v_add_co_ci_u32_e64 v29, null, s19, v29, vcc_lo
	global_load_dwordx2 v[16:17], v[16:17], off offset:-4
	s_clause 0x5
	global_load_dwordx2 v[18:19], v[18:19], off
	global_load_dwordx2 v[20:21], v[20:21], off
	;; [unrolled: 1-line block ×6, first 2 shown]
	v_add_nc_u32_e32 v13, 32, v13
	v_add_co_u32 v1, vcc_lo, 0x80, v1
	v_add_co_ci_u32_e64 v2, null, 0, v2, vcc_lo
	v_add_co_u32 v3, vcc_lo, 0x100, v3
	v_add_co_ci_u32_e64 v4, null, 0, v4, vcc_lo
	v_cmp_le_i32_e32 vcc_lo, s12, v13
	s_or_b32 s14, vcc_lo, s14
	s_waitcnt vmcnt(8)
	v_lshlrev_b32_e32 v31, 16, v30
	v_and_b32_e32 v30, 0xffff0000, v30
	s_waitcnt vmcnt(7)
	v_fmac_f32_e32 v5, v14, v31
	s_waitcnt vmcnt(5)
	v_fmac_f32_e32 v11, v18, v31
	;; [unrolled: 2-line block ×3, first 2 shown]
	v_fmac_f32_e32 v12, v16, v31
	s_waitcnt vmcnt(3)
	v_fmac_f32_e32 v9, v22, v31
	s_waitcnt vmcnt(2)
	;; [unrolled: 2-line block ×4, first 2 shown]
	v_fmac_f32_e32 v6, v28, v31
	v_fmac_f32_e32 v5, v15, v30
	;; [unrolled: 1-line block ×9, first 2 shown]
	s_andn2_b32 exec_lo, exec_lo, s14
	s_cbranch_execnz .LBB344_8
; %bb.9:
	s_or_b32 exec_lo, exec_lo, s14
.LBB344_10:
	s_or_b32 exec_lo, exec_lo, s13
	v_mbcnt_lo_u32_b32 v1, -1, 0
	s_mov_b32 s0, exec_lo
	v_xor_b32_e32 v2, 16, v1
	v_xor_b32_e32 v18, 8, v1
	v_cmp_gt_i32_e32 vcc_lo, 32, v2
	v_cndmask_b32_e32 v2, v1, v2, vcc_lo
	v_cmp_gt_i32_e32 vcc_lo, 32, v18
	v_lshlrev_b32_e32 v2, 2, v2
	v_cndmask_b32_e32 v18, v1, v18, vcc_lo
	ds_bpermute_b32 v3, v2, v5
	ds_bpermute_b32 v4, v2, v12
	;; [unrolled: 1-line block ×8, first 2 shown]
	v_lshlrev_b32_e32 v18, 2, v18
	s_waitcnt lgkmcnt(0)
	v_add_f32_e32 v3, v5, v3
	v_add_f32_e32 v4, v12, v4
	;; [unrolled: 1-line block ×8, first 2 shown]
	ds_bpermute_b32 v6, v18, v3
	ds_bpermute_b32 v11, v18, v4
	ds_bpermute_b32 v12, v18, v5
	ds_bpermute_b32 v13, v18, v10
	ds_bpermute_b32 v14, v18, v9
	ds_bpermute_b32 v15, v18, v8
	ds_bpermute_b32 v16, v18, v7
	ds_bpermute_b32 v17, v18, v2
	v_xor_b32_e32 v18, 4, v1
	v_cmp_gt_i32_e32 vcc_lo, 32, v18
	v_cndmask_b32_e32 v18, v1, v18, vcc_lo
	s_waitcnt lgkmcnt(7)
	v_add_f32_e32 v3, v3, v6
	s_waitcnt lgkmcnt(6)
	v_add_f32_e32 v4, v4, v11
	s_waitcnt lgkmcnt(5)
	v_add_f32_e32 v5, v5, v12
	v_lshlrev_b32_e32 v18, 2, v18
	s_waitcnt lgkmcnt(4)
	v_add_f32_e32 v6, v10, v13
	s_waitcnt lgkmcnt(3)
	v_add_f32_e32 v9, v9, v14
	s_waitcnt lgkmcnt(2)
	v_add_f32_e32 v8, v8, v15
	s_waitcnt lgkmcnt(1)
	v_add_f32_e32 v7, v7, v16
	s_waitcnt lgkmcnt(0)
	v_add_f32_e32 v2, v2, v17
	ds_bpermute_b32 v10, v18, v3
	ds_bpermute_b32 v11, v18, v4
	ds_bpermute_b32 v12, v18, v5
	ds_bpermute_b32 v13, v18, v6
	ds_bpermute_b32 v14, v18, v9
	ds_bpermute_b32 v15, v18, v8
	ds_bpermute_b32 v16, v18, v7
	ds_bpermute_b32 v17, v18, v2
	v_xor_b32_e32 v18, 2, v1
	v_cmp_gt_i32_e32 vcc_lo, 32, v18
	v_cndmask_b32_e32 v18, v1, v18, vcc_lo
	s_waitcnt lgkmcnt(7)
	v_add_f32_e32 v3, v3, v10
	s_waitcnt lgkmcnt(6)
	v_add_f32_e32 v4, v4, v11
	s_waitcnt lgkmcnt(5)
	v_add_f32_e32 v5, v5, v12
	v_lshlrev_b32_e32 v18, 2, v18
	s_waitcnt lgkmcnt(4)
	v_add_f32_e32 v6, v6, v13
	s_waitcnt lgkmcnt(3)
	v_add_f32_e32 v9, v9, v14
	s_waitcnt lgkmcnt(2)
	v_add_f32_e32 v8, v8, v15
	s_waitcnt lgkmcnt(1)
	v_add_f32_e32 v10, v7, v16
	s_waitcnt lgkmcnt(0)
	v_add_f32_e32 v14, v2, v17
	ds_bpermute_b32 v2, v18, v3
	ds_bpermute_b32 v7, v18, v4
	ds_bpermute_b32 v11, v18, v5
	ds_bpermute_b32 v15, v18, v6
	ds_bpermute_b32 v16, v18, v9
	ds_bpermute_b32 v17, v18, v8
	ds_bpermute_b32 v19, v18, v10
	ds_bpermute_b32 v18, v18, v14
	v_xor_b32_e32 v12, 1, v1
	v_cmp_gt_i32_e32 vcc_lo, 32, v12
	v_cndmask_b32_e32 v1, v1, v12, vcc_lo
	s_waitcnt lgkmcnt(7)
	v_add_f32_e32 v12, v3, v2
	s_waitcnt lgkmcnt(6)
	v_add_f32_e32 v13, v4, v7
	s_waitcnt lgkmcnt(5)
	v_add_f32_e32 v11, v5, v11
	v_lshlrev_b32_e32 v20, 2, v1
	s_waitcnt lgkmcnt(4)
	v_add_f32_e32 v7, v6, v15
	s_waitcnt lgkmcnt(3)
	v_add_f32_e32 v6, v9, v16
	s_waitcnt lgkmcnt(2)
	v_add_f32_e32 v5, v8, v17
	s_waitcnt lgkmcnt(1)
	v_add_f32_e32 v2, v10, v19
	s_waitcnt lgkmcnt(0)
	v_add_f32_e32 v1, v14, v18
	ds_bpermute_b32 v15, v20, v12
	ds_bpermute_b32 v16, v20, v13
	;; [unrolled: 1-line block ×8, first 2 shown]
	v_cmpx_gt_u32_e32 8, v0
	s_cbranch_execz .LBB344_12
; %bb.11:
	s_waitcnt lgkmcnt(7)
	v_add_f32_e32 v12, v12, v15
	s_waitcnt lgkmcnt(6)
	v_add_f32_e32 v13, v13, v16
	v_cmp_eq_u32_e32 vcc_lo, 1, v0
	s_waitcnt lgkmcnt(5)
	v_add_f32_e32 v11, v11, v14
	s_waitcnt lgkmcnt(4)
	v_add_f32_e32 v7, v7, v10
	s_load_dwordx2 s[0:1], s[4:5], 0x38
	s_waitcnt lgkmcnt(0)
	v_add_f32_e32 v9, v6, v9
	v_cndmask_b32_e32 v12, v12, v13, vcc_lo
	v_cmp_eq_u32_e32 vcc_lo, 2, v0
	v_add_f32_e32 v8, v5, v8
	v_mad_u64_u32 v[5:6], null, s18, v0, s[6:7]
	v_add_f32_e32 v2, v2, v4
	v_cndmask_b32_e32 v10, v12, v11, vcc_lo
	v_cmp_eq_u32_e32 vcc_lo, 3, v0
	s_mul_hi_i32 s5, s2, s3
	s_mul_i32 s4, s2, s3
	s_mul_i32 s2, s22, s7
	s_lshl_b64 s[4:5], s[4:5], 2
	v_cndmask_b32_e32 v7, v10, v7, vcc_lo
	v_cmp_eq_u32_e32 vcc_lo, 4, v0
	s_ashr_i32 s3, s2, 31
	v_add_f32_e32 v3, v1, v3
	v_cndmask_b32_e32 v6, v7, v9, vcc_lo
	v_cmp_eq_u32_e32 vcc_lo, 5, v0
	s_add_u32 s4, s0, s4
	s_addc_u32 s5, s1, s5
	s_lshl_b64 s[0:1], s[2:3], 2
	v_cndmask_b32_e32 v4, v6, v8, vcc_lo
	v_ashrrev_i32_e32 v6, 31, v5
	v_cmp_eq_u32_e32 vcc_lo, 6, v0
	s_add_u32 s0, s4, s0
	s_addc_u32 s1, s5, s1
	v_cndmask_b32_e32 v4, v4, v2, vcc_lo
	v_lshlrev_b64 v[1:2], 2, v[5:6]
	v_cmp_eq_u32_e32 vcc_lo, 7, v0
	v_cndmask_b32_e32 v3, v4, v3, vcc_lo
	v_add_co_u32 v0, vcc_lo, s0, v1
	v_add_co_ci_u32_e64 v1, null, s1, v2, vcc_lo
	global_store_dword v[0:1], v3, off
.LBB344_12:
	s_endpgm
	.section	.rodata,"a",@progbits
	.p2align	6, 0x0
	.amdhsa_kernel _ZL13mul_mat_vec_fI14__hip_bfloat16fLi8ELi32ELb0ELb0EEvPKT_PKfPKi31ggml_cuda_mm_fusion_args_devicePfi15HIP_vector_typeIjLj3EEiiiSB_iiiSB_iiii
		.amdhsa_group_segment_fixed_size 0
		.amdhsa_private_segment_fixed_size 0
		.amdhsa_kernarg_size 144
		.amdhsa_user_sgpr_count 6
		.amdhsa_user_sgpr_private_segment_buffer 1
		.amdhsa_user_sgpr_dispatch_ptr 0
		.amdhsa_user_sgpr_queue_ptr 0
		.amdhsa_user_sgpr_kernarg_segment_ptr 1
		.amdhsa_user_sgpr_dispatch_id 0
		.amdhsa_user_sgpr_flat_scratch_init 0
		.amdhsa_user_sgpr_private_segment_size 0
		.amdhsa_wavefront_size32 1
		.amdhsa_uses_dynamic_stack 0
		.amdhsa_system_sgpr_private_segment_wavefront_offset 0
		.amdhsa_system_sgpr_workgroup_id_x 1
		.amdhsa_system_sgpr_workgroup_id_y 1
		.amdhsa_system_sgpr_workgroup_id_z 1
		.amdhsa_system_sgpr_workgroup_info 0
		.amdhsa_system_vgpr_workitem_id 0
		.amdhsa_next_free_vgpr 32
		.amdhsa_next_free_sgpr 36
		.amdhsa_reserve_vcc 1
		.amdhsa_reserve_flat_scratch 0
		.amdhsa_float_round_mode_32 0
		.amdhsa_float_round_mode_16_64 0
		.amdhsa_float_denorm_mode_32 3
		.amdhsa_float_denorm_mode_16_64 3
		.amdhsa_dx10_clamp 1
		.amdhsa_ieee_mode 1
		.amdhsa_fp16_overflow 0
		.amdhsa_workgroup_processor_mode 1
		.amdhsa_memory_ordered 1
		.amdhsa_forward_progress 1
		.amdhsa_shared_vgpr_count 0
		.amdhsa_exception_fp_ieee_invalid_op 0
		.amdhsa_exception_fp_denorm_src 0
		.amdhsa_exception_fp_ieee_div_zero 0
		.amdhsa_exception_fp_ieee_overflow 0
		.amdhsa_exception_fp_ieee_underflow 0
		.amdhsa_exception_fp_ieee_inexact 0
		.amdhsa_exception_int_div_zero 0
	.end_amdhsa_kernel
	.section	.text._ZL13mul_mat_vec_fI14__hip_bfloat16fLi8ELi32ELb0ELb0EEvPKT_PKfPKi31ggml_cuda_mm_fusion_args_devicePfi15HIP_vector_typeIjLj3EEiiiSB_iiiSB_iiii,"axG",@progbits,_ZL13mul_mat_vec_fI14__hip_bfloat16fLi8ELi32ELb0ELb0EEvPKT_PKfPKi31ggml_cuda_mm_fusion_args_devicePfi15HIP_vector_typeIjLj3EEiiiSB_iiiSB_iiii,comdat
.Lfunc_end344:
	.size	_ZL13mul_mat_vec_fI14__hip_bfloat16fLi8ELi32ELb0ELb0EEvPKT_PKfPKi31ggml_cuda_mm_fusion_args_devicePfi15HIP_vector_typeIjLj3EEiiiSB_iiiSB_iiii, .Lfunc_end344-_ZL13mul_mat_vec_fI14__hip_bfloat16fLi8ELi32ELb0ELb0EEvPKT_PKfPKi31ggml_cuda_mm_fusion_args_devicePfi15HIP_vector_typeIjLj3EEiiiSB_iiiSB_iiii
                                        ; -- End function
	.set _ZL13mul_mat_vec_fI14__hip_bfloat16fLi8ELi32ELb0ELb0EEvPKT_PKfPKi31ggml_cuda_mm_fusion_args_devicePfi15HIP_vector_typeIjLj3EEiiiSB_iiiSB_iiii.num_vgpr, 32
	.set _ZL13mul_mat_vec_fI14__hip_bfloat16fLi8ELi32ELb0ELb0EEvPKT_PKfPKi31ggml_cuda_mm_fusion_args_devicePfi15HIP_vector_typeIjLj3EEiiiSB_iiiSB_iiii.num_agpr, 0
	.set _ZL13mul_mat_vec_fI14__hip_bfloat16fLi8ELi32ELb0ELb0EEvPKT_PKfPKi31ggml_cuda_mm_fusion_args_devicePfi15HIP_vector_typeIjLj3EEiiiSB_iiiSB_iiii.numbered_sgpr, 36
	.set _ZL13mul_mat_vec_fI14__hip_bfloat16fLi8ELi32ELb0ELb0EEvPKT_PKfPKi31ggml_cuda_mm_fusion_args_devicePfi15HIP_vector_typeIjLj3EEiiiSB_iiiSB_iiii.num_named_barrier, 0
	.set _ZL13mul_mat_vec_fI14__hip_bfloat16fLi8ELi32ELb0ELb0EEvPKT_PKfPKi31ggml_cuda_mm_fusion_args_devicePfi15HIP_vector_typeIjLj3EEiiiSB_iiiSB_iiii.private_seg_size, 0
	.set _ZL13mul_mat_vec_fI14__hip_bfloat16fLi8ELi32ELb0ELb0EEvPKT_PKfPKi31ggml_cuda_mm_fusion_args_devicePfi15HIP_vector_typeIjLj3EEiiiSB_iiiSB_iiii.uses_vcc, 1
	.set _ZL13mul_mat_vec_fI14__hip_bfloat16fLi8ELi32ELb0ELb0EEvPKT_PKfPKi31ggml_cuda_mm_fusion_args_devicePfi15HIP_vector_typeIjLj3EEiiiSB_iiiSB_iiii.uses_flat_scratch, 0
	.set _ZL13mul_mat_vec_fI14__hip_bfloat16fLi8ELi32ELb0ELb0EEvPKT_PKfPKi31ggml_cuda_mm_fusion_args_devicePfi15HIP_vector_typeIjLj3EEiiiSB_iiiSB_iiii.has_dyn_sized_stack, 0
	.set _ZL13mul_mat_vec_fI14__hip_bfloat16fLi8ELi32ELb0ELb0EEvPKT_PKfPKi31ggml_cuda_mm_fusion_args_devicePfi15HIP_vector_typeIjLj3EEiiiSB_iiiSB_iiii.has_recursion, 0
	.set _ZL13mul_mat_vec_fI14__hip_bfloat16fLi8ELi32ELb0ELb0EEvPKT_PKfPKi31ggml_cuda_mm_fusion_args_devicePfi15HIP_vector_typeIjLj3EEiiiSB_iiiSB_iiii.has_indirect_call, 0
	.section	.AMDGPU.csdata,"",@progbits
; Kernel info:
; codeLenInByte = 1816
; TotalNumSgprs: 38
; NumVgprs: 32
; ScratchSize: 0
; MemoryBound: 0
; FloatMode: 240
; IeeeMode: 1
; LDSByteSize: 0 bytes/workgroup (compile time only)
; SGPRBlocks: 0
; VGPRBlocks: 3
; NumSGPRsForWavesPerEU: 38
; NumVGPRsForWavesPerEU: 32
; Occupancy: 16
; WaveLimiterHint : 0
; COMPUTE_PGM_RSRC2:SCRATCH_EN: 0
; COMPUTE_PGM_RSRC2:USER_SGPR: 6
; COMPUTE_PGM_RSRC2:TRAP_HANDLER: 0
; COMPUTE_PGM_RSRC2:TGID_X_EN: 1
; COMPUTE_PGM_RSRC2:TGID_Y_EN: 1
; COMPUTE_PGM_RSRC2:TGID_Z_EN: 1
; COMPUTE_PGM_RSRC2:TIDIG_COMP_CNT: 0
	.section	.text._ZL13mul_mat_vec_fI14__hip_bfloat16fLi8ELi64ELb0ELb0EEvPKT_PKfPKi31ggml_cuda_mm_fusion_args_devicePfi15HIP_vector_typeIjLj3EEiiiSB_iiiSB_iiii,"axG",@progbits,_ZL13mul_mat_vec_fI14__hip_bfloat16fLi8ELi64ELb0ELb0EEvPKT_PKfPKi31ggml_cuda_mm_fusion_args_devicePfi15HIP_vector_typeIjLj3EEiiiSB_iiiSB_iiii,comdat
	.globl	_ZL13mul_mat_vec_fI14__hip_bfloat16fLi8ELi64ELb0ELb0EEvPKT_PKfPKi31ggml_cuda_mm_fusion_args_devicePfi15HIP_vector_typeIjLj3EEiiiSB_iiiSB_iiii ; -- Begin function _ZL13mul_mat_vec_fI14__hip_bfloat16fLi8ELi64ELb0ELb0EEvPKT_PKfPKi31ggml_cuda_mm_fusion_args_devicePfi15HIP_vector_typeIjLj3EEiiiSB_iiiSB_iiii
	.p2align	8
	.type	_ZL13mul_mat_vec_fI14__hip_bfloat16fLi8ELi64ELb0ELb0EEvPKT_PKfPKi31ggml_cuda_mm_fusion_args_devicePfi15HIP_vector_typeIjLj3EEiiiSB_iiiSB_iiii,@function
_ZL13mul_mat_vec_fI14__hip_bfloat16fLi8ELi64ELb0ELb0EEvPKT_PKfPKi31ggml_cuda_mm_fusion_args_devicePfi15HIP_vector_typeIjLj3EEiiiSB_iiiSB_iiii: ; @_ZL13mul_mat_vec_fI14__hip_bfloat16fLi8ELi64ELb0ELb0EEvPKT_PKfPKi31ggml_cuda_mm_fusion_args_devicePfi15HIP_vector_typeIjLj3EEiiiSB_iiiSB_iiii
; %bb.0:
	s_clause 0x2
	s_load_dwordx2 s[0:1], s[4:5], 0x10
	s_load_dwordx8 s[12:19], s[4:5], 0x40
	s_load_dwordx4 s[20:23], s[4:5], 0x80
	s_waitcnt lgkmcnt(0)
	s_cmp_eq_u64 s[0:1], 0
	s_cselect_b32 s10, -1, 0
	s_cmp_lg_u64 s[0:1], 0
	s_cselect_b32 s11, -1, 0
	s_and_b32 vcc_lo, exec_lo, s10
	s_cbranch_vccnz .LBB345_2
; %bb.1:
	s_mul_i32 s2, s23, s8
	s_mov_b32 s3, 0
	s_add_i32 s2, s2, s7
	s_lshl_b64 s[24:25], s[2:3], 2
	s_add_u32 s0, s0, s24
	s_addc_u32 s1, s1, s25
	s_load_dword s9, s[0:1], 0x0
	s_cbranch_execz .LBB345_3
	s_branch .LBB345_4
.LBB345_2:
                                        ; implicit-def: $sgpr9
.LBB345_3:
	s_load_dwordx2 s[0:1], s[4:5], 0x5c
	s_waitcnt lgkmcnt(0)
	s_mul_hi_u32 s0, s0, s7
	s_add_i32 s0, s7, s0
	s_lshr_b32 s9, s0, s1
.LBB345_4:
	s_load_dwordx4 s[24:27], s[4:5], 0x68
	s_andn2_b32 vcc_lo, exec_lo, s11
	s_mov_b32 s19, s7
	s_cbranch_vccnz .LBB345_6
; %bb.5:
	s_mul_hi_u32 s0, s13, s7
	s_add_i32 s0, s7, s0
	s_lshr_b32 s0, s0, s14
	s_mul_i32 s0, s0, s15
	s_sub_i32 s19, s7, s0
.LBB345_6:
	s_load_dword s15, s[4:5], 0x78
	v_cmp_gt_u32_e32 vcc_lo, 32, v0
	v_lshl_add_u32 v5, v0, 2, 0
	s_and_saveexec_b32 s0, vcc_lo
; %bb.7:
	v_mov_b32_e32 v1, 0
	ds_write_b32 v5, v1
; %bb.8:
	s_or_b32 exec_lo, exec_lo, s0
	v_mov_b32_e32 v6, 0
	v_mov_b32_e32 v7, 0
	;; [unrolled: 1-line block ×8, first 2 shown]
	s_and_b32 s0, exec_lo, s10
	s_mov_b32 s11, 0
	s_cselect_b32 s10, s8, 0
	s_mov_b32 s13, exec_lo
	s_waitcnt lgkmcnt(0)
	s_barrier
	buffer_gl0_inv
	v_cmpx_gt_i32_e64 s12, v0
	s_cbranch_execz .LBB345_12
; %bb.9:
	s_load_dwordx4 s[0:3], s[4:5], 0x0
	s_mul_hi_u32 s23, s27, s10
	s_mul_hi_i32 s29, s21, s10
	s_mul_i32 s28, s21, s10
	s_mul_i32 s8, s9, s24
	;; [unrolled: 1-line block ×4, first 2 shown]
	s_add_i32 s16, s10, s23
	s_lshl_b64 s[28:29], s[28:29], 2
	s_ashr_i32 s9, s8, 31
	s_ashr_i32 s25, s24, 31
	;; [unrolled: 1-line block ×3, first 2 shown]
	s_lshr_b32 s15, s16, s15
	s_mov_b32 s34, s17
	s_mul_hi_i32 s37, s15, s20
	s_mul_i32 s36, s15, s20
	v_lshlrev_b32_e32 v2, 3, v0
	v_lshlrev_b32_e32 v1, 2, v0
	v_mov_b32_e32 v12, 0
	v_mov_b32_e32 v13, v0
	s_waitcnt lgkmcnt(0)
	s_add_u32 s16, s2, s28
	s_addc_u32 s19, s3, s29
	s_lshl_b64 s[30:31], s[30:31], 2
	v_mov_b32_e32 v14, 0
	s_add_u32 s15, s16, s30
	s_addc_u32 s16, s19, s31
	s_lshl_b64 s[8:9], s[8:9], 1
	s_ashr_i32 s35, s17, 31
	s_add_i32 s19, s17, s17
	s_lshl_b32 s20, s17, 2
	s_lshl_b64 s[36:37], s[36:37], 1
	s_lshl_b64 s[24:25], s[24:25], 1
	s_add_u32 s0, s0, s8
	s_addc_u32 s1, s1, s9
	s_add_u32 s0, s0, s24
	s_addc_u32 s1, s1, s25
	s_add_u32 s0, s0, s36
	s_addc_u32 s1, s1, s37
	s_lshl_b64 s[8:9], s[34:35], 3
	s_add_u32 s2, s2, s30
	s_addc_u32 s3, s3, s31
	s_add_u32 s2, s2, s28
	s_addc_u32 s3, s3, s29
	v_add_co_u32 v3, s2, s2, v2
	v_add_co_ci_u32_e64 v4, null, s3, 0, s2
	v_add_co_u32 v1, s0, s0, v1
	v_add_co_ci_u32_e64 v2, null, s1, 0, s0
	;; [unrolled: 2-line block ×3, first 2 shown]
	v_mov_b32_e32 v11, 0
	v_mov_b32_e32 v10, 0
	v_mov_b32_e32 v9, 0
	v_mov_b32_e32 v8, 0
	v_mov_b32_e32 v7, 0
	v_mov_b32_e32 v6, 0
	s_mul_i32 s14, s17, 3
	s_mul_i32 s1, s17, 5
	;; [unrolled: 1-line block ×4, first 2 shown]
.LBB345_10:                             ; =>This Inner Loop Header: Depth=1
	v_add_nc_u32_e32 v19, s19, v13
	v_add_nc_u32_e32 v21, s14, v13
	;; [unrolled: 1-line block ×5, first 2 shown]
	v_ashrrev_i32_e32 v20, 31, v19
	v_ashrrev_i32_e32 v22, 31, v21
	;; [unrolled: 1-line block ×3, first 2 shown]
	v_add_nc_u32_e32 v29, s3, v13
	v_ashrrev_i32_e32 v26, 31, v25
	v_lshlrev_b64 v[19:20], 3, v[19:20]
	v_lshlrev_b64 v[21:22], 3, v[21:22]
	v_ashrrev_i32_e32 v28, 31, v27
	v_add_co_u32 v17, s0, v3, s8
	v_lshlrev_b64 v[23:24], 3, v[23:24]
	v_ashrrev_i32_e32 v30, 31, v29
	v_add_co_ci_u32_e64 v18, null, s9, v4, s0
	v_lshlrev_b64 v[25:26], 3, v[25:26]
	v_add_co_u32 v19, s0, s15, v19
	v_lshlrev_b64 v[27:28], 3, v[27:28]
	v_add_co_ci_u32_e64 v20, null, s16, v20, s0
	v_add_co_u32 v21, s0, s15, v21
	v_lshlrev_b64 v[29:30], 3, v[29:30]
	v_add_co_ci_u32_e64 v22, null, s16, v22, s0
	v_add_co_u32 v23, s0, s15, v23
	v_add_co_ci_u32_e64 v24, null, s16, v24, s0
	v_add_co_u32 v25, s0, s15, v25
	;; [unrolled: 2-line block ×3, first 2 shown]
	global_load_dword v31, v[1:2], off
	global_load_dwordx2 v[15:16], v[3:4], off offset:-4
	v_add_co_ci_u32_e64 v28, null, s16, v28, s0
	v_add_co_u32 v29, s0, s15, v29
	v_add_co_ci_u32_e64 v30, null, s16, v30, s0
	global_load_dwordx2 v[17:18], v[17:18], off offset:-4
	s_clause 0x5
	global_load_dwordx2 v[19:20], v[19:20], off
	global_load_dwordx2 v[21:22], v[21:22], off
	;; [unrolled: 1-line block ×6, first 2 shown]
	v_add_nc_u32_e32 v13, 64, v13
	v_add_co_u32 v1, s0, 0x100, v1
	v_add_co_ci_u32_e64 v2, null, 0, v2, s0
	v_add_co_u32 v3, s0, 0x200, v3
	v_add_co_ci_u32_e64 v4, null, 0, v4, s0
	v_cmp_le_i32_e64 s0, s12, v13
	s_or_b32 s11, s0, s11
	s_waitcnt vmcnt(8)
	v_lshlrev_b32_e32 v32, 16, v31
	v_and_b32_e32 v31, 0xffff0000, v31
	s_waitcnt vmcnt(7)
	v_fmac_f32_e32 v12, v15, v32
	s_waitcnt vmcnt(5)
	v_fmac_f32_e32 v11, v19, v32
	;; [unrolled: 2-line block ×3, first 2 shown]
	v_fmac_f32_e32 v14, v17, v32
	s_waitcnt vmcnt(3)
	v_fmac_f32_e32 v9, v23, v32
	s_waitcnt vmcnt(2)
	;; [unrolled: 2-line block ×4, first 2 shown]
	v_fmac_f32_e32 v6, v29, v32
	v_fmac_f32_e32 v12, v16, v31
	v_fmac_f32_e32 v14, v18, v31
	v_fmac_f32_e32 v11, v20, v31
	v_fmac_f32_e32 v10, v22, v31
	v_fmac_f32_e32 v9, v24, v31
	v_fmac_f32_e32 v8, v26, v31
	v_fmac_f32_e32 v7, v28, v31
	v_fmac_f32_e32 v6, v30, v31
	s_andn2_b32 exec_lo, exec_lo, s11
	s_cbranch_execnz .LBB345_10
; %bb.11:
	s_or_b32 exec_lo, exec_lo, s11
.LBB345_12:
	s_or_b32 exec_lo, exec_lo, s13
	v_mbcnt_lo_u32_b32 v2, -1, 0
	v_xor_b32_e32 v1, 16, v2
	v_xor_b32_e32 v3, 8, v2
	v_cmp_gt_i32_e64 s0, 32, v1
	v_cndmask_b32_e64 v1, v2, v1, s0
	v_cmp_gt_i32_e64 s0, 32, v3
	v_lshlrev_b32_e32 v1, 2, v1
	v_cndmask_b32_e64 v3, v2, v3, s0
	ds_bpermute_b32 v4, v1, v12
	v_lshlrev_b32_e32 v3, 2, v3
	s_waitcnt lgkmcnt(0)
	v_add_f32_e32 v12, v12, v4
	v_xor_b32_e32 v4, 4, v2
	ds_bpermute_b32 v13, v3, v12
	v_cmp_gt_i32_e64 s0, 32, v4
	v_cndmask_b32_e64 v4, v2, v4, s0
	v_lshlrev_b32_e32 v4, 2, v4
	s_waitcnt lgkmcnt(0)
	v_add_f32_e32 v13, v12, v13
	v_xor_b32_e32 v12, 2, v2
	ds_bpermute_b32 v15, v4, v13
	v_cmp_gt_i32_e64 s0, 32, v12
	v_cndmask_b32_e64 v12, v2, v12, s0
	v_lshlrev_b32_e32 v12, 2, v12
	s_waitcnt lgkmcnt(0)
	v_add_f32_e32 v15, v13, v15
	v_xor_b32_e32 v13, 1, v2
	ds_bpermute_b32 v16, v12, v15
	v_cmp_gt_i32_e64 s0, 32, v13
	v_cndmask_b32_e64 v2, v2, v13, s0
	v_lshlrev_b32_e32 v13, 2, v2
	s_waitcnt lgkmcnt(0)
	v_add_f32_e32 v2, v15, v16
	v_lshrrev_b32_e32 v15, 3, v0
	ds_bpermute_b32 v16, v13, v2
	v_and_b32_e32 v15, 0x7c, v15
	v_add_nc_u32_e32 v15, 0, v15
	s_waitcnt lgkmcnt(0)
	v_add_f32_e32 v2, v2, v16
	ds_write_b32 v15, v2
	s_waitcnt lgkmcnt(0)
	s_barrier
	buffer_gl0_inv
	s_and_saveexec_b32 s0, vcc_lo
	s_cbranch_execz .LBB345_14
; %bb.13:
	ds_read_b32 v2, v5
	s_waitcnt lgkmcnt(0)
	ds_bpermute_b32 v16, v1, v2
	s_waitcnt lgkmcnt(0)
	v_add_f32_e32 v2, v2, v16
	ds_bpermute_b32 v16, v3, v2
	s_waitcnt lgkmcnt(0)
	v_add_f32_e32 v2, v2, v16
	ds_bpermute_b32 v16, v4, v2
	s_waitcnt lgkmcnt(0)
	v_add_f32_e32 v2, v2, v16
	ds_bpermute_b32 v16, v12, v2
	s_waitcnt lgkmcnt(0)
	v_add_f32_e32 v2, v2, v16
	ds_bpermute_b32 v16, v13, v2
	s_waitcnt lgkmcnt(0)
	v_add_f32_e32 v2, v2, v16
.LBB345_14:
	s_or_b32 exec_lo, exec_lo, s0
	ds_bpermute_b32 v16, v1, v14
	s_waitcnt lgkmcnt(0)
	s_barrier
	buffer_gl0_inv
	v_add_f32_e32 v14, v14, v16
	ds_bpermute_b32 v16, v3, v14
	s_waitcnt lgkmcnt(0)
	v_add_f32_e32 v14, v14, v16
	ds_bpermute_b32 v16, v4, v14
	s_waitcnt lgkmcnt(0)
	v_add_f32_e32 v14, v14, v16
	ds_bpermute_b32 v16, v12, v14
	s_waitcnt lgkmcnt(0)
	v_add_f32_e32 v14, v14, v16
	ds_bpermute_b32 v16, v13, v14
	s_waitcnt lgkmcnt(0)
	v_add_f32_e32 v14, v14, v16
	ds_write_b32 v15, v14
	s_waitcnt lgkmcnt(0)
	s_barrier
	buffer_gl0_inv
	s_and_saveexec_b32 s0, vcc_lo
	s_cbranch_execz .LBB345_16
; %bb.15:
	ds_read_b32 v14, v5
	s_waitcnt lgkmcnt(0)
	ds_bpermute_b32 v16, v1, v14
	s_waitcnt lgkmcnt(0)
	v_add_f32_e32 v14, v14, v16
	ds_bpermute_b32 v16, v3, v14
	s_waitcnt lgkmcnt(0)
	v_add_f32_e32 v14, v14, v16
	ds_bpermute_b32 v16, v4, v14
	s_waitcnt lgkmcnt(0)
	v_add_f32_e32 v14, v14, v16
	ds_bpermute_b32 v16, v12, v14
	s_waitcnt lgkmcnt(0)
	v_add_f32_e32 v14, v14, v16
	ds_bpermute_b32 v16, v13, v14
	s_waitcnt lgkmcnt(0)
	v_add_f32_e32 v14, v14, v16
.LBB345_16:
	s_or_b32 exec_lo, exec_lo, s0
	ds_bpermute_b32 v16, v1, v11
	s_waitcnt lgkmcnt(0)
	s_barrier
	buffer_gl0_inv
	v_add_f32_e32 v11, v11, v16
	ds_bpermute_b32 v16, v3, v11
	s_waitcnt lgkmcnt(0)
	v_add_f32_e32 v11, v11, v16
	ds_bpermute_b32 v16, v4, v11
	s_waitcnt lgkmcnt(0)
	v_add_f32_e32 v11, v11, v16
	ds_bpermute_b32 v16, v12, v11
	s_waitcnt lgkmcnt(0)
	v_add_f32_e32 v11, v11, v16
	ds_bpermute_b32 v16, v13, v11
	;; [unrolled: 43-line block ×7, first 2 shown]
	s_waitcnt lgkmcnt(0)
	v_add_f32_e32 v6, v6, v16
	ds_write_b32 v15, v6
	s_waitcnt lgkmcnt(0)
	s_barrier
	buffer_gl0_inv
	s_and_saveexec_b32 s0, vcc_lo
	s_cbranch_execz .LBB345_28
; %bb.27:
	ds_read_b32 v5, v5
	s_waitcnt lgkmcnt(0)
	ds_bpermute_b32 v1, v1, v5
	s_waitcnt lgkmcnt(0)
	v_add_f32_e32 v1, v5, v1
	ds_bpermute_b32 v3, v3, v1
	s_waitcnt lgkmcnt(0)
	v_add_f32_e32 v1, v1, v3
	;; [unrolled: 3-line block ×5, first 2 shown]
.LBB345_28:
	s_or_b32 exec_lo, exec_lo, s0
	s_barrier
	buffer_gl0_inv
	s_mov_b32 s0, exec_lo
	v_cmpx_gt_u32_e32 8, v0
	s_cbranch_execz .LBB345_30
; %bb.29:
	v_cmp_eq_u32_e32 vcc_lo, 1, v0
	s_load_dwordx2 s[0:1], s[4:5], 0x38
	s_mul_hi_i32 s3, s22, s10
	s_mul_i32 s2, s22, s10
	s_mul_i32 s4, s26, s7
	v_cndmask_b32_e32 v1, v2, v14, vcc_lo
	v_cmp_eq_u32_e32 vcc_lo, 2, v0
	s_lshl_b64 s[2:3], s[2:3], 2
	s_ashr_i32 s5, s4, 31
	v_cndmask_b32_e32 v3, v1, v11, vcc_lo
	v_cmp_eq_u32_e32 vcc_lo, 3, v0
	v_mad_u64_u32 v[1:2], null, s18, v0, s[6:7]
	v_cndmask_b32_e32 v2, v3, v10, vcc_lo
	v_cmp_eq_u32_e32 vcc_lo, 4, v0
	s_waitcnt lgkmcnt(0)
	s_add_u32 s2, s0, s2
	s_addc_u32 s3, s1, s3
	v_cndmask_b32_e32 v3, v2, v9, vcc_lo
	v_cmp_eq_u32_e32 vcc_lo, 5, v0
	v_ashrrev_i32_e32 v2, 31, v1
	s_lshl_b64 s[0:1], s[4:5], 2
	s_add_u32 s0, s2, s0
	v_cndmask_b32_e32 v3, v3, v8, vcc_lo
	v_cmp_eq_u32_e32 vcc_lo, 6, v0
	v_lshlrev_b64 v[1:2], 2, v[1:2]
	s_addc_u32 s1, s3, s1
	v_cndmask_b32_e32 v3, v3, v7, vcc_lo
	v_cmp_eq_u32_e32 vcc_lo, 7, v0
	v_cndmask_b32_e32 v3, v3, v6, vcc_lo
	v_add_co_u32 v0, vcc_lo, s0, v1
	v_add_co_ci_u32_e64 v1, null, s1, v2, vcc_lo
	global_store_dword v[0:1], v3, off
.LBB345_30:
	s_endpgm
	.section	.rodata,"a",@progbits
	.p2align	6, 0x0
	.amdhsa_kernel _ZL13mul_mat_vec_fI14__hip_bfloat16fLi8ELi64ELb0ELb0EEvPKT_PKfPKi31ggml_cuda_mm_fusion_args_devicePfi15HIP_vector_typeIjLj3EEiiiSB_iiiSB_iiii
		.amdhsa_group_segment_fixed_size 0
		.amdhsa_private_segment_fixed_size 0
		.amdhsa_kernarg_size 144
		.amdhsa_user_sgpr_count 6
		.amdhsa_user_sgpr_private_segment_buffer 1
		.amdhsa_user_sgpr_dispatch_ptr 0
		.amdhsa_user_sgpr_queue_ptr 0
		.amdhsa_user_sgpr_kernarg_segment_ptr 1
		.amdhsa_user_sgpr_dispatch_id 0
		.amdhsa_user_sgpr_flat_scratch_init 0
		.amdhsa_user_sgpr_private_segment_size 0
		.amdhsa_wavefront_size32 1
		.amdhsa_uses_dynamic_stack 0
		.amdhsa_system_sgpr_private_segment_wavefront_offset 0
		.amdhsa_system_sgpr_workgroup_id_x 1
		.amdhsa_system_sgpr_workgroup_id_y 1
		.amdhsa_system_sgpr_workgroup_id_z 1
		.amdhsa_system_sgpr_workgroup_info 0
		.amdhsa_system_vgpr_workitem_id 0
		.amdhsa_next_free_vgpr 33
		.amdhsa_next_free_sgpr 38
		.amdhsa_reserve_vcc 1
		.amdhsa_reserve_flat_scratch 0
		.amdhsa_float_round_mode_32 0
		.amdhsa_float_round_mode_16_64 0
		.amdhsa_float_denorm_mode_32 3
		.amdhsa_float_denorm_mode_16_64 3
		.amdhsa_dx10_clamp 1
		.amdhsa_ieee_mode 1
		.amdhsa_fp16_overflow 0
		.amdhsa_workgroup_processor_mode 1
		.amdhsa_memory_ordered 1
		.amdhsa_forward_progress 1
		.amdhsa_shared_vgpr_count 0
		.amdhsa_exception_fp_ieee_invalid_op 0
		.amdhsa_exception_fp_denorm_src 0
		.amdhsa_exception_fp_ieee_div_zero 0
		.amdhsa_exception_fp_ieee_overflow 0
		.amdhsa_exception_fp_ieee_underflow 0
		.amdhsa_exception_fp_ieee_inexact 0
		.amdhsa_exception_int_div_zero 0
	.end_amdhsa_kernel
	.section	.text._ZL13mul_mat_vec_fI14__hip_bfloat16fLi8ELi64ELb0ELb0EEvPKT_PKfPKi31ggml_cuda_mm_fusion_args_devicePfi15HIP_vector_typeIjLj3EEiiiSB_iiiSB_iiii,"axG",@progbits,_ZL13mul_mat_vec_fI14__hip_bfloat16fLi8ELi64ELb0ELb0EEvPKT_PKfPKi31ggml_cuda_mm_fusion_args_devicePfi15HIP_vector_typeIjLj3EEiiiSB_iiiSB_iiii,comdat
.Lfunc_end345:
	.size	_ZL13mul_mat_vec_fI14__hip_bfloat16fLi8ELi64ELb0ELb0EEvPKT_PKfPKi31ggml_cuda_mm_fusion_args_devicePfi15HIP_vector_typeIjLj3EEiiiSB_iiiSB_iiii, .Lfunc_end345-_ZL13mul_mat_vec_fI14__hip_bfloat16fLi8ELi64ELb0ELb0EEvPKT_PKfPKi31ggml_cuda_mm_fusion_args_devicePfi15HIP_vector_typeIjLj3EEiiiSB_iiiSB_iiii
                                        ; -- End function
	.set _ZL13mul_mat_vec_fI14__hip_bfloat16fLi8ELi64ELb0ELb0EEvPKT_PKfPKi31ggml_cuda_mm_fusion_args_devicePfi15HIP_vector_typeIjLj3EEiiiSB_iiiSB_iiii.num_vgpr, 33
	.set _ZL13mul_mat_vec_fI14__hip_bfloat16fLi8ELi64ELb0ELb0EEvPKT_PKfPKi31ggml_cuda_mm_fusion_args_devicePfi15HIP_vector_typeIjLj3EEiiiSB_iiiSB_iiii.num_agpr, 0
	.set _ZL13mul_mat_vec_fI14__hip_bfloat16fLi8ELi64ELb0ELb0EEvPKT_PKfPKi31ggml_cuda_mm_fusion_args_devicePfi15HIP_vector_typeIjLj3EEiiiSB_iiiSB_iiii.numbered_sgpr, 38
	.set _ZL13mul_mat_vec_fI14__hip_bfloat16fLi8ELi64ELb0ELb0EEvPKT_PKfPKi31ggml_cuda_mm_fusion_args_devicePfi15HIP_vector_typeIjLj3EEiiiSB_iiiSB_iiii.num_named_barrier, 0
	.set _ZL13mul_mat_vec_fI14__hip_bfloat16fLi8ELi64ELb0ELb0EEvPKT_PKfPKi31ggml_cuda_mm_fusion_args_devicePfi15HIP_vector_typeIjLj3EEiiiSB_iiiSB_iiii.private_seg_size, 0
	.set _ZL13mul_mat_vec_fI14__hip_bfloat16fLi8ELi64ELb0ELb0EEvPKT_PKfPKi31ggml_cuda_mm_fusion_args_devicePfi15HIP_vector_typeIjLj3EEiiiSB_iiiSB_iiii.uses_vcc, 1
	.set _ZL13mul_mat_vec_fI14__hip_bfloat16fLi8ELi64ELb0ELb0EEvPKT_PKfPKi31ggml_cuda_mm_fusion_args_devicePfi15HIP_vector_typeIjLj3EEiiiSB_iiiSB_iiii.uses_flat_scratch, 0
	.set _ZL13mul_mat_vec_fI14__hip_bfloat16fLi8ELi64ELb0ELb0EEvPKT_PKfPKi31ggml_cuda_mm_fusion_args_devicePfi15HIP_vector_typeIjLj3EEiiiSB_iiiSB_iiii.has_dyn_sized_stack, 0
	.set _ZL13mul_mat_vec_fI14__hip_bfloat16fLi8ELi64ELb0ELb0EEvPKT_PKfPKi31ggml_cuda_mm_fusion_args_devicePfi15HIP_vector_typeIjLj3EEiiiSB_iiiSB_iiii.has_recursion, 0
	.set _ZL13mul_mat_vec_fI14__hip_bfloat16fLi8ELi64ELb0ELb0EEvPKT_PKfPKi31ggml_cuda_mm_fusion_args_devicePfi15HIP_vector_typeIjLj3EEiiiSB_iiiSB_iiii.has_indirect_call, 0
	.section	.AMDGPU.csdata,"",@progbits
; Kernel info:
; codeLenInByte = 3080
; TotalNumSgprs: 40
; NumVgprs: 33
; ScratchSize: 0
; MemoryBound: 0
; FloatMode: 240
; IeeeMode: 1
; LDSByteSize: 0 bytes/workgroup (compile time only)
; SGPRBlocks: 0
; VGPRBlocks: 4
; NumSGPRsForWavesPerEU: 40
; NumVGPRsForWavesPerEU: 33
; Occupancy: 16
; WaveLimiterHint : 0
; COMPUTE_PGM_RSRC2:SCRATCH_EN: 0
; COMPUTE_PGM_RSRC2:USER_SGPR: 6
; COMPUTE_PGM_RSRC2:TRAP_HANDLER: 0
; COMPUTE_PGM_RSRC2:TGID_X_EN: 1
; COMPUTE_PGM_RSRC2:TGID_Y_EN: 1
; COMPUTE_PGM_RSRC2:TGID_Z_EN: 1
; COMPUTE_PGM_RSRC2:TIDIG_COMP_CNT: 0
	.section	.text._ZL13mul_mat_vec_fI14__hip_bfloat16fLi8ELi96ELb0ELb0EEvPKT_PKfPKi31ggml_cuda_mm_fusion_args_devicePfi15HIP_vector_typeIjLj3EEiiiSB_iiiSB_iiii,"axG",@progbits,_ZL13mul_mat_vec_fI14__hip_bfloat16fLi8ELi96ELb0ELb0EEvPKT_PKfPKi31ggml_cuda_mm_fusion_args_devicePfi15HIP_vector_typeIjLj3EEiiiSB_iiiSB_iiii,comdat
	.globl	_ZL13mul_mat_vec_fI14__hip_bfloat16fLi8ELi96ELb0ELb0EEvPKT_PKfPKi31ggml_cuda_mm_fusion_args_devicePfi15HIP_vector_typeIjLj3EEiiiSB_iiiSB_iiii ; -- Begin function _ZL13mul_mat_vec_fI14__hip_bfloat16fLi8ELi96ELb0ELb0EEvPKT_PKfPKi31ggml_cuda_mm_fusion_args_devicePfi15HIP_vector_typeIjLj3EEiiiSB_iiiSB_iiii
	.p2align	8
	.type	_ZL13mul_mat_vec_fI14__hip_bfloat16fLi8ELi96ELb0ELb0EEvPKT_PKfPKi31ggml_cuda_mm_fusion_args_devicePfi15HIP_vector_typeIjLj3EEiiiSB_iiiSB_iiii,@function
_ZL13mul_mat_vec_fI14__hip_bfloat16fLi8ELi96ELb0ELb0EEvPKT_PKfPKi31ggml_cuda_mm_fusion_args_devicePfi15HIP_vector_typeIjLj3EEiiiSB_iiiSB_iiii: ; @_ZL13mul_mat_vec_fI14__hip_bfloat16fLi8ELi96ELb0ELb0EEvPKT_PKfPKi31ggml_cuda_mm_fusion_args_devicePfi15HIP_vector_typeIjLj3EEiiiSB_iiiSB_iiii
; %bb.0:
	s_clause 0x2
	s_load_dwordx2 s[0:1], s[4:5], 0x10
	s_load_dwordx8 s[12:19], s[4:5], 0x40
	s_load_dwordx4 s[20:23], s[4:5], 0x80
	s_waitcnt lgkmcnt(0)
	s_cmp_eq_u64 s[0:1], 0
	s_cselect_b32 s10, -1, 0
	s_cmp_lg_u64 s[0:1], 0
	s_cselect_b32 s11, -1, 0
	s_and_b32 vcc_lo, exec_lo, s10
	s_cbranch_vccnz .LBB346_2
; %bb.1:
	s_mul_i32 s2, s23, s8
	s_mov_b32 s3, 0
	s_add_i32 s2, s2, s7
	s_lshl_b64 s[24:25], s[2:3], 2
	s_add_u32 s0, s0, s24
	s_addc_u32 s1, s1, s25
	s_load_dword s9, s[0:1], 0x0
	s_cbranch_execz .LBB346_3
	s_branch .LBB346_4
.LBB346_2:
                                        ; implicit-def: $sgpr9
.LBB346_3:
	s_load_dwordx2 s[0:1], s[4:5], 0x5c
	s_waitcnt lgkmcnt(0)
	s_mul_hi_u32 s0, s0, s7
	s_add_i32 s0, s7, s0
	s_lshr_b32 s9, s0, s1
.LBB346_4:
	s_load_dwordx4 s[24:27], s[4:5], 0x68
	s_andn2_b32 vcc_lo, exec_lo, s11
	s_mov_b32 s19, s7
	s_cbranch_vccnz .LBB346_6
; %bb.5:
	s_mul_hi_u32 s0, s13, s7
	s_add_i32 s0, s7, s0
	s_lshr_b32 s0, s0, s14
	s_mul_i32 s0, s0, s15
	s_sub_i32 s19, s7, s0
.LBB346_6:
	s_load_dword s15, s[4:5], 0x78
	v_cmp_gt_u32_e32 vcc_lo, 32, v0
	v_lshl_add_u32 v5, v0, 2, 0
	s_and_saveexec_b32 s0, vcc_lo
; %bb.7:
	v_mov_b32_e32 v1, 0
	ds_write_b32 v5, v1
; %bb.8:
	s_or_b32 exec_lo, exec_lo, s0
	v_mov_b32_e32 v6, 0
	v_mov_b32_e32 v7, 0
	;; [unrolled: 1-line block ×8, first 2 shown]
	s_and_b32 s0, exec_lo, s10
	s_mov_b32 s11, 0
	s_cselect_b32 s10, s8, 0
	s_mov_b32 s13, exec_lo
	s_waitcnt lgkmcnt(0)
	s_barrier
	buffer_gl0_inv
	v_cmpx_gt_i32_e64 s12, v0
	s_cbranch_execz .LBB346_12
; %bb.9:
	s_load_dwordx4 s[0:3], s[4:5], 0x0
	s_mul_hi_u32 s23, s27, s10
	s_mul_hi_i32 s29, s21, s10
	s_mul_i32 s28, s21, s10
	s_mul_i32 s8, s9, s24
	;; [unrolled: 1-line block ×4, first 2 shown]
	s_add_i32 s16, s10, s23
	s_lshl_b64 s[28:29], s[28:29], 2
	s_ashr_i32 s9, s8, 31
	s_ashr_i32 s25, s24, 31
	;; [unrolled: 1-line block ×3, first 2 shown]
	s_lshr_b32 s15, s16, s15
	s_mov_b32 s34, s17
	s_mul_hi_i32 s37, s15, s20
	s_mul_i32 s36, s15, s20
	v_lshlrev_b32_e32 v2, 3, v0
	v_lshlrev_b32_e32 v1, 2, v0
	v_mov_b32_e32 v12, 0
	v_mov_b32_e32 v13, v0
	s_waitcnt lgkmcnt(0)
	s_add_u32 s16, s2, s28
	s_addc_u32 s19, s3, s29
	s_lshl_b64 s[30:31], s[30:31], 2
	v_mov_b32_e32 v14, 0
	s_add_u32 s15, s16, s30
	s_addc_u32 s16, s19, s31
	s_lshl_b64 s[8:9], s[8:9], 1
	s_ashr_i32 s35, s17, 31
	s_add_i32 s19, s17, s17
	s_lshl_b32 s20, s17, 2
	s_lshl_b64 s[36:37], s[36:37], 1
	s_lshl_b64 s[24:25], s[24:25], 1
	s_add_u32 s0, s0, s8
	s_addc_u32 s1, s1, s9
	s_add_u32 s0, s0, s24
	s_addc_u32 s1, s1, s25
	;; [unrolled: 2-line block ×3, first 2 shown]
	s_lshl_b64 s[8:9], s[34:35], 3
	s_add_u32 s2, s2, s30
	s_addc_u32 s3, s3, s31
	s_add_u32 s2, s2, s28
	s_addc_u32 s3, s3, s29
	v_add_co_u32 v3, s2, s2, v2
	v_add_co_ci_u32_e64 v4, null, s3, 0, s2
	v_add_co_u32 v1, s0, s0, v1
	v_add_co_ci_u32_e64 v2, null, s1, 0, s0
	;; [unrolled: 2-line block ×3, first 2 shown]
	v_mov_b32_e32 v11, 0
	v_mov_b32_e32 v10, 0
	;; [unrolled: 1-line block ×6, first 2 shown]
	s_mul_i32 s14, s17, 3
	s_mul_i32 s1, s17, 5
	;; [unrolled: 1-line block ×4, first 2 shown]
.LBB346_10:                             ; =>This Inner Loop Header: Depth=1
	v_add_nc_u32_e32 v19, s19, v13
	v_add_nc_u32_e32 v21, s14, v13
	;; [unrolled: 1-line block ×5, first 2 shown]
	v_ashrrev_i32_e32 v20, 31, v19
	v_ashrrev_i32_e32 v22, 31, v21
	;; [unrolled: 1-line block ×3, first 2 shown]
	v_add_nc_u32_e32 v29, s3, v13
	v_ashrrev_i32_e32 v26, 31, v25
	v_lshlrev_b64 v[19:20], 3, v[19:20]
	v_lshlrev_b64 v[21:22], 3, v[21:22]
	v_ashrrev_i32_e32 v28, 31, v27
	v_add_co_u32 v17, s0, v3, s8
	v_lshlrev_b64 v[23:24], 3, v[23:24]
	v_ashrrev_i32_e32 v30, 31, v29
	v_add_co_ci_u32_e64 v18, null, s9, v4, s0
	v_lshlrev_b64 v[25:26], 3, v[25:26]
	v_add_co_u32 v19, s0, s15, v19
	v_lshlrev_b64 v[27:28], 3, v[27:28]
	v_add_co_ci_u32_e64 v20, null, s16, v20, s0
	v_add_co_u32 v21, s0, s15, v21
	v_lshlrev_b64 v[29:30], 3, v[29:30]
	v_add_co_ci_u32_e64 v22, null, s16, v22, s0
	v_add_co_u32 v23, s0, s15, v23
	v_add_co_ci_u32_e64 v24, null, s16, v24, s0
	v_add_co_u32 v25, s0, s15, v25
	;; [unrolled: 2-line block ×3, first 2 shown]
	global_load_dword v31, v[1:2], off
	global_load_dwordx2 v[15:16], v[3:4], off offset:-4
	v_add_co_ci_u32_e64 v28, null, s16, v28, s0
	v_add_co_u32 v29, s0, s15, v29
	v_add_co_ci_u32_e64 v30, null, s16, v30, s0
	global_load_dwordx2 v[17:18], v[17:18], off offset:-4
	s_clause 0x5
	global_load_dwordx2 v[19:20], v[19:20], off
	global_load_dwordx2 v[21:22], v[21:22], off
	;; [unrolled: 1-line block ×6, first 2 shown]
	v_add_nc_u32_e32 v13, 0x60, v13
	v_add_co_u32 v1, s0, 0x180, v1
	v_add_co_ci_u32_e64 v2, null, 0, v2, s0
	v_add_co_u32 v3, s0, 0x300, v3
	v_add_co_ci_u32_e64 v4, null, 0, v4, s0
	v_cmp_le_i32_e64 s0, s12, v13
	s_or_b32 s11, s0, s11
	s_waitcnt vmcnt(8)
	v_lshlrev_b32_e32 v32, 16, v31
	v_and_b32_e32 v31, 0xffff0000, v31
	s_waitcnt vmcnt(7)
	v_fmac_f32_e32 v12, v15, v32
	s_waitcnt vmcnt(5)
	v_fmac_f32_e32 v11, v19, v32
	;; [unrolled: 2-line block ×3, first 2 shown]
	v_fmac_f32_e32 v14, v17, v32
	s_waitcnt vmcnt(3)
	v_fmac_f32_e32 v9, v23, v32
	s_waitcnt vmcnt(2)
	;; [unrolled: 2-line block ×4, first 2 shown]
	v_fmac_f32_e32 v6, v29, v32
	v_fmac_f32_e32 v12, v16, v31
	;; [unrolled: 1-line block ×9, first 2 shown]
	s_andn2_b32 exec_lo, exec_lo, s11
	s_cbranch_execnz .LBB346_10
; %bb.11:
	s_or_b32 exec_lo, exec_lo, s11
.LBB346_12:
	s_or_b32 exec_lo, exec_lo, s13
	v_mbcnt_lo_u32_b32 v2, -1, 0
	v_xor_b32_e32 v1, 16, v2
	v_xor_b32_e32 v3, 8, v2
	v_cmp_gt_i32_e64 s0, 32, v1
	v_cndmask_b32_e64 v1, v2, v1, s0
	v_cmp_gt_i32_e64 s0, 32, v3
	v_lshlrev_b32_e32 v1, 2, v1
	v_cndmask_b32_e64 v3, v2, v3, s0
	ds_bpermute_b32 v4, v1, v12
	v_lshlrev_b32_e32 v3, 2, v3
	s_waitcnt lgkmcnt(0)
	v_add_f32_e32 v12, v12, v4
	v_xor_b32_e32 v4, 4, v2
	ds_bpermute_b32 v13, v3, v12
	v_cmp_gt_i32_e64 s0, 32, v4
	v_cndmask_b32_e64 v4, v2, v4, s0
	v_lshlrev_b32_e32 v4, 2, v4
	s_waitcnt lgkmcnt(0)
	v_add_f32_e32 v13, v12, v13
	v_xor_b32_e32 v12, 2, v2
	ds_bpermute_b32 v15, v4, v13
	v_cmp_gt_i32_e64 s0, 32, v12
	v_cndmask_b32_e64 v12, v2, v12, s0
	;; [unrolled: 7-line block ×3, first 2 shown]
	v_lshlrev_b32_e32 v13, 2, v2
	s_waitcnt lgkmcnt(0)
	v_add_f32_e32 v2, v15, v16
	v_lshrrev_b32_e32 v15, 3, v0
	ds_bpermute_b32 v16, v13, v2
	v_and_b32_e32 v15, 0x7c, v15
	v_add_nc_u32_e32 v15, 0, v15
	s_waitcnt lgkmcnt(0)
	v_add_f32_e32 v2, v2, v16
	ds_write_b32 v15, v2
	s_waitcnt lgkmcnt(0)
	s_barrier
	buffer_gl0_inv
	s_and_saveexec_b32 s0, vcc_lo
	s_cbranch_execz .LBB346_14
; %bb.13:
	ds_read_b32 v2, v5
	s_waitcnt lgkmcnt(0)
	ds_bpermute_b32 v16, v1, v2
	s_waitcnt lgkmcnt(0)
	v_add_f32_e32 v2, v2, v16
	ds_bpermute_b32 v16, v3, v2
	s_waitcnt lgkmcnt(0)
	v_add_f32_e32 v2, v2, v16
	ds_bpermute_b32 v16, v4, v2
	s_waitcnt lgkmcnt(0)
	v_add_f32_e32 v2, v2, v16
	ds_bpermute_b32 v16, v12, v2
	s_waitcnt lgkmcnt(0)
	v_add_f32_e32 v2, v2, v16
	ds_bpermute_b32 v16, v13, v2
	s_waitcnt lgkmcnt(0)
	v_add_f32_e32 v2, v2, v16
.LBB346_14:
	s_or_b32 exec_lo, exec_lo, s0
	ds_bpermute_b32 v16, v1, v14
	s_waitcnt lgkmcnt(0)
	s_barrier
	buffer_gl0_inv
	v_add_f32_e32 v14, v14, v16
	ds_bpermute_b32 v16, v3, v14
	s_waitcnt lgkmcnt(0)
	v_add_f32_e32 v14, v14, v16
	ds_bpermute_b32 v16, v4, v14
	s_waitcnt lgkmcnt(0)
	v_add_f32_e32 v14, v14, v16
	ds_bpermute_b32 v16, v12, v14
	s_waitcnt lgkmcnt(0)
	v_add_f32_e32 v14, v14, v16
	ds_bpermute_b32 v16, v13, v14
	s_waitcnt lgkmcnt(0)
	v_add_f32_e32 v14, v14, v16
	ds_write_b32 v15, v14
	s_waitcnt lgkmcnt(0)
	s_barrier
	buffer_gl0_inv
	s_and_saveexec_b32 s0, vcc_lo
	s_cbranch_execz .LBB346_16
; %bb.15:
	ds_read_b32 v14, v5
	s_waitcnt lgkmcnt(0)
	ds_bpermute_b32 v16, v1, v14
	s_waitcnt lgkmcnt(0)
	v_add_f32_e32 v14, v14, v16
	ds_bpermute_b32 v16, v3, v14
	s_waitcnt lgkmcnt(0)
	v_add_f32_e32 v14, v14, v16
	ds_bpermute_b32 v16, v4, v14
	s_waitcnt lgkmcnt(0)
	v_add_f32_e32 v14, v14, v16
	ds_bpermute_b32 v16, v12, v14
	s_waitcnt lgkmcnt(0)
	v_add_f32_e32 v14, v14, v16
	ds_bpermute_b32 v16, v13, v14
	s_waitcnt lgkmcnt(0)
	v_add_f32_e32 v14, v14, v16
.LBB346_16:
	s_or_b32 exec_lo, exec_lo, s0
	ds_bpermute_b32 v16, v1, v11
	s_waitcnt lgkmcnt(0)
	s_barrier
	buffer_gl0_inv
	v_add_f32_e32 v11, v11, v16
	ds_bpermute_b32 v16, v3, v11
	s_waitcnt lgkmcnt(0)
	v_add_f32_e32 v11, v11, v16
	ds_bpermute_b32 v16, v4, v11
	s_waitcnt lgkmcnt(0)
	v_add_f32_e32 v11, v11, v16
	ds_bpermute_b32 v16, v12, v11
	s_waitcnt lgkmcnt(0)
	v_add_f32_e32 v11, v11, v16
	ds_bpermute_b32 v16, v13, v11
	;; [unrolled: 43-line block ×7, first 2 shown]
	s_waitcnt lgkmcnt(0)
	v_add_f32_e32 v6, v6, v16
	ds_write_b32 v15, v6
	s_waitcnt lgkmcnt(0)
	s_barrier
	buffer_gl0_inv
	s_and_saveexec_b32 s0, vcc_lo
	s_cbranch_execz .LBB346_28
; %bb.27:
	ds_read_b32 v5, v5
	s_waitcnt lgkmcnt(0)
	ds_bpermute_b32 v1, v1, v5
	s_waitcnt lgkmcnt(0)
	v_add_f32_e32 v1, v5, v1
	ds_bpermute_b32 v3, v3, v1
	s_waitcnt lgkmcnt(0)
	v_add_f32_e32 v1, v1, v3
	;; [unrolled: 3-line block ×5, first 2 shown]
.LBB346_28:
	s_or_b32 exec_lo, exec_lo, s0
	s_barrier
	buffer_gl0_inv
	s_mov_b32 s0, exec_lo
	v_cmpx_gt_u32_e32 8, v0
	s_cbranch_execz .LBB346_30
; %bb.29:
	v_cmp_eq_u32_e32 vcc_lo, 1, v0
	s_load_dwordx2 s[0:1], s[4:5], 0x38
	s_mul_hi_i32 s3, s22, s10
	s_mul_i32 s2, s22, s10
	s_mul_i32 s4, s26, s7
	v_cndmask_b32_e32 v1, v2, v14, vcc_lo
	v_cmp_eq_u32_e32 vcc_lo, 2, v0
	s_lshl_b64 s[2:3], s[2:3], 2
	s_ashr_i32 s5, s4, 31
	v_cndmask_b32_e32 v3, v1, v11, vcc_lo
	v_cmp_eq_u32_e32 vcc_lo, 3, v0
	v_mad_u64_u32 v[1:2], null, s18, v0, s[6:7]
	v_cndmask_b32_e32 v2, v3, v10, vcc_lo
	v_cmp_eq_u32_e32 vcc_lo, 4, v0
	s_waitcnt lgkmcnt(0)
	s_add_u32 s2, s0, s2
	s_addc_u32 s3, s1, s3
	v_cndmask_b32_e32 v3, v2, v9, vcc_lo
	v_cmp_eq_u32_e32 vcc_lo, 5, v0
	v_ashrrev_i32_e32 v2, 31, v1
	s_lshl_b64 s[0:1], s[4:5], 2
	s_add_u32 s0, s2, s0
	v_cndmask_b32_e32 v3, v3, v8, vcc_lo
	v_cmp_eq_u32_e32 vcc_lo, 6, v0
	v_lshlrev_b64 v[1:2], 2, v[1:2]
	s_addc_u32 s1, s3, s1
	v_cndmask_b32_e32 v3, v3, v7, vcc_lo
	v_cmp_eq_u32_e32 vcc_lo, 7, v0
	v_cndmask_b32_e32 v3, v3, v6, vcc_lo
	v_add_co_u32 v0, vcc_lo, s0, v1
	v_add_co_ci_u32_e64 v1, null, s1, v2, vcc_lo
	global_store_dword v[0:1], v3, off
.LBB346_30:
	s_endpgm
	.section	.rodata,"a",@progbits
	.p2align	6, 0x0
	.amdhsa_kernel _ZL13mul_mat_vec_fI14__hip_bfloat16fLi8ELi96ELb0ELb0EEvPKT_PKfPKi31ggml_cuda_mm_fusion_args_devicePfi15HIP_vector_typeIjLj3EEiiiSB_iiiSB_iiii
		.amdhsa_group_segment_fixed_size 0
		.amdhsa_private_segment_fixed_size 0
		.amdhsa_kernarg_size 144
		.amdhsa_user_sgpr_count 6
		.amdhsa_user_sgpr_private_segment_buffer 1
		.amdhsa_user_sgpr_dispatch_ptr 0
		.amdhsa_user_sgpr_queue_ptr 0
		.amdhsa_user_sgpr_kernarg_segment_ptr 1
		.amdhsa_user_sgpr_dispatch_id 0
		.amdhsa_user_sgpr_flat_scratch_init 0
		.amdhsa_user_sgpr_private_segment_size 0
		.amdhsa_wavefront_size32 1
		.amdhsa_uses_dynamic_stack 0
		.amdhsa_system_sgpr_private_segment_wavefront_offset 0
		.amdhsa_system_sgpr_workgroup_id_x 1
		.amdhsa_system_sgpr_workgroup_id_y 1
		.amdhsa_system_sgpr_workgroup_id_z 1
		.amdhsa_system_sgpr_workgroup_info 0
		.amdhsa_system_vgpr_workitem_id 0
		.amdhsa_next_free_vgpr 33
		.amdhsa_next_free_sgpr 38
		.amdhsa_reserve_vcc 1
		.amdhsa_reserve_flat_scratch 0
		.amdhsa_float_round_mode_32 0
		.amdhsa_float_round_mode_16_64 0
		.amdhsa_float_denorm_mode_32 3
		.amdhsa_float_denorm_mode_16_64 3
		.amdhsa_dx10_clamp 1
		.amdhsa_ieee_mode 1
		.amdhsa_fp16_overflow 0
		.amdhsa_workgroup_processor_mode 1
		.amdhsa_memory_ordered 1
		.amdhsa_forward_progress 1
		.amdhsa_shared_vgpr_count 0
		.amdhsa_exception_fp_ieee_invalid_op 0
		.amdhsa_exception_fp_denorm_src 0
		.amdhsa_exception_fp_ieee_div_zero 0
		.amdhsa_exception_fp_ieee_overflow 0
		.amdhsa_exception_fp_ieee_underflow 0
		.amdhsa_exception_fp_ieee_inexact 0
		.amdhsa_exception_int_div_zero 0
	.end_amdhsa_kernel
	.section	.text._ZL13mul_mat_vec_fI14__hip_bfloat16fLi8ELi96ELb0ELb0EEvPKT_PKfPKi31ggml_cuda_mm_fusion_args_devicePfi15HIP_vector_typeIjLj3EEiiiSB_iiiSB_iiii,"axG",@progbits,_ZL13mul_mat_vec_fI14__hip_bfloat16fLi8ELi96ELb0ELb0EEvPKT_PKfPKi31ggml_cuda_mm_fusion_args_devicePfi15HIP_vector_typeIjLj3EEiiiSB_iiiSB_iiii,comdat
.Lfunc_end346:
	.size	_ZL13mul_mat_vec_fI14__hip_bfloat16fLi8ELi96ELb0ELb0EEvPKT_PKfPKi31ggml_cuda_mm_fusion_args_devicePfi15HIP_vector_typeIjLj3EEiiiSB_iiiSB_iiii, .Lfunc_end346-_ZL13mul_mat_vec_fI14__hip_bfloat16fLi8ELi96ELb0ELb0EEvPKT_PKfPKi31ggml_cuda_mm_fusion_args_devicePfi15HIP_vector_typeIjLj3EEiiiSB_iiiSB_iiii
                                        ; -- End function
	.set _ZL13mul_mat_vec_fI14__hip_bfloat16fLi8ELi96ELb0ELb0EEvPKT_PKfPKi31ggml_cuda_mm_fusion_args_devicePfi15HIP_vector_typeIjLj3EEiiiSB_iiiSB_iiii.num_vgpr, 33
	.set _ZL13mul_mat_vec_fI14__hip_bfloat16fLi8ELi96ELb0ELb0EEvPKT_PKfPKi31ggml_cuda_mm_fusion_args_devicePfi15HIP_vector_typeIjLj3EEiiiSB_iiiSB_iiii.num_agpr, 0
	.set _ZL13mul_mat_vec_fI14__hip_bfloat16fLi8ELi96ELb0ELb0EEvPKT_PKfPKi31ggml_cuda_mm_fusion_args_devicePfi15HIP_vector_typeIjLj3EEiiiSB_iiiSB_iiii.numbered_sgpr, 38
	.set _ZL13mul_mat_vec_fI14__hip_bfloat16fLi8ELi96ELb0ELb0EEvPKT_PKfPKi31ggml_cuda_mm_fusion_args_devicePfi15HIP_vector_typeIjLj3EEiiiSB_iiiSB_iiii.num_named_barrier, 0
	.set _ZL13mul_mat_vec_fI14__hip_bfloat16fLi8ELi96ELb0ELb0EEvPKT_PKfPKi31ggml_cuda_mm_fusion_args_devicePfi15HIP_vector_typeIjLj3EEiiiSB_iiiSB_iiii.private_seg_size, 0
	.set _ZL13mul_mat_vec_fI14__hip_bfloat16fLi8ELi96ELb0ELb0EEvPKT_PKfPKi31ggml_cuda_mm_fusion_args_devicePfi15HIP_vector_typeIjLj3EEiiiSB_iiiSB_iiii.uses_vcc, 1
	.set _ZL13mul_mat_vec_fI14__hip_bfloat16fLi8ELi96ELb0ELb0EEvPKT_PKfPKi31ggml_cuda_mm_fusion_args_devicePfi15HIP_vector_typeIjLj3EEiiiSB_iiiSB_iiii.uses_flat_scratch, 0
	.set _ZL13mul_mat_vec_fI14__hip_bfloat16fLi8ELi96ELb0ELb0EEvPKT_PKfPKi31ggml_cuda_mm_fusion_args_devicePfi15HIP_vector_typeIjLj3EEiiiSB_iiiSB_iiii.has_dyn_sized_stack, 0
	.set _ZL13mul_mat_vec_fI14__hip_bfloat16fLi8ELi96ELb0ELb0EEvPKT_PKfPKi31ggml_cuda_mm_fusion_args_devicePfi15HIP_vector_typeIjLj3EEiiiSB_iiiSB_iiii.has_recursion, 0
	.set _ZL13mul_mat_vec_fI14__hip_bfloat16fLi8ELi96ELb0ELb0EEvPKT_PKfPKi31ggml_cuda_mm_fusion_args_devicePfi15HIP_vector_typeIjLj3EEiiiSB_iiiSB_iiii.has_indirect_call, 0
	.section	.AMDGPU.csdata,"",@progbits
; Kernel info:
; codeLenInByte = 3084
; TotalNumSgprs: 40
; NumVgprs: 33
; ScratchSize: 0
; MemoryBound: 0
; FloatMode: 240
; IeeeMode: 1
; LDSByteSize: 0 bytes/workgroup (compile time only)
; SGPRBlocks: 0
; VGPRBlocks: 4
; NumSGPRsForWavesPerEU: 40
; NumVGPRsForWavesPerEU: 33
; Occupancy: 16
; WaveLimiterHint : 0
; COMPUTE_PGM_RSRC2:SCRATCH_EN: 0
; COMPUTE_PGM_RSRC2:USER_SGPR: 6
; COMPUTE_PGM_RSRC2:TRAP_HANDLER: 0
; COMPUTE_PGM_RSRC2:TGID_X_EN: 1
; COMPUTE_PGM_RSRC2:TGID_Y_EN: 1
; COMPUTE_PGM_RSRC2:TGID_Z_EN: 1
; COMPUTE_PGM_RSRC2:TIDIG_COMP_CNT: 0
	.section	.text._ZL13mul_mat_vec_fI14__hip_bfloat16fLi8ELi128ELb0ELb0EEvPKT_PKfPKi31ggml_cuda_mm_fusion_args_devicePfi15HIP_vector_typeIjLj3EEiiiSB_iiiSB_iiii,"axG",@progbits,_ZL13mul_mat_vec_fI14__hip_bfloat16fLi8ELi128ELb0ELb0EEvPKT_PKfPKi31ggml_cuda_mm_fusion_args_devicePfi15HIP_vector_typeIjLj3EEiiiSB_iiiSB_iiii,comdat
	.globl	_ZL13mul_mat_vec_fI14__hip_bfloat16fLi8ELi128ELb0ELb0EEvPKT_PKfPKi31ggml_cuda_mm_fusion_args_devicePfi15HIP_vector_typeIjLj3EEiiiSB_iiiSB_iiii ; -- Begin function _ZL13mul_mat_vec_fI14__hip_bfloat16fLi8ELi128ELb0ELb0EEvPKT_PKfPKi31ggml_cuda_mm_fusion_args_devicePfi15HIP_vector_typeIjLj3EEiiiSB_iiiSB_iiii
	.p2align	8
	.type	_ZL13mul_mat_vec_fI14__hip_bfloat16fLi8ELi128ELb0ELb0EEvPKT_PKfPKi31ggml_cuda_mm_fusion_args_devicePfi15HIP_vector_typeIjLj3EEiiiSB_iiiSB_iiii,@function
_ZL13mul_mat_vec_fI14__hip_bfloat16fLi8ELi128ELb0ELb0EEvPKT_PKfPKi31ggml_cuda_mm_fusion_args_devicePfi15HIP_vector_typeIjLj3EEiiiSB_iiiSB_iiii: ; @_ZL13mul_mat_vec_fI14__hip_bfloat16fLi8ELi128ELb0ELb0EEvPKT_PKfPKi31ggml_cuda_mm_fusion_args_devicePfi15HIP_vector_typeIjLj3EEiiiSB_iiiSB_iiii
; %bb.0:
	s_clause 0x2
	s_load_dwordx2 s[0:1], s[4:5], 0x10
	s_load_dwordx8 s[12:19], s[4:5], 0x40
	s_load_dwordx4 s[20:23], s[4:5], 0x80
	s_waitcnt lgkmcnt(0)
	s_cmp_eq_u64 s[0:1], 0
	s_cselect_b32 s10, -1, 0
	s_cmp_lg_u64 s[0:1], 0
	s_cselect_b32 s11, -1, 0
	s_and_b32 vcc_lo, exec_lo, s10
	s_cbranch_vccnz .LBB347_2
; %bb.1:
	s_mul_i32 s2, s23, s8
	s_mov_b32 s3, 0
	s_add_i32 s2, s2, s7
	s_lshl_b64 s[24:25], s[2:3], 2
	s_add_u32 s0, s0, s24
	s_addc_u32 s1, s1, s25
	s_load_dword s9, s[0:1], 0x0
	s_cbranch_execz .LBB347_3
	s_branch .LBB347_4
.LBB347_2:
                                        ; implicit-def: $sgpr9
.LBB347_3:
	s_load_dwordx2 s[0:1], s[4:5], 0x5c
	s_waitcnt lgkmcnt(0)
	s_mul_hi_u32 s0, s0, s7
	s_add_i32 s0, s7, s0
	s_lshr_b32 s9, s0, s1
.LBB347_4:
	s_load_dwordx4 s[24:27], s[4:5], 0x68
	s_andn2_b32 vcc_lo, exec_lo, s11
	s_mov_b32 s19, s7
	s_cbranch_vccnz .LBB347_6
; %bb.5:
	s_mul_hi_u32 s0, s13, s7
	s_add_i32 s0, s7, s0
	s_lshr_b32 s0, s0, s14
	s_mul_i32 s0, s0, s15
	s_sub_i32 s19, s7, s0
.LBB347_6:
	s_load_dword s15, s[4:5], 0x78
	v_cmp_gt_u32_e32 vcc_lo, 32, v0
	v_lshl_add_u32 v5, v0, 2, 0
	s_and_saveexec_b32 s0, vcc_lo
; %bb.7:
	v_mov_b32_e32 v1, 0
	ds_write_b32 v5, v1
; %bb.8:
	s_or_b32 exec_lo, exec_lo, s0
	v_mov_b32_e32 v6, 0
	v_mov_b32_e32 v7, 0
	;; [unrolled: 1-line block ×8, first 2 shown]
	s_and_b32 s0, exec_lo, s10
	s_mov_b32 s11, 0
	s_cselect_b32 s10, s8, 0
	s_mov_b32 s13, exec_lo
	s_waitcnt lgkmcnt(0)
	s_barrier
	buffer_gl0_inv
	v_cmpx_gt_i32_e64 s12, v0
	s_cbranch_execz .LBB347_12
; %bb.9:
	s_load_dwordx4 s[0:3], s[4:5], 0x0
	s_mul_hi_u32 s23, s27, s10
	s_mul_hi_i32 s29, s21, s10
	s_mul_i32 s28, s21, s10
	s_mul_i32 s8, s9, s24
	;; [unrolled: 1-line block ×4, first 2 shown]
	s_add_i32 s16, s10, s23
	s_lshl_b64 s[28:29], s[28:29], 2
	s_ashr_i32 s9, s8, 31
	s_ashr_i32 s25, s24, 31
	;; [unrolled: 1-line block ×3, first 2 shown]
	s_lshr_b32 s15, s16, s15
	s_mov_b32 s34, s17
	s_mul_hi_i32 s37, s15, s20
	s_mul_i32 s36, s15, s20
	v_lshlrev_b32_e32 v2, 3, v0
	v_lshlrev_b32_e32 v1, 2, v0
	v_mov_b32_e32 v12, 0
	v_mov_b32_e32 v13, v0
	s_waitcnt lgkmcnt(0)
	s_add_u32 s16, s2, s28
	s_addc_u32 s19, s3, s29
	s_lshl_b64 s[30:31], s[30:31], 2
	v_mov_b32_e32 v14, 0
	s_add_u32 s15, s16, s30
	s_addc_u32 s16, s19, s31
	s_lshl_b64 s[8:9], s[8:9], 1
	s_ashr_i32 s35, s17, 31
	s_add_i32 s19, s17, s17
	s_lshl_b32 s20, s17, 2
	s_lshl_b64 s[36:37], s[36:37], 1
	s_lshl_b64 s[24:25], s[24:25], 1
	s_add_u32 s0, s0, s8
	s_addc_u32 s1, s1, s9
	s_add_u32 s0, s0, s24
	s_addc_u32 s1, s1, s25
	;; [unrolled: 2-line block ×3, first 2 shown]
	s_lshl_b64 s[8:9], s[34:35], 3
	s_add_u32 s2, s2, s30
	s_addc_u32 s3, s3, s31
	s_add_u32 s2, s2, s28
	s_addc_u32 s3, s3, s29
	v_add_co_u32 v3, s2, s2, v2
	v_add_co_ci_u32_e64 v4, null, s3, 0, s2
	v_add_co_u32 v1, s0, s0, v1
	v_add_co_ci_u32_e64 v2, null, s1, 0, s0
	;; [unrolled: 2-line block ×3, first 2 shown]
	v_mov_b32_e32 v11, 0
	v_mov_b32_e32 v10, 0
	;; [unrolled: 1-line block ×6, first 2 shown]
	s_mul_i32 s14, s17, 3
	s_mul_i32 s1, s17, 5
	;; [unrolled: 1-line block ×4, first 2 shown]
.LBB347_10:                             ; =>This Inner Loop Header: Depth=1
	v_add_nc_u32_e32 v19, s19, v13
	v_add_nc_u32_e32 v21, s14, v13
	v_add_nc_u32_e32 v23, s20, v13
	v_add_nc_u32_e32 v25, s1, v13
	v_add_nc_u32_e32 v27, s2, v13
	v_ashrrev_i32_e32 v20, 31, v19
	v_ashrrev_i32_e32 v22, 31, v21
	;; [unrolled: 1-line block ×3, first 2 shown]
	v_add_nc_u32_e32 v29, s3, v13
	v_ashrrev_i32_e32 v26, 31, v25
	v_lshlrev_b64 v[19:20], 3, v[19:20]
	v_lshlrev_b64 v[21:22], 3, v[21:22]
	v_ashrrev_i32_e32 v28, 31, v27
	v_add_co_u32 v17, s0, v3, s8
	v_lshlrev_b64 v[23:24], 3, v[23:24]
	v_ashrrev_i32_e32 v30, 31, v29
	v_add_co_ci_u32_e64 v18, null, s9, v4, s0
	v_lshlrev_b64 v[25:26], 3, v[25:26]
	v_add_co_u32 v19, s0, s15, v19
	v_lshlrev_b64 v[27:28], 3, v[27:28]
	v_add_co_ci_u32_e64 v20, null, s16, v20, s0
	v_add_co_u32 v21, s0, s15, v21
	v_lshlrev_b64 v[29:30], 3, v[29:30]
	v_add_co_ci_u32_e64 v22, null, s16, v22, s0
	v_add_co_u32 v23, s0, s15, v23
	v_add_co_ci_u32_e64 v24, null, s16, v24, s0
	v_add_co_u32 v25, s0, s15, v25
	;; [unrolled: 2-line block ×3, first 2 shown]
	global_load_dword v31, v[1:2], off
	global_load_dwordx2 v[15:16], v[3:4], off offset:-4
	v_add_co_ci_u32_e64 v28, null, s16, v28, s0
	v_add_co_u32 v29, s0, s15, v29
	v_add_co_ci_u32_e64 v30, null, s16, v30, s0
	global_load_dwordx2 v[17:18], v[17:18], off offset:-4
	s_clause 0x5
	global_load_dwordx2 v[19:20], v[19:20], off
	global_load_dwordx2 v[21:22], v[21:22], off
	;; [unrolled: 1-line block ×6, first 2 shown]
	v_add_nc_u32_e32 v13, 0x80, v13
	v_add_co_u32 v1, s0, 0x200, v1
	v_add_co_ci_u32_e64 v2, null, 0, v2, s0
	v_add_co_u32 v3, s0, 0x400, v3
	v_add_co_ci_u32_e64 v4, null, 0, v4, s0
	v_cmp_le_i32_e64 s0, s12, v13
	s_or_b32 s11, s0, s11
	s_waitcnt vmcnt(8)
	v_lshlrev_b32_e32 v32, 16, v31
	v_and_b32_e32 v31, 0xffff0000, v31
	s_waitcnt vmcnt(7)
	v_fmac_f32_e32 v12, v15, v32
	s_waitcnt vmcnt(5)
	v_fmac_f32_e32 v11, v19, v32
	;; [unrolled: 2-line block ×3, first 2 shown]
	v_fmac_f32_e32 v14, v17, v32
	s_waitcnt vmcnt(3)
	v_fmac_f32_e32 v9, v23, v32
	s_waitcnt vmcnt(2)
	;; [unrolled: 2-line block ×4, first 2 shown]
	v_fmac_f32_e32 v6, v29, v32
	v_fmac_f32_e32 v12, v16, v31
	;; [unrolled: 1-line block ×9, first 2 shown]
	s_andn2_b32 exec_lo, exec_lo, s11
	s_cbranch_execnz .LBB347_10
; %bb.11:
	s_or_b32 exec_lo, exec_lo, s11
.LBB347_12:
	s_or_b32 exec_lo, exec_lo, s13
	v_mbcnt_lo_u32_b32 v2, -1, 0
	v_xor_b32_e32 v1, 16, v2
	v_xor_b32_e32 v3, 8, v2
	v_cmp_gt_i32_e64 s0, 32, v1
	v_cndmask_b32_e64 v1, v2, v1, s0
	v_cmp_gt_i32_e64 s0, 32, v3
	v_lshlrev_b32_e32 v1, 2, v1
	v_cndmask_b32_e64 v3, v2, v3, s0
	ds_bpermute_b32 v4, v1, v12
	v_lshlrev_b32_e32 v3, 2, v3
	s_waitcnt lgkmcnt(0)
	v_add_f32_e32 v12, v12, v4
	v_xor_b32_e32 v4, 4, v2
	ds_bpermute_b32 v13, v3, v12
	v_cmp_gt_i32_e64 s0, 32, v4
	v_cndmask_b32_e64 v4, v2, v4, s0
	v_lshlrev_b32_e32 v4, 2, v4
	s_waitcnt lgkmcnt(0)
	v_add_f32_e32 v13, v12, v13
	v_xor_b32_e32 v12, 2, v2
	ds_bpermute_b32 v15, v4, v13
	v_cmp_gt_i32_e64 s0, 32, v12
	v_cndmask_b32_e64 v12, v2, v12, s0
	;; [unrolled: 7-line block ×3, first 2 shown]
	v_lshlrev_b32_e32 v13, 2, v2
	s_waitcnt lgkmcnt(0)
	v_add_f32_e32 v2, v15, v16
	v_lshrrev_b32_e32 v15, 3, v0
	ds_bpermute_b32 v16, v13, v2
	v_and_b32_e32 v15, 0x7c, v15
	v_add_nc_u32_e32 v15, 0, v15
	s_waitcnt lgkmcnt(0)
	v_add_f32_e32 v2, v2, v16
	ds_write_b32 v15, v2
	s_waitcnt lgkmcnt(0)
	s_barrier
	buffer_gl0_inv
	s_and_saveexec_b32 s0, vcc_lo
	s_cbranch_execz .LBB347_14
; %bb.13:
	ds_read_b32 v2, v5
	s_waitcnt lgkmcnt(0)
	ds_bpermute_b32 v16, v1, v2
	s_waitcnt lgkmcnt(0)
	v_add_f32_e32 v2, v2, v16
	ds_bpermute_b32 v16, v3, v2
	s_waitcnt lgkmcnt(0)
	v_add_f32_e32 v2, v2, v16
	ds_bpermute_b32 v16, v4, v2
	s_waitcnt lgkmcnt(0)
	v_add_f32_e32 v2, v2, v16
	ds_bpermute_b32 v16, v12, v2
	s_waitcnt lgkmcnt(0)
	v_add_f32_e32 v2, v2, v16
	ds_bpermute_b32 v16, v13, v2
	s_waitcnt lgkmcnt(0)
	v_add_f32_e32 v2, v2, v16
.LBB347_14:
	s_or_b32 exec_lo, exec_lo, s0
	ds_bpermute_b32 v16, v1, v14
	s_waitcnt lgkmcnt(0)
	s_barrier
	buffer_gl0_inv
	v_add_f32_e32 v14, v14, v16
	ds_bpermute_b32 v16, v3, v14
	s_waitcnt lgkmcnt(0)
	v_add_f32_e32 v14, v14, v16
	ds_bpermute_b32 v16, v4, v14
	s_waitcnt lgkmcnt(0)
	v_add_f32_e32 v14, v14, v16
	ds_bpermute_b32 v16, v12, v14
	s_waitcnt lgkmcnt(0)
	v_add_f32_e32 v14, v14, v16
	ds_bpermute_b32 v16, v13, v14
	s_waitcnt lgkmcnt(0)
	v_add_f32_e32 v14, v14, v16
	ds_write_b32 v15, v14
	s_waitcnt lgkmcnt(0)
	s_barrier
	buffer_gl0_inv
	s_and_saveexec_b32 s0, vcc_lo
	s_cbranch_execz .LBB347_16
; %bb.15:
	ds_read_b32 v14, v5
	s_waitcnt lgkmcnt(0)
	ds_bpermute_b32 v16, v1, v14
	s_waitcnt lgkmcnt(0)
	v_add_f32_e32 v14, v14, v16
	ds_bpermute_b32 v16, v3, v14
	s_waitcnt lgkmcnt(0)
	v_add_f32_e32 v14, v14, v16
	ds_bpermute_b32 v16, v4, v14
	s_waitcnt lgkmcnt(0)
	v_add_f32_e32 v14, v14, v16
	ds_bpermute_b32 v16, v12, v14
	s_waitcnt lgkmcnt(0)
	v_add_f32_e32 v14, v14, v16
	ds_bpermute_b32 v16, v13, v14
	s_waitcnt lgkmcnt(0)
	v_add_f32_e32 v14, v14, v16
.LBB347_16:
	s_or_b32 exec_lo, exec_lo, s0
	ds_bpermute_b32 v16, v1, v11
	s_waitcnt lgkmcnt(0)
	s_barrier
	buffer_gl0_inv
	v_add_f32_e32 v11, v11, v16
	ds_bpermute_b32 v16, v3, v11
	s_waitcnt lgkmcnt(0)
	v_add_f32_e32 v11, v11, v16
	ds_bpermute_b32 v16, v4, v11
	s_waitcnt lgkmcnt(0)
	v_add_f32_e32 v11, v11, v16
	ds_bpermute_b32 v16, v12, v11
	s_waitcnt lgkmcnt(0)
	v_add_f32_e32 v11, v11, v16
	ds_bpermute_b32 v16, v13, v11
	;; [unrolled: 43-line block ×7, first 2 shown]
	s_waitcnt lgkmcnt(0)
	v_add_f32_e32 v6, v6, v16
	ds_write_b32 v15, v6
	s_waitcnt lgkmcnt(0)
	s_barrier
	buffer_gl0_inv
	s_and_saveexec_b32 s0, vcc_lo
	s_cbranch_execz .LBB347_28
; %bb.27:
	ds_read_b32 v5, v5
	s_waitcnt lgkmcnt(0)
	ds_bpermute_b32 v1, v1, v5
	s_waitcnt lgkmcnt(0)
	v_add_f32_e32 v1, v5, v1
	ds_bpermute_b32 v3, v3, v1
	s_waitcnt lgkmcnt(0)
	v_add_f32_e32 v1, v1, v3
	;; [unrolled: 3-line block ×5, first 2 shown]
.LBB347_28:
	s_or_b32 exec_lo, exec_lo, s0
	s_barrier
	buffer_gl0_inv
	s_mov_b32 s0, exec_lo
	v_cmpx_gt_u32_e32 8, v0
	s_cbranch_execz .LBB347_30
; %bb.29:
	v_cmp_eq_u32_e32 vcc_lo, 1, v0
	s_load_dwordx2 s[0:1], s[4:5], 0x38
	s_mul_hi_i32 s3, s22, s10
	s_mul_i32 s2, s22, s10
	s_mul_i32 s4, s26, s7
	v_cndmask_b32_e32 v1, v2, v14, vcc_lo
	v_cmp_eq_u32_e32 vcc_lo, 2, v0
	s_lshl_b64 s[2:3], s[2:3], 2
	s_ashr_i32 s5, s4, 31
	v_cndmask_b32_e32 v3, v1, v11, vcc_lo
	v_cmp_eq_u32_e32 vcc_lo, 3, v0
	v_mad_u64_u32 v[1:2], null, s18, v0, s[6:7]
	v_cndmask_b32_e32 v2, v3, v10, vcc_lo
	v_cmp_eq_u32_e32 vcc_lo, 4, v0
	s_waitcnt lgkmcnt(0)
	s_add_u32 s2, s0, s2
	s_addc_u32 s3, s1, s3
	v_cndmask_b32_e32 v3, v2, v9, vcc_lo
	v_cmp_eq_u32_e32 vcc_lo, 5, v0
	v_ashrrev_i32_e32 v2, 31, v1
	s_lshl_b64 s[0:1], s[4:5], 2
	s_add_u32 s0, s2, s0
	v_cndmask_b32_e32 v3, v3, v8, vcc_lo
	v_cmp_eq_u32_e32 vcc_lo, 6, v0
	v_lshlrev_b64 v[1:2], 2, v[1:2]
	s_addc_u32 s1, s3, s1
	v_cndmask_b32_e32 v3, v3, v7, vcc_lo
	v_cmp_eq_u32_e32 vcc_lo, 7, v0
	v_cndmask_b32_e32 v3, v3, v6, vcc_lo
	v_add_co_u32 v0, vcc_lo, s0, v1
	v_add_co_ci_u32_e64 v1, null, s1, v2, vcc_lo
	global_store_dword v[0:1], v3, off
.LBB347_30:
	s_endpgm
	.section	.rodata,"a",@progbits
	.p2align	6, 0x0
	.amdhsa_kernel _ZL13mul_mat_vec_fI14__hip_bfloat16fLi8ELi128ELb0ELb0EEvPKT_PKfPKi31ggml_cuda_mm_fusion_args_devicePfi15HIP_vector_typeIjLj3EEiiiSB_iiiSB_iiii
		.amdhsa_group_segment_fixed_size 0
		.amdhsa_private_segment_fixed_size 0
		.amdhsa_kernarg_size 144
		.amdhsa_user_sgpr_count 6
		.amdhsa_user_sgpr_private_segment_buffer 1
		.amdhsa_user_sgpr_dispatch_ptr 0
		.amdhsa_user_sgpr_queue_ptr 0
		.amdhsa_user_sgpr_kernarg_segment_ptr 1
		.amdhsa_user_sgpr_dispatch_id 0
		.amdhsa_user_sgpr_flat_scratch_init 0
		.amdhsa_user_sgpr_private_segment_size 0
		.amdhsa_wavefront_size32 1
		.amdhsa_uses_dynamic_stack 0
		.amdhsa_system_sgpr_private_segment_wavefront_offset 0
		.amdhsa_system_sgpr_workgroup_id_x 1
		.amdhsa_system_sgpr_workgroup_id_y 1
		.amdhsa_system_sgpr_workgroup_id_z 1
		.amdhsa_system_sgpr_workgroup_info 0
		.amdhsa_system_vgpr_workitem_id 0
		.amdhsa_next_free_vgpr 33
		.amdhsa_next_free_sgpr 38
		.amdhsa_reserve_vcc 1
		.amdhsa_reserve_flat_scratch 0
		.amdhsa_float_round_mode_32 0
		.amdhsa_float_round_mode_16_64 0
		.amdhsa_float_denorm_mode_32 3
		.amdhsa_float_denorm_mode_16_64 3
		.amdhsa_dx10_clamp 1
		.amdhsa_ieee_mode 1
		.amdhsa_fp16_overflow 0
		.amdhsa_workgroup_processor_mode 1
		.amdhsa_memory_ordered 1
		.amdhsa_forward_progress 1
		.amdhsa_shared_vgpr_count 0
		.amdhsa_exception_fp_ieee_invalid_op 0
		.amdhsa_exception_fp_denorm_src 0
		.amdhsa_exception_fp_ieee_div_zero 0
		.amdhsa_exception_fp_ieee_overflow 0
		.amdhsa_exception_fp_ieee_underflow 0
		.amdhsa_exception_fp_ieee_inexact 0
		.amdhsa_exception_int_div_zero 0
	.end_amdhsa_kernel
	.section	.text._ZL13mul_mat_vec_fI14__hip_bfloat16fLi8ELi128ELb0ELb0EEvPKT_PKfPKi31ggml_cuda_mm_fusion_args_devicePfi15HIP_vector_typeIjLj3EEiiiSB_iiiSB_iiii,"axG",@progbits,_ZL13mul_mat_vec_fI14__hip_bfloat16fLi8ELi128ELb0ELb0EEvPKT_PKfPKi31ggml_cuda_mm_fusion_args_devicePfi15HIP_vector_typeIjLj3EEiiiSB_iiiSB_iiii,comdat
.Lfunc_end347:
	.size	_ZL13mul_mat_vec_fI14__hip_bfloat16fLi8ELi128ELb0ELb0EEvPKT_PKfPKi31ggml_cuda_mm_fusion_args_devicePfi15HIP_vector_typeIjLj3EEiiiSB_iiiSB_iiii, .Lfunc_end347-_ZL13mul_mat_vec_fI14__hip_bfloat16fLi8ELi128ELb0ELb0EEvPKT_PKfPKi31ggml_cuda_mm_fusion_args_devicePfi15HIP_vector_typeIjLj3EEiiiSB_iiiSB_iiii
                                        ; -- End function
	.set _ZL13mul_mat_vec_fI14__hip_bfloat16fLi8ELi128ELb0ELb0EEvPKT_PKfPKi31ggml_cuda_mm_fusion_args_devicePfi15HIP_vector_typeIjLj3EEiiiSB_iiiSB_iiii.num_vgpr, 33
	.set _ZL13mul_mat_vec_fI14__hip_bfloat16fLi8ELi128ELb0ELb0EEvPKT_PKfPKi31ggml_cuda_mm_fusion_args_devicePfi15HIP_vector_typeIjLj3EEiiiSB_iiiSB_iiii.num_agpr, 0
	.set _ZL13mul_mat_vec_fI14__hip_bfloat16fLi8ELi128ELb0ELb0EEvPKT_PKfPKi31ggml_cuda_mm_fusion_args_devicePfi15HIP_vector_typeIjLj3EEiiiSB_iiiSB_iiii.numbered_sgpr, 38
	.set _ZL13mul_mat_vec_fI14__hip_bfloat16fLi8ELi128ELb0ELb0EEvPKT_PKfPKi31ggml_cuda_mm_fusion_args_devicePfi15HIP_vector_typeIjLj3EEiiiSB_iiiSB_iiii.num_named_barrier, 0
	.set _ZL13mul_mat_vec_fI14__hip_bfloat16fLi8ELi128ELb0ELb0EEvPKT_PKfPKi31ggml_cuda_mm_fusion_args_devicePfi15HIP_vector_typeIjLj3EEiiiSB_iiiSB_iiii.private_seg_size, 0
	.set _ZL13mul_mat_vec_fI14__hip_bfloat16fLi8ELi128ELb0ELb0EEvPKT_PKfPKi31ggml_cuda_mm_fusion_args_devicePfi15HIP_vector_typeIjLj3EEiiiSB_iiiSB_iiii.uses_vcc, 1
	.set _ZL13mul_mat_vec_fI14__hip_bfloat16fLi8ELi128ELb0ELb0EEvPKT_PKfPKi31ggml_cuda_mm_fusion_args_devicePfi15HIP_vector_typeIjLj3EEiiiSB_iiiSB_iiii.uses_flat_scratch, 0
	.set _ZL13mul_mat_vec_fI14__hip_bfloat16fLi8ELi128ELb0ELb0EEvPKT_PKfPKi31ggml_cuda_mm_fusion_args_devicePfi15HIP_vector_typeIjLj3EEiiiSB_iiiSB_iiii.has_dyn_sized_stack, 0
	.set _ZL13mul_mat_vec_fI14__hip_bfloat16fLi8ELi128ELb0ELb0EEvPKT_PKfPKi31ggml_cuda_mm_fusion_args_devicePfi15HIP_vector_typeIjLj3EEiiiSB_iiiSB_iiii.has_recursion, 0
	.set _ZL13mul_mat_vec_fI14__hip_bfloat16fLi8ELi128ELb0ELb0EEvPKT_PKfPKi31ggml_cuda_mm_fusion_args_devicePfi15HIP_vector_typeIjLj3EEiiiSB_iiiSB_iiii.has_indirect_call, 0
	.section	.AMDGPU.csdata,"",@progbits
; Kernel info:
; codeLenInByte = 3084
; TotalNumSgprs: 40
; NumVgprs: 33
; ScratchSize: 0
; MemoryBound: 0
; FloatMode: 240
; IeeeMode: 1
; LDSByteSize: 0 bytes/workgroup (compile time only)
; SGPRBlocks: 0
; VGPRBlocks: 4
; NumSGPRsForWavesPerEU: 40
; NumVGPRsForWavesPerEU: 33
; Occupancy: 16
; WaveLimiterHint : 0
; COMPUTE_PGM_RSRC2:SCRATCH_EN: 0
; COMPUTE_PGM_RSRC2:USER_SGPR: 6
; COMPUTE_PGM_RSRC2:TRAP_HANDLER: 0
; COMPUTE_PGM_RSRC2:TGID_X_EN: 1
; COMPUTE_PGM_RSRC2:TGID_Y_EN: 1
; COMPUTE_PGM_RSRC2:TGID_Z_EN: 1
; COMPUTE_PGM_RSRC2:TIDIG_COMP_CNT: 0
	.section	.text._ZL13mul_mat_vec_fI14__hip_bfloat16fLi8ELi160ELb0ELb0EEvPKT_PKfPKi31ggml_cuda_mm_fusion_args_devicePfi15HIP_vector_typeIjLj3EEiiiSB_iiiSB_iiii,"axG",@progbits,_ZL13mul_mat_vec_fI14__hip_bfloat16fLi8ELi160ELb0ELb0EEvPKT_PKfPKi31ggml_cuda_mm_fusion_args_devicePfi15HIP_vector_typeIjLj3EEiiiSB_iiiSB_iiii,comdat
	.globl	_ZL13mul_mat_vec_fI14__hip_bfloat16fLi8ELi160ELb0ELb0EEvPKT_PKfPKi31ggml_cuda_mm_fusion_args_devicePfi15HIP_vector_typeIjLj3EEiiiSB_iiiSB_iiii ; -- Begin function _ZL13mul_mat_vec_fI14__hip_bfloat16fLi8ELi160ELb0ELb0EEvPKT_PKfPKi31ggml_cuda_mm_fusion_args_devicePfi15HIP_vector_typeIjLj3EEiiiSB_iiiSB_iiii
	.p2align	8
	.type	_ZL13mul_mat_vec_fI14__hip_bfloat16fLi8ELi160ELb0ELb0EEvPKT_PKfPKi31ggml_cuda_mm_fusion_args_devicePfi15HIP_vector_typeIjLj3EEiiiSB_iiiSB_iiii,@function
_ZL13mul_mat_vec_fI14__hip_bfloat16fLi8ELi160ELb0ELb0EEvPKT_PKfPKi31ggml_cuda_mm_fusion_args_devicePfi15HIP_vector_typeIjLj3EEiiiSB_iiiSB_iiii: ; @_ZL13mul_mat_vec_fI14__hip_bfloat16fLi8ELi160ELb0ELb0EEvPKT_PKfPKi31ggml_cuda_mm_fusion_args_devicePfi15HIP_vector_typeIjLj3EEiiiSB_iiiSB_iiii
; %bb.0:
	s_clause 0x2
	s_load_dwordx2 s[0:1], s[4:5], 0x10
	s_load_dwordx8 s[12:19], s[4:5], 0x40
	s_load_dwordx4 s[20:23], s[4:5], 0x80
	s_waitcnt lgkmcnt(0)
	s_cmp_eq_u64 s[0:1], 0
	s_cselect_b32 s10, -1, 0
	s_cmp_lg_u64 s[0:1], 0
	s_cselect_b32 s11, -1, 0
	s_and_b32 vcc_lo, exec_lo, s10
	s_cbranch_vccnz .LBB348_2
; %bb.1:
	s_mul_i32 s2, s23, s8
	s_mov_b32 s3, 0
	s_add_i32 s2, s2, s7
	s_lshl_b64 s[24:25], s[2:3], 2
	s_add_u32 s0, s0, s24
	s_addc_u32 s1, s1, s25
	s_load_dword s9, s[0:1], 0x0
	s_cbranch_execz .LBB348_3
	s_branch .LBB348_4
.LBB348_2:
                                        ; implicit-def: $sgpr9
.LBB348_3:
	s_load_dwordx2 s[0:1], s[4:5], 0x5c
	s_waitcnt lgkmcnt(0)
	s_mul_hi_u32 s0, s0, s7
	s_add_i32 s0, s7, s0
	s_lshr_b32 s9, s0, s1
.LBB348_4:
	s_load_dwordx4 s[24:27], s[4:5], 0x68
	s_andn2_b32 vcc_lo, exec_lo, s11
	s_mov_b32 s19, s7
	s_cbranch_vccnz .LBB348_6
; %bb.5:
	s_mul_hi_u32 s0, s13, s7
	s_add_i32 s0, s7, s0
	s_lshr_b32 s0, s0, s14
	s_mul_i32 s0, s0, s15
	s_sub_i32 s19, s7, s0
.LBB348_6:
	s_load_dword s15, s[4:5], 0x78
	v_cmp_gt_u32_e32 vcc_lo, 32, v0
	v_lshl_add_u32 v5, v0, 2, 0
	s_and_saveexec_b32 s0, vcc_lo
; %bb.7:
	v_mov_b32_e32 v1, 0
	ds_write_b32 v5, v1
; %bb.8:
	s_or_b32 exec_lo, exec_lo, s0
	v_mov_b32_e32 v6, 0
	v_mov_b32_e32 v7, 0
	;; [unrolled: 1-line block ×8, first 2 shown]
	s_and_b32 s0, exec_lo, s10
	s_mov_b32 s11, 0
	s_cselect_b32 s10, s8, 0
	s_mov_b32 s13, exec_lo
	s_waitcnt lgkmcnt(0)
	s_barrier
	buffer_gl0_inv
	v_cmpx_gt_i32_e64 s12, v0
	s_cbranch_execz .LBB348_12
; %bb.9:
	s_load_dwordx4 s[0:3], s[4:5], 0x0
	s_mul_hi_u32 s23, s27, s10
	s_mul_hi_i32 s29, s21, s10
	s_mul_i32 s28, s21, s10
	s_mul_i32 s8, s9, s24
	;; [unrolled: 1-line block ×4, first 2 shown]
	s_add_i32 s16, s10, s23
	s_lshl_b64 s[28:29], s[28:29], 2
	s_ashr_i32 s9, s8, 31
	s_ashr_i32 s25, s24, 31
	;; [unrolled: 1-line block ×3, first 2 shown]
	s_lshr_b32 s15, s16, s15
	s_mov_b32 s34, s17
	s_mul_hi_i32 s37, s15, s20
	s_mul_i32 s36, s15, s20
	v_lshlrev_b32_e32 v2, 3, v0
	v_lshlrev_b32_e32 v1, 2, v0
	v_mov_b32_e32 v12, 0
	v_mov_b32_e32 v13, v0
	s_waitcnt lgkmcnt(0)
	s_add_u32 s16, s2, s28
	s_addc_u32 s19, s3, s29
	s_lshl_b64 s[30:31], s[30:31], 2
	v_mov_b32_e32 v14, 0
	s_add_u32 s15, s16, s30
	s_addc_u32 s16, s19, s31
	s_lshl_b64 s[8:9], s[8:9], 1
	s_ashr_i32 s35, s17, 31
	s_add_i32 s19, s17, s17
	s_lshl_b32 s20, s17, 2
	s_lshl_b64 s[36:37], s[36:37], 1
	s_lshl_b64 s[24:25], s[24:25], 1
	s_add_u32 s0, s0, s8
	s_addc_u32 s1, s1, s9
	s_add_u32 s0, s0, s24
	s_addc_u32 s1, s1, s25
	;; [unrolled: 2-line block ×3, first 2 shown]
	s_lshl_b64 s[8:9], s[34:35], 3
	s_add_u32 s2, s2, s30
	s_addc_u32 s3, s3, s31
	s_add_u32 s2, s2, s28
	s_addc_u32 s3, s3, s29
	v_add_co_u32 v3, s2, s2, v2
	v_add_co_ci_u32_e64 v4, null, s3, 0, s2
	v_add_co_u32 v1, s0, s0, v1
	v_add_co_ci_u32_e64 v2, null, s1, 0, s0
	;; [unrolled: 2-line block ×3, first 2 shown]
	v_mov_b32_e32 v11, 0
	v_mov_b32_e32 v10, 0
	;; [unrolled: 1-line block ×6, first 2 shown]
	s_mul_i32 s14, s17, 3
	s_mul_i32 s1, s17, 5
	;; [unrolled: 1-line block ×4, first 2 shown]
.LBB348_10:                             ; =>This Inner Loop Header: Depth=1
	v_add_nc_u32_e32 v19, s19, v13
	v_add_nc_u32_e32 v21, s14, v13
	;; [unrolled: 1-line block ×5, first 2 shown]
	v_ashrrev_i32_e32 v20, 31, v19
	v_ashrrev_i32_e32 v22, 31, v21
	;; [unrolled: 1-line block ×3, first 2 shown]
	v_add_nc_u32_e32 v29, s3, v13
	v_ashrrev_i32_e32 v26, 31, v25
	v_lshlrev_b64 v[19:20], 3, v[19:20]
	v_lshlrev_b64 v[21:22], 3, v[21:22]
	v_ashrrev_i32_e32 v28, 31, v27
	v_add_co_u32 v17, s0, v3, s8
	v_lshlrev_b64 v[23:24], 3, v[23:24]
	v_ashrrev_i32_e32 v30, 31, v29
	v_add_co_ci_u32_e64 v18, null, s9, v4, s0
	v_lshlrev_b64 v[25:26], 3, v[25:26]
	v_add_co_u32 v19, s0, s15, v19
	v_lshlrev_b64 v[27:28], 3, v[27:28]
	v_add_co_ci_u32_e64 v20, null, s16, v20, s0
	v_add_co_u32 v21, s0, s15, v21
	v_lshlrev_b64 v[29:30], 3, v[29:30]
	v_add_co_ci_u32_e64 v22, null, s16, v22, s0
	v_add_co_u32 v23, s0, s15, v23
	v_add_co_ci_u32_e64 v24, null, s16, v24, s0
	v_add_co_u32 v25, s0, s15, v25
	;; [unrolled: 2-line block ×3, first 2 shown]
	global_load_dword v31, v[1:2], off
	global_load_dwordx2 v[15:16], v[3:4], off offset:-4
	v_add_co_ci_u32_e64 v28, null, s16, v28, s0
	v_add_co_u32 v29, s0, s15, v29
	v_add_co_ci_u32_e64 v30, null, s16, v30, s0
	global_load_dwordx2 v[17:18], v[17:18], off offset:-4
	s_clause 0x5
	global_load_dwordx2 v[19:20], v[19:20], off
	global_load_dwordx2 v[21:22], v[21:22], off
	;; [unrolled: 1-line block ×6, first 2 shown]
	v_add_nc_u32_e32 v13, 0xa0, v13
	v_add_co_u32 v1, s0, 0x280, v1
	v_add_co_ci_u32_e64 v2, null, 0, v2, s0
	v_add_co_u32 v3, s0, 0x500, v3
	v_add_co_ci_u32_e64 v4, null, 0, v4, s0
	v_cmp_le_i32_e64 s0, s12, v13
	s_or_b32 s11, s0, s11
	s_waitcnt vmcnt(8)
	v_lshlrev_b32_e32 v32, 16, v31
	v_and_b32_e32 v31, 0xffff0000, v31
	s_waitcnt vmcnt(7)
	v_fmac_f32_e32 v12, v15, v32
	s_waitcnt vmcnt(5)
	v_fmac_f32_e32 v11, v19, v32
	;; [unrolled: 2-line block ×3, first 2 shown]
	v_fmac_f32_e32 v14, v17, v32
	s_waitcnt vmcnt(3)
	v_fmac_f32_e32 v9, v23, v32
	s_waitcnt vmcnt(2)
	;; [unrolled: 2-line block ×4, first 2 shown]
	v_fmac_f32_e32 v6, v29, v32
	v_fmac_f32_e32 v12, v16, v31
	;; [unrolled: 1-line block ×9, first 2 shown]
	s_andn2_b32 exec_lo, exec_lo, s11
	s_cbranch_execnz .LBB348_10
; %bb.11:
	s_or_b32 exec_lo, exec_lo, s11
.LBB348_12:
	s_or_b32 exec_lo, exec_lo, s13
	v_mbcnt_lo_u32_b32 v2, -1, 0
	v_xor_b32_e32 v1, 16, v2
	v_xor_b32_e32 v3, 8, v2
	v_cmp_gt_i32_e64 s0, 32, v1
	v_cndmask_b32_e64 v1, v2, v1, s0
	v_cmp_gt_i32_e64 s0, 32, v3
	v_lshlrev_b32_e32 v1, 2, v1
	v_cndmask_b32_e64 v3, v2, v3, s0
	ds_bpermute_b32 v4, v1, v12
	v_lshlrev_b32_e32 v3, 2, v3
	s_waitcnt lgkmcnt(0)
	v_add_f32_e32 v12, v12, v4
	v_xor_b32_e32 v4, 4, v2
	ds_bpermute_b32 v13, v3, v12
	v_cmp_gt_i32_e64 s0, 32, v4
	v_cndmask_b32_e64 v4, v2, v4, s0
	v_lshlrev_b32_e32 v4, 2, v4
	s_waitcnt lgkmcnt(0)
	v_add_f32_e32 v13, v12, v13
	v_xor_b32_e32 v12, 2, v2
	ds_bpermute_b32 v15, v4, v13
	v_cmp_gt_i32_e64 s0, 32, v12
	v_cndmask_b32_e64 v12, v2, v12, s0
	;; [unrolled: 7-line block ×3, first 2 shown]
	v_lshlrev_b32_e32 v13, 2, v2
	s_waitcnt lgkmcnt(0)
	v_add_f32_e32 v2, v15, v16
	v_lshrrev_b32_e32 v15, 3, v0
	ds_bpermute_b32 v16, v13, v2
	v_and_b32_e32 v15, 0x7c, v15
	v_add_nc_u32_e32 v15, 0, v15
	s_waitcnt lgkmcnt(0)
	v_add_f32_e32 v2, v2, v16
	ds_write_b32 v15, v2
	s_waitcnt lgkmcnt(0)
	s_barrier
	buffer_gl0_inv
	s_and_saveexec_b32 s0, vcc_lo
	s_cbranch_execz .LBB348_14
; %bb.13:
	ds_read_b32 v2, v5
	s_waitcnt lgkmcnt(0)
	ds_bpermute_b32 v16, v1, v2
	s_waitcnt lgkmcnt(0)
	v_add_f32_e32 v2, v2, v16
	ds_bpermute_b32 v16, v3, v2
	s_waitcnt lgkmcnt(0)
	v_add_f32_e32 v2, v2, v16
	ds_bpermute_b32 v16, v4, v2
	s_waitcnt lgkmcnt(0)
	v_add_f32_e32 v2, v2, v16
	ds_bpermute_b32 v16, v12, v2
	s_waitcnt lgkmcnt(0)
	v_add_f32_e32 v2, v2, v16
	ds_bpermute_b32 v16, v13, v2
	s_waitcnt lgkmcnt(0)
	v_add_f32_e32 v2, v2, v16
.LBB348_14:
	s_or_b32 exec_lo, exec_lo, s0
	ds_bpermute_b32 v16, v1, v14
	s_waitcnt lgkmcnt(0)
	s_barrier
	buffer_gl0_inv
	v_add_f32_e32 v14, v14, v16
	ds_bpermute_b32 v16, v3, v14
	s_waitcnt lgkmcnt(0)
	v_add_f32_e32 v14, v14, v16
	ds_bpermute_b32 v16, v4, v14
	s_waitcnt lgkmcnt(0)
	v_add_f32_e32 v14, v14, v16
	ds_bpermute_b32 v16, v12, v14
	s_waitcnt lgkmcnt(0)
	v_add_f32_e32 v14, v14, v16
	ds_bpermute_b32 v16, v13, v14
	s_waitcnt lgkmcnt(0)
	v_add_f32_e32 v14, v14, v16
	ds_write_b32 v15, v14
	s_waitcnt lgkmcnt(0)
	s_barrier
	buffer_gl0_inv
	s_and_saveexec_b32 s0, vcc_lo
	s_cbranch_execz .LBB348_16
; %bb.15:
	ds_read_b32 v14, v5
	s_waitcnt lgkmcnt(0)
	ds_bpermute_b32 v16, v1, v14
	s_waitcnt lgkmcnt(0)
	v_add_f32_e32 v14, v14, v16
	ds_bpermute_b32 v16, v3, v14
	s_waitcnt lgkmcnt(0)
	v_add_f32_e32 v14, v14, v16
	ds_bpermute_b32 v16, v4, v14
	s_waitcnt lgkmcnt(0)
	v_add_f32_e32 v14, v14, v16
	ds_bpermute_b32 v16, v12, v14
	s_waitcnt lgkmcnt(0)
	v_add_f32_e32 v14, v14, v16
	ds_bpermute_b32 v16, v13, v14
	s_waitcnt lgkmcnt(0)
	v_add_f32_e32 v14, v14, v16
.LBB348_16:
	s_or_b32 exec_lo, exec_lo, s0
	ds_bpermute_b32 v16, v1, v11
	s_waitcnt lgkmcnt(0)
	s_barrier
	buffer_gl0_inv
	v_add_f32_e32 v11, v11, v16
	ds_bpermute_b32 v16, v3, v11
	s_waitcnt lgkmcnt(0)
	v_add_f32_e32 v11, v11, v16
	ds_bpermute_b32 v16, v4, v11
	s_waitcnt lgkmcnt(0)
	v_add_f32_e32 v11, v11, v16
	ds_bpermute_b32 v16, v12, v11
	s_waitcnt lgkmcnt(0)
	v_add_f32_e32 v11, v11, v16
	ds_bpermute_b32 v16, v13, v11
	;; [unrolled: 43-line block ×7, first 2 shown]
	s_waitcnt lgkmcnt(0)
	v_add_f32_e32 v6, v6, v16
	ds_write_b32 v15, v6
	s_waitcnt lgkmcnt(0)
	s_barrier
	buffer_gl0_inv
	s_and_saveexec_b32 s0, vcc_lo
	s_cbranch_execz .LBB348_28
; %bb.27:
	ds_read_b32 v5, v5
	s_waitcnt lgkmcnt(0)
	ds_bpermute_b32 v1, v1, v5
	s_waitcnt lgkmcnt(0)
	v_add_f32_e32 v1, v5, v1
	ds_bpermute_b32 v3, v3, v1
	s_waitcnt lgkmcnt(0)
	v_add_f32_e32 v1, v1, v3
	;; [unrolled: 3-line block ×5, first 2 shown]
.LBB348_28:
	s_or_b32 exec_lo, exec_lo, s0
	s_barrier
	buffer_gl0_inv
	s_mov_b32 s0, exec_lo
	v_cmpx_gt_u32_e32 8, v0
	s_cbranch_execz .LBB348_30
; %bb.29:
	v_cmp_eq_u32_e32 vcc_lo, 1, v0
	s_load_dwordx2 s[0:1], s[4:5], 0x38
	s_mul_hi_i32 s3, s22, s10
	s_mul_i32 s2, s22, s10
	s_mul_i32 s4, s26, s7
	v_cndmask_b32_e32 v1, v2, v14, vcc_lo
	v_cmp_eq_u32_e32 vcc_lo, 2, v0
	s_lshl_b64 s[2:3], s[2:3], 2
	s_ashr_i32 s5, s4, 31
	v_cndmask_b32_e32 v3, v1, v11, vcc_lo
	v_cmp_eq_u32_e32 vcc_lo, 3, v0
	v_mad_u64_u32 v[1:2], null, s18, v0, s[6:7]
	v_cndmask_b32_e32 v2, v3, v10, vcc_lo
	v_cmp_eq_u32_e32 vcc_lo, 4, v0
	s_waitcnt lgkmcnt(0)
	s_add_u32 s2, s0, s2
	s_addc_u32 s3, s1, s3
	v_cndmask_b32_e32 v3, v2, v9, vcc_lo
	v_cmp_eq_u32_e32 vcc_lo, 5, v0
	v_ashrrev_i32_e32 v2, 31, v1
	s_lshl_b64 s[0:1], s[4:5], 2
	s_add_u32 s0, s2, s0
	v_cndmask_b32_e32 v3, v3, v8, vcc_lo
	v_cmp_eq_u32_e32 vcc_lo, 6, v0
	v_lshlrev_b64 v[1:2], 2, v[1:2]
	s_addc_u32 s1, s3, s1
	v_cndmask_b32_e32 v3, v3, v7, vcc_lo
	v_cmp_eq_u32_e32 vcc_lo, 7, v0
	v_cndmask_b32_e32 v3, v3, v6, vcc_lo
	v_add_co_u32 v0, vcc_lo, s0, v1
	v_add_co_ci_u32_e64 v1, null, s1, v2, vcc_lo
	global_store_dword v[0:1], v3, off
.LBB348_30:
	s_endpgm
	.section	.rodata,"a",@progbits
	.p2align	6, 0x0
	.amdhsa_kernel _ZL13mul_mat_vec_fI14__hip_bfloat16fLi8ELi160ELb0ELb0EEvPKT_PKfPKi31ggml_cuda_mm_fusion_args_devicePfi15HIP_vector_typeIjLj3EEiiiSB_iiiSB_iiii
		.amdhsa_group_segment_fixed_size 0
		.amdhsa_private_segment_fixed_size 0
		.amdhsa_kernarg_size 144
		.amdhsa_user_sgpr_count 6
		.amdhsa_user_sgpr_private_segment_buffer 1
		.amdhsa_user_sgpr_dispatch_ptr 0
		.amdhsa_user_sgpr_queue_ptr 0
		.amdhsa_user_sgpr_kernarg_segment_ptr 1
		.amdhsa_user_sgpr_dispatch_id 0
		.amdhsa_user_sgpr_flat_scratch_init 0
		.amdhsa_user_sgpr_private_segment_size 0
		.amdhsa_wavefront_size32 1
		.amdhsa_uses_dynamic_stack 0
		.amdhsa_system_sgpr_private_segment_wavefront_offset 0
		.amdhsa_system_sgpr_workgroup_id_x 1
		.amdhsa_system_sgpr_workgroup_id_y 1
		.amdhsa_system_sgpr_workgroup_id_z 1
		.amdhsa_system_sgpr_workgroup_info 0
		.amdhsa_system_vgpr_workitem_id 0
		.amdhsa_next_free_vgpr 33
		.amdhsa_next_free_sgpr 38
		.amdhsa_reserve_vcc 1
		.amdhsa_reserve_flat_scratch 0
		.amdhsa_float_round_mode_32 0
		.amdhsa_float_round_mode_16_64 0
		.amdhsa_float_denorm_mode_32 3
		.amdhsa_float_denorm_mode_16_64 3
		.amdhsa_dx10_clamp 1
		.amdhsa_ieee_mode 1
		.amdhsa_fp16_overflow 0
		.amdhsa_workgroup_processor_mode 1
		.amdhsa_memory_ordered 1
		.amdhsa_forward_progress 1
		.amdhsa_shared_vgpr_count 0
		.amdhsa_exception_fp_ieee_invalid_op 0
		.amdhsa_exception_fp_denorm_src 0
		.amdhsa_exception_fp_ieee_div_zero 0
		.amdhsa_exception_fp_ieee_overflow 0
		.amdhsa_exception_fp_ieee_underflow 0
		.amdhsa_exception_fp_ieee_inexact 0
		.amdhsa_exception_int_div_zero 0
	.end_amdhsa_kernel
	.section	.text._ZL13mul_mat_vec_fI14__hip_bfloat16fLi8ELi160ELb0ELb0EEvPKT_PKfPKi31ggml_cuda_mm_fusion_args_devicePfi15HIP_vector_typeIjLj3EEiiiSB_iiiSB_iiii,"axG",@progbits,_ZL13mul_mat_vec_fI14__hip_bfloat16fLi8ELi160ELb0ELb0EEvPKT_PKfPKi31ggml_cuda_mm_fusion_args_devicePfi15HIP_vector_typeIjLj3EEiiiSB_iiiSB_iiii,comdat
.Lfunc_end348:
	.size	_ZL13mul_mat_vec_fI14__hip_bfloat16fLi8ELi160ELb0ELb0EEvPKT_PKfPKi31ggml_cuda_mm_fusion_args_devicePfi15HIP_vector_typeIjLj3EEiiiSB_iiiSB_iiii, .Lfunc_end348-_ZL13mul_mat_vec_fI14__hip_bfloat16fLi8ELi160ELb0ELb0EEvPKT_PKfPKi31ggml_cuda_mm_fusion_args_devicePfi15HIP_vector_typeIjLj3EEiiiSB_iiiSB_iiii
                                        ; -- End function
	.set _ZL13mul_mat_vec_fI14__hip_bfloat16fLi8ELi160ELb0ELb0EEvPKT_PKfPKi31ggml_cuda_mm_fusion_args_devicePfi15HIP_vector_typeIjLj3EEiiiSB_iiiSB_iiii.num_vgpr, 33
	.set _ZL13mul_mat_vec_fI14__hip_bfloat16fLi8ELi160ELb0ELb0EEvPKT_PKfPKi31ggml_cuda_mm_fusion_args_devicePfi15HIP_vector_typeIjLj3EEiiiSB_iiiSB_iiii.num_agpr, 0
	.set _ZL13mul_mat_vec_fI14__hip_bfloat16fLi8ELi160ELb0ELb0EEvPKT_PKfPKi31ggml_cuda_mm_fusion_args_devicePfi15HIP_vector_typeIjLj3EEiiiSB_iiiSB_iiii.numbered_sgpr, 38
	.set _ZL13mul_mat_vec_fI14__hip_bfloat16fLi8ELi160ELb0ELb0EEvPKT_PKfPKi31ggml_cuda_mm_fusion_args_devicePfi15HIP_vector_typeIjLj3EEiiiSB_iiiSB_iiii.num_named_barrier, 0
	.set _ZL13mul_mat_vec_fI14__hip_bfloat16fLi8ELi160ELb0ELb0EEvPKT_PKfPKi31ggml_cuda_mm_fusion_args_devicePfi15HIP_vector_typeIjLj3EEiiiSB_iiiSB_iiii.private_seg_size, 0
	.set _ZL13mul_mat_vec_fI14__hip_bfloat16fLi8ELi160ELb0ELb0EEvPKT_PKfPKi31ggml_cuda_mm_fusion_args_devicePfi15HIP_vector_typeIjLj3EEiiiSB_iiiSB_iiii.uses_vcc, 1
	.set _ZL13mul_mat_vec_fI14__hip_bfloat16fLi8ELi160ELb0ELb0EEvPKT_PKfPKi31ggml_cuda_mm_fusion_args_devicePfi15HIP_vector_typeIjLj3EEiiiSB_iiiSB_iiii.uses_flat_scratch, 0
	.set _ZL13mul_mat_vec_fI14__hip_bfloat16fLi8ELi160ELb0ELb0EEvPKT_PKfPKi31ggml_cuda_mm_fusion_args_devicePfi15HIP_vector_typeIjLj3EEiiiSB_iiiSB_iiii.has_dyn_sized_stack, 0
	.set _ZL13mul_mat_vec_fI14__hip_bfloat16fLi8ELi160ELb0ELb0EEvPKT_PKfPKi31ggml_cuda_mm_fusion_args_devicePfi15HIP_vector_typeIjLj3EEiiiSB_iiiSB_iiii.has_recursion, 0
	.set _ZL13mul_mat_vec_fI14__hip_bfloat16fLi8ELi160ELb0ELb0EEvPKT_PKfPKi31ggml_cuda_mm_fusion_args_devicePfi15HIP_vector_typeIjLj3EEiiiSB_iiiSB_iiii.has_indirect_call, 0
	.section	.AMDGPU.csdata,"",@progbits
; Kernel info:
; codeLenInByte = 3084
; TotalNumSgprs: 40
; NumVgprs: 33
; ScratchSize: 0
; MemoryBound: 0
; FloatMode: 240
; IeeeMode: 1
; LDSByteSize: 0 bytes/workgroup (compile time only)
; SGPRBlocks: 0
; VGPRBlocks: 4
; NumSGPRsForWavesPerEU: 40
; NumVGPRsForWavesPerEU: 33
; Occupancy: 16
; WaveLimiterHint : 0
; COMPUTE_PGM_RSRC2:SCRATCH_EN: 0
; COMPUTE_PGM_RSRC2:USER_SGPR: 6
; COMPUTE_PGM_RSRC2:TRAP_HANDLER: 0
; COMPUTE_PGM_RSRC2:TGID_X_EN: 1
; COMPUTE_PGM_RSRC2:TGID_Y_EN: 1
; COMPUTE_PGM_RSRC2:TGID_Z_EN: 1
; COMPUTE_PGM_RSRC2:TIDIG_COMP_CNT: 0
	.section	.text._ZL13mul_mat_vec_fI14__hip_bfloat16fLi8ELi192ELb0ELb0EEvPKT_PKfPKi31ggml_cuda_mm_fusion_args_devicePfi15HIP_vector_typeIjLj3EEiiiSB_iiiSB_iiii,"axG",@progbits,_ZL13mul_mat_vec_fI14__hip_bfloat16fLi8ELi192ELb0ELb0EEvPKT_PKfPKi31ggml_cuda_mm_fusion_args_devicePfi15HIP_vector_typeIjLj3EEiiiSB_iiiSB_iiii,comdat
	.globl	_ZL13mul_mat_vec_fI14__hip_bfloat16fLi8ELi192ELb0ELb0EEvPKT_PKfPKi31ggml_cuda_mm_fusion_args_devicePfi15HIP_vector_typeIjLj3EEiiiSB_iiiSB_iiii ; -- Begin function _ZL13mul_mat_vec_fI14__hip_bfloat16fLi8ELi192ELb0ELb0EEvPKT_PKfPKi31ggml_cuda_mm_fusion_args_devicePfi15HIP_vector_typeIjLj3EEiiiSB_iiiSB_iiii
	.p2align	8
	.type	_ZL13mul_mat_vec_fI14__hip_bfloat16fLi8ELi192ELb0ELb0EEvPKT_PKfPKi31ggml_cuda_mm_fusion_args_devicePfi15HIP_vector_typeIjLj3EEiiiSB_iiiSB_iiii,@function
_ZL13mul_mat_vec_fI14__hip_bfloat16fLi8ELi192ELb0ELb0EEvPKT_PKfPKi31ggml_cuda_mm_fusion_args_devicePfi15HIP_vector_typeIjLj3EEiiiSB_iiiSB_iiii: ; @_ZL13mul_mat_vec_fI14__hip_bfloat16fLi8ELi192ELb0ELb0EEvPKT_PKfPKi31ggml_cuda_mm_fusion_args_devicePfi15HIP_vector_typeIjLj3EEiiiSB_iiiSB_iiii
; %bb.0:
	s_clause 0x2
	s_load_dwordx2 s[0:1], s[4:5], 0x10
	s_load_dwordx8 s[12:19], s[4:5], 0x40
	s_load_dwordx4 s[20:23], s[4:5], 0x80
	s_waitcnt lgkmcnt(0)
	s_cmp_eq_u64 s[0:1], 0
	s_cselect_b32 s10, -1, 0
	s_cmp_lg_u64 s[0:1], 0
	s_cselect_b32 s11, -1, 0
	s_and_b32 vcc_lo, exec_lo, s10
	s_cbranch_vccnz .LBB349_2
; %bb.1:
	s_mul_i32 s2, s23, s8
	s_mov_b32 s3, 0
	s_add_i32 s2, s2, s7
	s_lshl_b64 s[24:25], s[2:3], 2
	s_add_u32 s0, s0, s24
	s_addc_u32 s1, s1, s25
	s_load_dword s9, s[0:1], 0x0
	s_cbranch_execz .LBB349_3
	s_branch .LBB349_4
.LBB349_2:
                                        ; implicit-def: $sgpr9
.LBB349_3:
	s_load_dwordx2 s[0:1], s[4:5], 0x5c
	s_waitcnt lgkmcnt(0)
	s_mul_hi_u32 s0, s0, s7
	s_add_i32 s0, s7, s0
	s_lshr_b32 s9, s0, s1
.LBB349_4:
	s_load_dwordx4 s[24:27], s[4:5], 0x68
	s_andn2_b32 vcc_lo, exec_lo, s11
	s_mov_b32 s19, s7
	s_cbranch_vccnz .LBB349_6
; %bb.5:
	s_mul_hi_u32 s0, s13, s7
	s_add_i32 s0, s7, s0
	s_lshr_b32 s0, s0, s14
	s_mul_i32 s0, s0, s15
	s_sub_i32 s19, s7, s0
.LBB349_6:
	s_load_dword s15, s[4:5], 0x78
	v_cmp_gt_u32_e32 vcc_lo, 32, v0
	v_lshl_add_u32 v5, v0, 2, 0
	s_and_saveexec_b32 s0, vcc_lo
; %bb.7:
	v_mov_b32_e32 v1, 0
	ds_write_b32 v5, v1
; %bb.8:
	s_or_b32 exec_lo, exec_lo, s0
	v_mov_b32_e32 v6, 0
	v_mov_b32_e32 v7, 0
	v_mov_b32_e32 v8, 0
	v_mov_b32_e32 v9, 0
	v_mov_b32_e32 v10, 0
	v_mov_b32_e32 v11, 0
	v_mov_b32_e32 v14, 0
	v_mov_b32_e32 v12, 0
	s_and_b32 s0, exec_lo, s10
	s_mov_b32 s11, 0
	s_cselect_b32 s10, s8, 0
	s_mov_b32 s13, exec_lo
	s_waitcnt lgkmcnt(0)
	s_barrier
	buffer_gl0_inv
	v_cmpx_gt_i32_e64 s12, v0
	s_cbranch_execz .LBB349_12
; %bb.9:
	s_load_dwordx4 s[0:3], s[4:5], 0x0
	s_mul_hi_u32 s23, s27, s10
	s_mul_hi_i32 s29, s21, s10
	s_mul_i32 s28, s21, s10
	s_mul_i32 s8, s9, s24
	;; [unrolled: 1-line block ×4, first 2 shown]
	s_add_i32 s16, s10, s23
	s_lshl_b64 s[28:29], s[28:29], 2
	s_ashr_i32 s9, s8, 31
	s_ashr_i32 s25, s24, 31
	;; [unrolled: 1-line block ×3, first 2 shown]
	s_lshr_b32 s15, s16, s15
	s_mov_b32 s34, s17
	s_mul_hi_i32 s37, s15, s20
	s_mul_i32 s36, s15, s20
	v_lshlrev_b32_e32 v2, 3, v0
	v_lshlrev_b32_e32 v1, 2, v0
	v_mov_b32_e32 v12, 0
	v_mov_b32_e32 v13, v0
	s_waitcnt lgkmcnt(0)
	s_add_u32 s16, s2, s28
	s_addc_u32 s19, s3, s29
	s_lshl_b64 s[30:31], s[30:31], 2
	v_mov_b32_e32 v14, 0
	s_add_u32 s15, s16, s30
	s_addc_u32 s16, s19, s31
	s_lshl_b64 s[8:9], s[8:9], 1
	s_ashr_i32 s35, s17, 31
	s_add_i32 s19, s17, s17
	s_lshl_b32 s20, s17, 2
	s_lshl_b64 s[36:37], s[36:37], 1
	s_lshl_b64 s[24:25], s[24:25], 1
	s_add_u32 s0, s0, s8
	s_addc_u32 s1, s1, s9
	s_add_u32 s0, s0, s24
	s_addc_u32 s1, s1, s25
	;; [unrolled: 2-line block ×3, first 2 shown]
	s_lshl_b64 s[8:9], s[34:35], 3
	s_add_u32 s2, s2, s30
	s_addc_u32 s3, s3, s31
	s_add_u32 s2, s2, s28
	s_addc_u32 s3, s3, s29
	v_add_co_u32 v3, s2, s2, v2
	v_add_co_ci_u32_e64 v4, null, s3, 0, s2
	v_add_co_u32 v1, s0, s0, v1
	v_add_co_ci_u32_e64 v2, null, s1, 0, s0
	;; [unrolled: 2-line block ×3, first 2 shown]
	v_mov_b32_e32 v11, 0
	v_mov_b32_e32 v10, 0
	;; [unrolled: 1-line block ×6, first 2 shown]
	s_mul_i32 s14, s17, 3
	s_mul_i32 s1, s17, 5
	;; [unrolled: 1-line block ×4, first 2 shown]
.LBB349_10:                             ; =>This Inner Loop Header: Depth=1
	v_add_nc_u32_e32 v19, s19, v13
	v_add_nc_u32_e32 v21, s14, v13
	;; [unrolled: 1-line block ×5, first 2 shown]
	v_ashrrev_i32_e32 v20, 31, v19
	v_ashrrev_i32_e32 v22, 31, v21
	;; [unrolled: 1-line block ×3, first 2 shown]
	v_add_nc_u32_e32 v29, s3, v13
	v_ashrrev_i32_e32 v26, 31, v25
	v_lshlrev_b64 v[19:20], 3, v[19:20]
	v_lshlrev_b64 v[21:22], 3, v[21:22]
	v_ashrrev_i32_e32 v28, 31, v27
	v_add_co_u32 v17, s0, v3, s8
	v_lshlrev_b64 v[23:24], 3, v[23:24]
	v_ashrrev_i32_e32 v30, 31, v29
	v_add_co_ci_u32_e64 v18, null, s9, v4, s0
	v_lshlrev_b64 v[25:26], 3, v[25:26]
	v_add_co_u32 v19, s0, s15, v19
	v_lshlrev_b64 v[27:28], 3, v[27:28]
	v_add_co_ci_u32_e64 v20, null, s16, v20, s0
	v_add_co_u32 v21, s0, s15, v21
	v_lshlrev_b64 v[29:30], 3, v[29:30]
	v_add_co_ci_u32_e64 v22, null, s16, v22, s0
	v_add_co_u32 v23, s0, s15, v23
	v_add_co_ci_u32_e64 v24, null, s16, v24, s0
	v_add_co_u32 v25, s0, s15, v25
	;; [unrolled: 2-line block ×3, first 2 shown]
	global_load_dword v31, v[1:2], off
	global_load_dwordx2 v[15:16], v[3:4], off offset:-4
	v_add_co_ci_u32_e64 v28, null, s16, v28, s0
	v_add_co_u32 v29, s0, s15, v29
	v_add_co_ci_u32_e64 v30, null, s16, v30, s0
	global_load_dwordx2 v[17:18], v[17:18], off offset:-4
	s_clause 0x5
	global_load_dwordx2 v[19:20], v[19:20], off
	global_load_dwordx2 v[21:22], v[21:22], off
	;; [unrolled: 1-line block ×6, first 2 shown]
	v_add_nc_u32_e32 v13, 0xc0, v13
	v_add_co_u32 v1, s0, 0x300, v1
	v_add_co_ci_u32_e64 v2, null, 0, v2, s0
	v_add_co_u32 v3, s0, 0x600, v3
	v_add_co_ci_u32_e64 v4, null, 0, v4, s0
	v_cmp_le_i32_e64 s0, s12, v13
	s_or_b32 s11, s0, s11
	s_waitcnt vmcnt(8)
	v_lshlrev_b32_e32 v32, 16, v31
	v_and_b32_e32 v31, 0xffff0000, v31
	s_waitcnt vmcnt(7)
	v_fmac_f32_e32 v12, v15, v32
	s_waitcnt vmcnt(5)
	v_fmac_f32_e32 v11, v19, v32
	;; [unrolled: 2-line block ×3, first 2 shown]
	v_fmac_f32_e32 v14, v17, v32
	s_waitcnt vmcnt(3)
	v_fmac_f32_e32 v9, v23, v32
	s_waitcnt vmcnt(2)
	;; [unrolled: 2-line block ×4, first 2 shown]
	v_fmac_f32_e32 v6, v29, v32
	v_fmac_f32_e32 v12, v16, v31
	;; [unrolled: 1-line block ×9, first 2 shown]
	s_andn2_b32 exec_lo, exec_lo, s11
	s_cbranch_execnz .LBB349_10
; %bb.11:
	s_or_b32 exec_lo, exec_lo, s11
.LBB349_12:
	s_or_b32 exec_lo, exec_lo, s13
	v_mbcnt_lo_u32_b32 v2, -1, 0
	v_xor_b32_e32 v1, 16, v2
	v_xor_b32_e32 v3, 8, v2
	v_cmp_gt_i32_e64 s0, 32, v1
	v_cndmask_b32_e64 v1, v2, v1, s0
	v_cmp_gt_i32_e64 s0, 32, v3
	v_lshlrev_b32_e32 v1, 2, v1
	v_cndmask_b32_e64 v3, v2, v3, s0
	ds_bpermute_b32 v4, v1, v12
	v_lshlrev_b32_e32 v3, 2, v3
	s_waitcnt lgkmcnt(0)
	v_add_f32_e32 v12, v12, v4
	v_xor_b32_e32 v4, 4, v2
	ds_bpermute_b32 v13, v3, v12
	v_cmp_gt_i32_e64 s0, 32, v4
	v_cndmask_b32_e64 v4, v2, v4, s0
	v_lshlrev_b32_e32 v4, 2, v4
	s_waitcnt lgkmcnt(0)
	v_add_f32_e32 v13, v12, v13
	v_xor_b32_e32 v12, 2, v2
	ds_bpermute_b32 v15, v4, v13
	v_cmp_gt_i32_e64 s0, 32, v12
	v_cndmask_b32_e64 v12, v2, v12, s0
	;; [unrolled: 7-line block ×3, first 2 shown]
	v_lshlrev_b32_e32 v13, 2, v2
	s_waitcnt lgkmcnt(0)
	v_add_f32_e32 v2, v15, v16
	v_lshrrev_b32_e32 v15, 3, v0
	ds_bpermute_b32 v16, v13, v2
	v_and_b32_e32 v15, 0x7c, v15
	v_add_nc_u32_e32 v15, 0, v15
	s_waitcnt lgkmcnt(0)
	v_add_f32_e32 v2, v2, v16
	ds_write_b32 v15, v2
	s_waitcnt lgkmcnt(0)
	s_barrier
	buffer_gl0_inv
	s_and_saveexec_b32 s0, vcc_lo
	s_cbranch_execz .LBB349_14
; %bb.13:
	ds_read_b32 v2, v5
	s_waitcnt lgkmcnt(0)
	ds_bpermute_b32 v16, v1, v2
	s_waitcnt lgkmcnt(0)
	v_add_f32_e32 v2, v2, v16
	ds_bpermute_b32 v16, v3, v2
	s_waitcnt lgkmcnt(0)
	v_add_f32_e32 v2, v2, v16
	ds_bpermute_b32 v16, v4, v2
	s_waitcnt lgkmcnt(0)
	v_add_f32_e32 v2, v2, v16
	ds_bpermute_b32 v16, v12, v2
	s_waitcnt lgkmcnt(0)
	v_add_f32_e32 v2, v2, v16
	ds_bpermute_b32 v16, v13, v2
	s_waitcnt lgkmcnt(0)
	v_add_f32_e32 v2, v2, v16
.LBB349_14:
	s_or_b32 exec_lo, exec_lo, s0
	ds_bpermute_b32 v16, v1, v14
	s_waitcnt lgkmcnt(0)
	s_barrier
	buffer_gl0_inv
	v_add_f32_e32 v14, v14, v16
	ds_bpermute_b32 v16, v3, v14
	s_waitcnt lgkmcnt(0)
	v_add_f32_e32 v14, v14, v16
	ds_bpermute_b32 v16, v4, v14
	s_waitcnt lgkmcnt(0)
	v_add_f32_e32 v14, v14, v16
	ds_bpermute_b32 v16, v12, v14
	s_waitcnt lgkmcnt(0)
	v_add_f32_e32 v14, v14, v16
	ds_bpermute_b32 v16, v13, v14
	s_waitcnt lgkmcnt(0)
	v_add_f32_e32 v14, v14, v16
	ds_write_b32 v15, v14
	s_waitcnt lgkmcnt(0)
	s_barrier
	buffer_gl0_inv
	s_and_saveexec_b32 s0, vcc_lo
	s_cbranch_execz .LBB349_16
; %bb.15:
	ds_read_b32 v14, v5
	s_waitcnt lgkmcnt(0)
	ds_bpermute_b32 v16, v1, v14
	s_waitcnt lgkmcnt(0)
	v_add_f32_e32 v14, v14, v16
	ds_bpermute_b32 v16, v3, v14
	s_waitcnt lgkmcnt(0)
	v_add_f32_e32 v14, v14, v16
	ds_bpermute_b32 v16, v4, v14
	s_waitcnt lgkmcnt(0)
	v_add_f32_e32 v14, v14, v16
	ds_bpermute_b32 v16, v12, v14
	s_waitcnt lgkmcnt(0)
	v_add_f32_e32 v14, v14, v16
	ds_bpermute_b32 v16, v13, v14
	s_waitcnt lgkmcnt(0)
	v_add_f32_e32 v14, v14, v16
.LBB349_16:
	s_or_b32 exec_lo, exec_lo, s0
	ds_bpermute_b32 v16, v1, v11
	s_waitcnt lgkmcnt(0)
	s_barrier
	buffer_gl0_inv
	v_add_f32_e32 v11, v11, v16
	ds_bpermute_b32 v16, v3, v11
	s_waitcnt lgkmcnt(0)
	v_add_f32_e32 v11, v11, v16
	ds_bpermute_b32 v16, v4, v11
	s_waitcnt lgkmcnt(0)
	v_add_f32_e32 v11, v11, v16
	ds_bpermute_b32 v16, v12, v11
	s_waitcnt lgkmcnt(0)
	v_add_f32_e32 v11, v11, v16
	ds_bpermute_b32 v16, v13, v11
	;; [unrolled: 43-line block ×7, first 2 shown]
	s_waitcnt lgkmcnt(0)
	v_add_f32_e32 v6, v6, v16
	ds_write_b32 v15, v6
	s_waitcnt lgkmcnt(0)
	s_barrier
	buffer_gl0_inv
	s_and_saveexec_b32 s0, vcc_lo
	s_cbranch_execz .LBB349_28
; %bb.27:
	ds_read_b32 v5, v5
	s_waitcnt lgkmcnt(0)
	ds_bpermute_b32 v1, v1, v5
	s_waitcnt lgkmcnt(0)
	v_add_f32_e32 v1, v5, v1
	ds_bpermute_b32 v3, v3, v1
	s_waitcnt lgkmcnt(0)
	v_add_f32_e32 v1, v1, v3
	;; [unrolled: 3-line block ×5, first 2 shown]
.LBB349_28:
	s_or_b32 exec_lo, exec_lo, s0
	s_barrier
	buffer_gl0_inv
	s_mov_b32 s0, exec_lo
	v_cmpx_gt_u32_e32 8, v0
	s_cbranch_execz .LBB349_30
; %bb.29:
	v_cmp_eq_u32_e32 vcc_lo, 1, v0
	s_load_dwordx2 s[0:1], s[4:5], 0x38
	s_mul_hi_i32 s3, s22, s10
	s_mul_i32 s2, s22, s10
	s_mul_i32 s4, s26, s7
	v_cndmask_b32_e32 v1, v2, v14, vcc_lo
	v_cmp_eq_u32_e32 vcc_lo, 2, v0
	s_lshl_b64 s[2:3], s[2:3], 2
	s_ashr_i32 s5, s4, 31
	v_cndmask_b32_e32 v3, v1, v11, vcc_lo
	v_cmp_eq_u32_e32 vcc_lo, 3, v0
	v_mad_u64_u32 v[1:2], null, s18, v0, s[6:7]
	v_cndmask_b32_e32 v2, v3, v10, vcc_lo
	v_cmp_eq_u32_e32 vcc_lo, 4, v0
	s_waitcnt lgkmcnt(0)
	s_add_u32 s2, s0, s2
	s_addc_u32 s3, s1, s3
	v_cndmask_b32_e32 v3, v2, v9, vcc_lo
	v_cmp_eq_u32_e32 vcc_lo, 5, v0
	v_ashrrev_i32_e32 v2, 31, v1
	s_lshl_b64 s[0:1], s[4:5], 2
	s_add_u32 s0, s2, s0
	v_cndmask_b32_e32 v3, v3, v8, vcc_lo
	v_cmp_eq_u32_e32 vcc_lo, 6, v0
	v_lshlrev_b64 v[1:2], 2, v[1:2]
	s_addc_u32 s1, s3, s1
	v_cndmask_b32_e32 v3, v3, v7, vcc_lo
	v_cmp_eq_u32_e32 vcc_lo, 7, v0
	v_cndmask_b32_e32 v3, v3, v6, vcc_lo
	v_add_co_u32 v0, vcc_lo, s0, v1
	v_add_co_ci_u32_e64 v1, null, s1, v2, vcc_lo
	global_store_dword v[0:1], v3, off
.LBB349_30:
	s_endpgm
	.section	.rodata,"a",@progbits
	.p2align	6, 0x0
	.amdhsa_kernel _ZL13mul_mat_vec_fI14__hip_bfloat16fLi8ELi192ELb0ELb0EEvPKT_PKfPKi31ggml_cuda_mm_fusion_args_devicePfi15HIP_vector_typeIjLj3EEiiiSB_iiiSB_iiii
		.amdhsa_group_segment_fixed_size 0
		.amdhsa_private_segment_fixed_size 0
		.amdhsa_kernarg_size 144
		.amdhsa_user_sgpr_count 6
		.amdhsa_user_sgpr_private_segment_buffer 1
		.amdhsa_user_sgpr_dispatch_ptr 0
		.amdhsa_user_sgpr_queue_ptr 0
		.amdhsa_user_sgpr_kernarg_segment_ptr 1
		.amdhsa_user_sgpr_dispatch_id 0
		.amdhsa_user_sgpr_flat_scratch_init 0
		.amdhsa_user_sgpr_private_segment_size 0
		.amdhsa_wavefront_size32 1
		.amdhsa_uses_dynamic_stack 0
		.amdhsa_system_sgpr_private_segment_wavefront_offset 0
		.amdhsa_system_sgpr_workgroup_id_x 1
		.amdhsa_system_sgpr_workgroup_id_y 1
		.amdhsa_system_sgpr_workgroup_id_z 1
		.amdhsa_system_sgpr_workgroup_info 0
		.amdhsa_system_vgpr_workitem_id 0
		.amdhsa_next_free_vgpr 33
		.amdhsa_next_free_sgpr 38
		.amdhsa_reserve_vcc 1
		.amdhsa_reserve_flat_scratch 0
		.amdhsa_float_round_mode_32 0
		.amdhsa_float_round_mode_16_64 0
		.amdhsa_float_denorm_mode_32 3
		.amdhsa_float_denorm_mode_16_64 3
		.amdhsa_dx10_clamp 1
		.amdhsa_ieee_mode 1
		.amdhsa_fp16_overflow 0
		.amdhsa_workgroup_processor_mode 1
		.amdhsa_memory_ordered 1
		.amdhsa_forward_progress 1
		.amdhsa_shared_vgpr_count 0
		.amdhsa_exception_fp_ieee_invalid_op 0
		.amdhsa_exception_fp_denorm_src 0
		.amdhsa_exception_fp_ieee_div_zero 0
		.amdhsa_exception_fp_ieee_overflow 0
		.amdhsa_exception_fp_ieee_underflow 0
		.amdhsa_exception_fp_ieee_inexact 0
		.amdhsa_exception_int_div_zero 0
	.end_amdhsa_kernel
	.section	.text._ZL13mul_mat_vec_fI14__hip_bfloat16fLi8ELi192ELb0ELb0EEvPKT_PKfPKi31ggml_cuda_mm_fusion_args_devicePfi15HIP_vector_typeIjLj3EEiiiSB_iiiSB_iiii,"axG",@progbits,_ZL13mul_mat_vec_fI14__hip_bfloat16fLi8ELi192ELb0ELb0EEvPKT_PKfPKi31ggml_cuda_mm_fusion_args_devicePfi15HIP_vector_typeIjLj3EEiiiSB_iiiSB_iiii,comdat
.Lfunc_end349:
	.size	_ZL13mul_mat_vec_fI14__hip_bfloat16fLi8ELi192ELb0ELb0EEvPKT_PKfPKi31ggml_cuda_mm_fusion_args_devicePfi15HIP_vector_typeIjLj3EEiiiSB_iiiSB_iiii, .Lfunc_end349-_ZL13mul_mat_vec_fI14__hip_bfloat16fLi8ELi192ELb0ELb0EEvPKT_PKfPKi31ggml_cuda_mm_fusion_args_devicePfi15HIP_vector_typeIjLj3EEiiiSB_iiiSB_iiii
                                        ; -- End function
	.set _ZL13mul_mat_vec_fI14__hip_bfloat16fLi8ELi192ELb0ELb0EEvPKT_PKfPKi31ggml_cuda_mm_fusion_args_devicePfi15HIP_vector_typeIjLj3EEiiiSB_iiiSB_iiii.num_vgpr, 33
	.set _ZL13mul_mat_vec_fI14__hip_bfloat16fLi8ELi192ELb0ELb0EEvPKT_PKfPKi31ggml_cuda_mm_fusion_args_devicePfi15HIP_vector_typeIjLj3EEiiiSB_iiiSB_iiii.num_agpr, 0
	.set _ZL13mul_mat_vec_fI14__hip_bfloat16fLi8ELi192ELb0ELb0EEvPKT_PKfPKi31ggml_cuda_mm_fusion_args_devicePfi15HIP_vector_typeIjLj3EEiiiSB_iiiSB_iiii.numbered_sgpr, 38
	.set _ZL13mul_mat_vec_fI14__hip_bfloat16fLi8ELi192ELb0ELb0EEvPKT_PKfPKi31ggml_cuda_mm_fusion_args_devicePfi15HIP_vector_typeIjLj3EEiiiSB_iiiSB_iiii.num_named_barrier, 0
	.set _ZL13mul_mat_vec_fI14__hip_bfloat16fLi8ELi192ELb0ELb0EEvPKT_PKfPKi31ggml_cuda_mm_fusion_args_devicePfi15HIP_vector_typeIjLj3EEiiiSB_iiiSB_iiii.private_seg_size, 0
	.set _ZL13mul_mat_vec_fI14__hip_bfloat16fLi8ELi192ELb0ELb0EEvPKT_PKfPKi31ggml_cuda_mm_fusion_args_devicePfi15HIP_vector_typeIjLj3EEiiiSB_iiiSB_iiii.uses_vcc, 1
	.set _ZL13mul_mat_vec_fI14__hip_bfloat16fLi8ELi192ELb0ELb0EEvPKT_PKfPKi31ggml_cuda_mm_fusion_args_devicePfi15HIP_vector_typeIjLj3EEiiiSB_iiiSB_iiii.uses_flat_scratch, 0
	.set _ZL13mul_mat_vec_fI14__hip_bfloat16fLi8ELi192ELb0ELb0EEvPKT_PKfPKi31ggml_cuda_mm_fusion_args_devicePfi15HIP_vector_typeIjLj3EEiiiSB_iiiSB_iiii.has_dyn_sized_stack, 0
	.set _ZL13mul_mat_vec_fI14__hip_bfloat16fLi8ELi192ELb0ELb0EEvPKT_PKfPKi31ggml_cuda_mm_fusion_args_devicePfi15HIP_vector_typeIjLj3EEiiiSB_iiiSB_iiii.has_recursion, 0
	.set _ZL13mul_mat_vec_fI14__hip_bfloat16fLi8ELi192ELb0ELb0EEvPKT_PKfPKi31ggml_cuda_mm_fusion_args_devicePfi15HIP_vector_typeIjLj3EEiiiSB_iiiSB_iiii.has_indirect_call, 0
	.section	.AMDGPU.csdata,"",@progbits
; Kernel info:
; codeLenInByte = 3084
; TotalNumSgprs: 40
; NumVgprs: 33
; ScratchSize: 0
; MemoryBound: 0
; FloatMode: 240
; IeeeMode: 1
; LDSByteSize: 0 bytes/workgroup (compile time only)
; SGPRBlocks: 0
; VGPRBlocks: 4
; NumSGPRsForWavesPerEU: 40
; NumVGPRsForWavesPerEU: 33
; Occupancy: 16
; WaveLimiterHint : 0
; COMPUTE_PGM_RSRC2:SCRATCH_EN: 0
; COMPUTE_PGM_RSRC2:USER_SGPR: 6
; COMPUTE_PGM_RSRC2:TRAP_HANDLER: 0
; COMPUTE_PGM_RSRC2:TGID_X_EN: 1
; COMPUTE_PGM_RSRC2:TGID_Y_EN: 1
; COMPUTE_PGM_RSRC2:TGID_Z_EN: 1
; COMPUTE_PGM_RSRC2:TIDIG_COMP_CNT: 0
	.section	.text._ZL13mul_mat_vec_fI14__hip_bfloat16fLi8ELi224ELb0ELb0EEvPKT_PKfPKi31ggml_cuda_mm_fusion_args_devicePfi15HIP_vector_typeIjLj3EEiiiSB_iiiSB_iiii,"axG",@progbits,_ZL13mul_mat_vec_fI14__hip_bfloat16fLi8ELi224ELb0ELb0EEvPKT_PKfPKi31ggml_cuda_mm_fusion_args_devicePfi15HIP_vector_typeIjLj3EEiiiSB_iiiSB_iiii,comdat
	.globl	_ZL13mul_mat_vec_fI14__hip_bfloat16fLi8ELi224ELb0ELb0EEvPKT_PKfPKi31ggml_cuda_mm_fusion_args_devicePfi15HIP_vector_typeIjLj3EEiiiSB_iiiSB_iiii ; -- Begin function _ZL13mul_mat_vec_fI14__hip_bfloat16fLi8ELi224ELb0ELb0EEvPKT_PKfPKi31ggml_cuda_mm_fusion_args_devicePfi15HIP_vector_typeIjLj3EEiiiSB_iiiSB_iiii
	.p2align	8
	.type	_ZL13mul_mat_vec_fI14__hip_bfloat16fLi8ELi224ELb0ELb0EEvPKT_PKfPKi31ggml_cuda_mm_fusion_args_devicePfi15HIP_vector_typeIjLj3EEiiiSB_iiiSB_iiii,@function
_ZL13mul_mat_vec_fI14__hip_bfloat16fLi8ELi224ELb0ELb0EEvPKT_PKfPKi31ggml_cuda_mm_fusion_args_devicePfi15HIP_vector_typeIjLj3EEiiiSB_iiiSB_iiii: ; @_ZL13mul_mat_vec_fI14__hip_bfloat16fLi8ELi224ELb0ELb0EEvPKT_PKfPKi31ggml_cuda_mm_fusion_args_devicePfi15HIP_vector_typeIjLj3EEiiiSB_iiiSB_iiii
; %bb.0:
	s_clause 0x2
	s_load_dwordx2 s[0:1], s[4:5], 0x10
	s_load_dwordx8 s[12:19], s[4:5], 0x40
	s_load_dwordx4 s[20:23], s[4:5], 0x80
	s_waitcnt lgkmcnt(0)
	s_cmp_eq_u64 s[0:1], 0
	s_cselect_b32 s10, -1, 0
	s_cmp_lg_u64 s[0:1], 0
	s_cselect_b32 s11, -1, 0
	s_and_b32 vcc_lo, exec_lo, s10
	s_cbranch_vccnz .LBB350_2
; %bb.1:
	s_mul_i32 s2, s23, s8
	s_mov_b32 s3, 0
	s_add_i32 s2, s2, s7
	s_lshl_b64 s[24:25], s[2:3], 2
	s_add_u32 s0, s0, s24
	s_addc_u32 s1, s1, s25
	s_load_dword s9, s[0:1], 0x0
	s_cbranch_execz .LBB350_3
	s_branch .LBB350_4
.LBB350_2:
                                        ; implicit-def: $sgpr9
.LBB350_3:
	s_load_dwordx2 s[0:1], s[4:5], 0x5c
	s_waitcnt lgkmcnt(0)
	s_mul_hi_u32 s0, s0, s7
	s_add_i32 s0, s7, s0
	s_lshr_b32 s9, s0, s1
.LBB350_4:
	s_load_dwordx4 s[24:27], s[4:5], 0x68
	s_andn2_b32 vcc_lo, exec_lo, s11
	s_mov_b32 s19, s7
	s_cbranch_vccnz .LBB350_6
; %bb.5:
	s_mul_hi_u32 s0, s13, s7
	s_add_i32 s0, s7, s0
	s_lshr_b32 s0, s0, s14
	s_mul_i32 s0, s0, s15
	s_sub_i32 s19, s7, s0
.LBB350_6:
	s_load_dword s15, s[4:5], 0x78
	v_cmp_gt_u32_e32 vcc_lo, 32, v0
	v_lshl_add_u32 v5, v0, 2, 0
	s_and_saveexec_b32 s0, vcc_lo
; %bb.7:
	v_mov_b32_e32 v1, 0
	ds_write_b32 v5, v1
; %bb.8:
	s_or_b32 exec_lo, exec_lo, s0
	v_mov_b32_e32 v6, 0
	v_mov_b32_e32 v7, 0
	;; [unrolled: 1-line block ×8, first 2 shown]
	s_and_b32 s0, exec_lo, s10
	s_mov_b32 s11, 0
	s_cselect_b32 s10, s8, 0
	s_mov_b32 s13, exec_lo
	s_waitcnt lgkmcnt(0)
	s_barrier
	buffer_gl0_inv
	v_cmpx_gt_i32_e64 s12, v0
	s_cbranch_execz .LBB350_12
; %bb.9:
	s_load_dwordx4 s[0:3], s[4:5], 0x0
	s_mul_hi_u32 s23, s27, s10
	s_mul_hi_i32 s29, s21, s10
	s_mul_i32 s28, s21, s10
	s_mul_i32 s8, s9, s24
	;; [unrolled: 1-line block ×4, first 2 shown]
	s_add_i32 s16, s10, s23
	s_lshl_b64 s[28:29], s[28:29], 2
	s_ashr_i32 s9, s8, 31
	s_ashr_i32 s25, s24, 31
	;; [unrolled: 1-line block ×3, first 2 shown]
	s_lshr_b32 s15, s16, s15
	s_mov_b32 s34, s17
	s_mul_hi_i32 s37, s15, s20
	s_mul_i32 s36, s15, s20
	v_lshlrev_b32_e32 v2, 3, v0
	v_lshlrev_b32_e32 v1, 2, v0
	v_mov_b32_e32 v12, 0
	v_mov_b32_e32 v13, v0
	s_waitcnt lgkmcnt(0)
	s_add_u32 s16, s2, s28
	s_addc_u32 s19, s3, s29
	s_lshl_b64 s[30:31], s[30:31], 2
	v_mov_b32_e32 v14, 0
	s_add_u32 s15, s16, s30
	s_addc_u32 s16, s19, s31
	s_lshl_b64 s[8:9], s[8:9], 1
	s_ashr_i32 s35, s17, 31
	s_add_i32 s19, s17, s17
	s_lshl_b32 s20, s17, 2
	s_lshl_b64 s[36:37], s[36:37], 1
	s_lshl_b64 s[24:25], s[24:25], 1
	s_add_u32 s0, s0, s8
	s_addc_u32 s1, s1, s9
	s_add_u32 s0, s0, s24
	s_addc_u32 s1, s1, s25
	;; [unrolled: 2-line block ×3, first 2 shown]
	s_lshl_b64 s[8:9], s[34:35], 3
	s_add_u32 s2, s2, s30
	s_addc_u32 s3, s3, s31
	s_add_u32 s2, s2, s28
	s_addc_u32 s3, s3, s29
	v_add_co_u32 v3, s2, s2, v2
	v_add_co_ci_u32_e64 v4, null, s3, 0, s2
	v_add_co_u32 v1, s0, s0, v1
	v_add_co_ci_u32_e64 v2, null, s1, 0, s0
	;; [unrolled: 2-line block ×3, first 2 shown]
	v_mov_b32_e32 v11, 0
	v_mov_b32_e32 v10, 0
	;; [unrolled: 1-line block ×6, first 2 shown]
	s_mul_i32 s14, s17, 3
	s_mul_i32 s1, s17, 5
	;; [unrolled: 1-line block ×4, first 2 shown]
.LBB350_10:                             ; =>This Inner Loop Header: Depth=1
	v_add_nc_u32_e32 v19, s19, v13
	v_add_nc_u32_e32 v21, s14, v13
	;; [unrolled: 1-line block ×5, first 2 shown]
	v_ashrrev_i32_e32 v20, 31, v19
	v_ashrrev_i32_e32 v22, 31, v21
	;; [unrolled: 1-line block ×3, first 2 shown]
	v_add_nc_u32_e32 v29, s3, v13
	v_ashrrev_i32_e32 v26, 31, v25
	v_lshlrev_b64 v[19:20], 3, v[19:20]
	v_lshlrev_b64 v[21:22], 3, v[21:22]
	v_ashrrev_i32_e32 v28, 31, v27
	v_add_co_u32 v17, s0, v3, s8
	v_lshlrev_b64 v[23:24], 3, v[23:24]
	v_ashrrev_i32_e32 v30, 31, v29
	v_add_co_ci_u32_e64 v18, null, s9, v4, s0
	v_lshlrev_b64 v[25:26], 3, v[25:26]
	v_add_co_u32 v19, s0, s15, v19
	v_lshlrev_b64 v[27:28], 3, v[27:28]
	v_add_co_ci_u32_e64 v20, null, s16, v20, s0
	v_add_co_u32 v21, s0, s15, v21
	v_lshlrev_b64 v[29:30], 3, v[29:30]
	v_add_co_ci_u32_e64 v22, null, s16, v22, s0
	v_add_co_u32 v23, s0, s15, v23
	v_add_co_ci_u32_e64 v24, null, s16, v24, s0
	v_add_co_u32 v25, s0, s15, v25
	;; [unrolled: 2-line block ×3, first 2 shown]
	global_load_dword v31, v[1:2], off
	global_load_dwordx2 v[15:16], v[3:4], off offset:-4
	v_add_co_ci_u32_e64 v28, null, s16, v28, s0
	v_add_co_u32 v29, s0, s15, v29
	v_add_co_ci_u32_e64 v30, null, s16, v30, s0
	global_load_dwordx2 v[17:18], v[17:18], off offset:-4
	s_clause 0x5
	global_load_dwordx2 v[19:20], v[19:20], off
	global_load_dwordx2 v[21:22], v[21:22], off
	;; [unrolled: 1-line block ×6, first 2 shown]
	v_add_nc_u32_e32 v13, 0xe0, v13
	v_add_co_u32 v1, s0, 0x380, v1
	v_add_co_ci_u32_e64 v2, null, 0, v2, s0
	v_add_co_u32 v3, s0, 0x700, v3
	v_add_co_ci_u32_e64 v4, null, 0, v4, s0
	v_cmp_le_i32_e64 s0, s12, v13
	s_or_b32 s11, s0, s11
	s_waitcnt vmcnt(8)
	v_lshlrev_b32_e32 v32, 16, v31
	v_and_b32_e32 v31, 0xffff0000, v31
	s_waitcnt vmcnt(7)
	v_fmac_f32_e32 v12, v15, v32
	s_waitcnt vmcnt(5)
	v_fmac_f32_e32 v11, v19, v32
	;; [unrolled: 2-line block ×3, first 2 shown]
	v_fmac_f32_e32 v14, v17, v32
	s_waitcnt vmcnt(3)
	v_fmac_f32_e32 v9, v23, v32
	s_waitcnt vmcnt(2)
	;; [unrolled: 2-line block ×4, first 2 shown]
	v_fmac_f32_e32 v6, v29, v32
	v_fmac_f32_e32 v12, v16, v31
	;; [unrolled: 1-line block ×9, first 2 shown]
	s_andn2_b32 exec_lo, exec_lo, s11
	s_cbranch_execnz .LBB350_10
; %bb.11:
	s_or_b32 exec_lo, exec_lo, s11
.LBB350_12:
	s_or_b32 exec_lo, exec_lo, s13
	v_mbcnt_lo_u32_b32 v2, -1, 0
	v_xor_b32_e32 v1, 16, v2
	v_xor_b32_e32 v3, 8, v2
	v_cmp_gt_i32_e64 s0, 32, v1
	v_cndmask_b32_e64 v1, v2, v1, s0
	v_cmp_gt_i32_e64 s0, 32, v3
	v_lshlrev_b32_e32 v1, 2, v1
	v_cndmask_b32_e64 v3, v2, v3, s0
	ds_bpermute_b32 v4, v1, v12
	v_lshlrev_b32_e32 v3, 2, v3
	s_waitcnt lgkmcnt(0)
	v_add_f32_e32 v12, v12, v4
	v_xor_b32_e32 v4, 4, v2
	ds_bpermute_b32 v13, v3, v12
	v_cmp_gt_i32_e64 s0, 32, v4
	v_cndmask_b32_e64 v4, v2, v4, s0
	v_lshlrev_b32_e32 v4, 2, v4
	s_waitcnt lgkmcnt(0)
	v_add_f32_e32 v13, v12, v13
	v_xor_b32_e32 v12, 2, v2
	ds_bpermute_b32 v15, v4, v13
	v_cmp_gt_i32_e64 s0, 32, v12
	v_cndmask_b32_e64 v12, v2, v12, s0
	;; [unrolled: 7-line block ×3, first 2 shown]
	v_lshlrev_b32_e32 v13, 2, v2
	s_waitcnt lgkmcnt(0)
	v_add_f32_e32 v2, v15, v16
	v_lshrrev_b32_e32 v15, 3, v0
	ds_bpermute_b32 v16, v13, v2
	v_and_b32_e32 v15, 0x7c, v15
	v_add_nc_u32_e32 v15, 0, v15
	s_waitcnt lgkmcnt(0)
	v_add_f32_e32 v2, v2, v16
	ds_write_b32 v15, v2
	s_waitcnt lgkmcnt(0)
	s_barrier
	buffer_gl0_inv
	s_and_saveexec_b32 s0, vcc_lo
	s_cbranch_execz .LBB350_14
; %bb.13:
	ds_read_b32 v2, v5
	s_waitcnt lgkmcnt(0)
	ds_bpermute_b32 v16, v1, v2
	s_waitcnt lgkmcnt(0)
	v_add_f32_e32 v2, v2, v16
	ds_bpermute_b32 v16, v3, v2
	s_waitcnt lgkmcnt(0)
	v_add_f32_e32 v2, v2, v16
	ds_bpermute_b32 v16, v4, v2
	s_waitcnt lgkmcnt(0)
	v_add_f32_e32 v2, v2, v16
	ds_bpermute_b32 v16, v12, v2
	s_waitcnt lgkmcnt(0)
	v_add_f32_e32 v2, v2, v16
	ds_bpermute_b32 v16, v13, v2
	s_waitcnt lgkmcnt(0)
	v_add_f32_e32 v2, v2, v16
.LBB350_14:
	s_or_b32 exec_lo, exec_lo, s0
	ds_bpermute_b32 v16, v1, v14
	s_waitcnt lgkmcnt(0)
	s_barrier
	buffer_gl0_inv
	v_add_f32_e32 v14, v14, v16
	ds_bpermute_b32 v16, v3, v14
	s_waitcnt lgkmcnt(0)
	v_add_f32_e32 v14, v14, v16
	ds_bpermute_b32 v16, v4, v14
	s_waitcnt lgkmcnt(0)
	v_add_f32_e32 v14, v14, v16
	ds_bpermute_b32 v16, v12, v14
	s_waitcnt lgkmcnt(0)
	v_add_f32_e32 v14, v14, v16
	ds_bpermute_b32 v16, v13, v14
	s_waitcnt lgkmcnt(0)
	v_add_f32_e32 v14, v14, v16
	ds_write_b32 v15, v14
	s_waitcnt lgkmcnt(0)
	s_barrier
	buffer_gl0_inv
	s_and_saveexec_b32 s0, vcc_lo
	s_cbranch_execz .LBB350_16
; %bb.15:
	ds_read_b32 v14, v5
	s_waitcnt lgkmcnt(0)
	ds_bpermute_b32 v16, v1, v14
	s_waitcnt lgkmcnt(0)
	v_add_f32_e32 v14, v14, v16
	ds_bpermute_b32 v16, v3, v14
	s_waitcnt lgkmcnt(0)
	v_add_f32_e32 v14, v14, v16
	ds_bpermute_b32 v16, v4, v14
	s_waitcnt lgkmcnt(0)
	v_add_f32_e32 v14, v14, v16
	ds_bpermute_b32 v16, v12, v14
	s_waitcnt lgkmcnt(0)
	v_add_f32_e32 v14, v14, v16
	ds_bpermute_b32 v16, v13, v14
	s_waitcnt lgkmcnt(0)
	v_add_f32_e32 v14, v14, v16
.LBB350_16:
	s_or_b32 exec_lo, exec_lo, s0
	ds_bpermute_b32 v16, v1, v11
	s_waitcnt lgkmcnt(0)
	s_barrier
	buffer_gl0_inv
	v_add_f32_e32 v11, v11, v16
	ds_bpermute_b32 v16, v3, v11
	s_waitcnt lgkmcnt(0)
	v_add_f32_e32 v11, v11, v16
	ds_bpermute_b32 v16, v4, v11
	s_waitcnt lgkmcnt(0)
	v_add_f32_e32 v11, v11, v16
	ds_bpermute_b32 v16, v12, v11
	s_waitcnt lgkmcnt(0)
	v_add_f32_e32 v11, v11, v16
	ds_bpermute_b32 v16, v13, v11
	;; [unrolled: 43-line block ×7, first 2 shown]
	s_waitcnt lgkmcnt(0)
	v_add_f32_e32 v6, v6, v16
	ds_write_b32 v15, v6
	s_waitcnt lgkmcnt(0)
	s_barrier
	buffer_gl0_inv
	s_and_saveexec_b32 s0, vcc_lo
	s_cbranch_execz .LBB350_28
; %bb.27:
	ds_read_b32 v5, v5
	s_waitcnt lgkmcnt(0)
	ds_bpermute_b32 v1, v1, v5
	s_waitcnt lgkmcnt(0)
	v_add_f32_e32 v1, v5, v1
	ds_bpermute_b32 v3, v3, v1
	s_waitcnt lgkmcnt(0)
	v_add_f32_e32 v1, v1, v3
	;; [unrolled: 3-line block ×5, first 2 shown]
.LBB350_28:
	s_or_b32 exec_lo, exec_lo, s0
	s_barrier
	buffer_gl0_inv
	s_mov_b32 s0, exec_lo
	v_cmpx_gt_u32_e32 8, v0
	s_cbranch_execz .LBB350_30
; %bb.29:
	v_cmp_eq_u32_e32 vcc_lo, 1, v0
	s_load_dwordx2 s[0:1], s[4:5], 0x38
	s_mul_hi_i32 s3, s22, s10
	s_mul_i32 s2, s22, s10
	s_mul_i32 s4, s26, s7
	v_cndmask_b32_e32 v1, v2, v14, vcc_lo
	v_cmp_eq_u32_e32 vcc_lo, 2, v0
	s_lshl_b64 s[2:3], s[2:3], 2
	s_ashr_i32 s5, s4, 31
	v_cndmask_b32_e32 v3, v1, v11, vcc_lo
	v_cmp_eq_u32_e32 vcc_lo, 3, v0
	v_mad_u64_u32 v[1:2], null, s18, v0, s[6:7]
	v_cndmask_b32_e32 v2, v3, v10, vcc_lo
	v_cmp_eq_u32_e32 vcc_lo, 4, v0
	s_waitcnt lgkmcnt(0)
	s_add_u32 s2, s0, s2
	s_addc_u32 s3, s1, s3
	v_cndmask_b32_e32 v3, v2, v9, vcc_lo
	v_cmp_eq_u32_e32 vcc_lo, 5, v0
	v_ashrrev_i32_e32 v2, 31, v1
	s_lshl_b64 s[0:1], s[4:5], 2
	s_add_u32 s0, s2, s0
	v_cndmask_b32_e32 v3, v3, v8, vcc_lo
	v_cmp_eq_u32_e32 vcc_lo, 6, v0
	v_lshlrev_b64 v[1:2], 2, v[1:2]
	s_addc_u32 s1, s3, s1
	v_cndmask_b32_e32 v3, v3, v7, vcc_lo
	v_cmp_eq_u32_e32 vcc_lo, 7, v0
	v_cndmask_b32_e32 v3, v3, v6, vcc_lo
	v_add_co_u32 v0, vcc_lo, s0, v1
	v_add_co_ci_u32_e64 v1, null, s1, v2, vcc_lo
	global_store_dword v[0:1], v3, off
.LBB350_30:
	s_endpgm
	.section	.rodata,"a",@progbits
	.p2align	6, 0x0
	.amdhsa_kernel _ZL13mul_mat_vec_fI14__hip_bfloat16fLi8ELi224ELb0ELb0EEvPKT_PKfPKi31ggml_cuda_mm_fusion_args_devicePfi15HIP_vector_typeIjLj3EEiiiSB_iiiSB_iiii
		.amdhsa_group_segment_fixed_size 0
		.amdhsa_private_segment_fixed_size 0
		.amdhsa_kernarg_size 144
		.amdhsa_user_sgpr_count 6
		.amdhsa_user_sgpr_private_segment_buffer 1
		.amdhsa_user_sgpr_dispatch_ptr 0
		.amdhsa_user_sgpr_queue_ptr 0
		.amdhsa_user_sgpr_kernarg_segment_ptr 1
		.amdhsa_user_sgpr_dispatch_id 0
		.amdhsa_user_sgpr_flat_scratch_init 0
		.amdhsa_user_sgpr_private_segment_size 0
		.amdhsa_wavefront_size32 1
		.amdhsa_uses_dynamic_stack 0
		.amdhsa_system_sgpr_private_segment_wavefront_offset 0
		.amdhsa_system_sgpr_workgroup_id_x 1
		.amdhsa_system_sgpr_workgroup_id_y 1
		.amdhsa_system_sgpr_workgroup_id_z 1
		.amdhsa_system_sgpr_workgroup_info 0
		.amdhsa_system_vgpr_workitem_id 0
		.amdhsa_next_free_vgpr 33
		.amdhsa_next_free_sgpr 38
		.amdhsa_reserve_vcc 1
		.amdhsa_reserve_flat_scratch 0
		.amdhsa_float_round_mode_32 0
		.amdhsa_float_round_mode_16_64 0
		.amdhsa_float_denorm_mode_32 3
		.amdhsa_float_denorm_mode_16_64 3
		.amdhsa_dx10_clamp 1
		.amdhsa_ieee_mode 1
		.amdhsa_fp16_overflow 0
		.amdhsa_workgroup_processor_mode 1
		.amdhsa_memory_ordered 1
		.amdhsa_forward_progress 1
		.amdhsa_shared_vgpr_count 0
		.amdhsa_exception_fp_ieee_invalid_op 0
		.amdhsa_exception_fp_denorm_src 0
		.amdhsa_exception_fp_ieee_div_zero 0
		.amdhsa_exception_fp_ieee_overflow 0
		.amdhsa_exception_fp_ieee_underflow 0
		.amdhsa_exception_fp_ieee_inexact 0
		.amdhsa_exception_int_div_zero 0
	.end_amdhsa_kernel
	.section	.text._ZL13mul_mat_vec_fI14__hip_bfloat16fLi8ELi224ELb0ELb0EEvPKT_PKfPKi31ggml_cuda_mm_fusion_args_devicePfi15HIP_vector_typeIjLj3EEiiiSB_iiiSB_iiii,"axG",@progbits,_ZL13mul_mat_vec_fI14__hip_bfloat16fLi8ELi224ELb0ELb0EEvPKT_PKfPKi31ggml_cuda_mm_fusion_args_devicePfi15HIP_vector_typeIjLj3EEiiiSB_iiiSB_iiii,comdat
.Lfunc_end350:
	.size	_ZL13mul_mat_vec_fI14__hip_bfloat16fLi8ELi224ELb0ELb0EEvPKT_PKfPKi31ggml_cuda_mm_fusion_args_devicePfi15HIP_vector_typeIjLj3EEiiiSB_iiiSB_iiii, .Lfunc_end350-_ZL13mul_mat_vec_fI14__hip_bfloat16fLi8ELi224ELb0ELb0EEvPKT_PKfPKi31ggml_cuda_mm_fusion_args_devicePfi15HIP_vector_typeIjLj3EEiiiSB_iiiSB_iiii
                                        ; -- End function
	.set _ZL13mul_mat_vec_fI14__hip_bfloat16fLi8ELi224ELb0ELb0EEvPKT_PKfPKi31ggml_cuda_mm_fusion_args_devicePfi15HIP_vector_typeIjLj3EEiiiSB_iiiSB_iiii.num_vgpr, 33
	.set _ZL13mul_mat_vec_fI14__hip_bfloat16fLi8ELi224ELb0ELb0EEvPKT_PKfPKi31ggml_cuda_mm_fusion_args_devicePfi15HIP_vector_typeIjLj3EEiiiSB_iiiSB_iiii.num_agpr, 0
	.set _ZL13mul_mat_vec_fI14__hip_bfloat16fLi8ELi224ELb0ELb0EEvPKT_PKfPKi31ggml_cuda_mm_fusion_args_devicePfi15HIP_vector_typeIjLj3EEiiiSB_iiiSB_iiii.numbered_sgpr, 38
	.set _ZL13mul_mat_vec_fI14__hip_bfloat16fLi8ELi224ELb0ELb0EEvPKT_PKfPKi31ggml_cuda_mm_fusion_args_devicePfi15HIP_vector_typeIjLj3EEiiiSB_iiiSB_iiii.num_named_barrier, 0
	.set _ZL13mul_mat_vec_fI14__hip_bfloat16fLi8ELi224ELb0ELb0EEvPKT_PKfPKi31ggml_cuda_mm_fusion_args_devicePfi15HIP_vector_typeIjLj3EEiiiSB_iiiSB_iiii.private_seg_size, 0
	.set _ZL13mul_mat_vec_fI14__hip_bfloat16fLi8ELi224ELb0ELb0EEvPKT_PKfPKi31ggml_cuda_mm_fusion_args_devicePfi15HIP_vector_typeIjLj3EEiiiSB_iiiSB_iiii.uses_vcc, 1
	.set _ZL13mul_mat_vec_fI14__hip_bfloat16fLi8ELi224ELb0ELb0EEvPKT_PKfPKi31ggml_cuda_mm_fusion_args_devicePfi15HIP_vector_typeIjLj3EEiiiSB_iiiSB_iiii.uses_flat_scratch, 0
	.set _ZL13mul_mat_vec_fI14__hip_bfloat16fLi8ELi224ELb0ELb0EEvPKT_PKfPKi31ggml_cuda_mm_fusion_args_devicePfi15HIP_vector_typeIjLj3EEiiiSB_iiiSB_iiii.has_dyn_sized_stack, 0
	.set _ZL13mul_mat_vec_fI14__hip_bfloat16fLi8ELi224ELb0ELb0EEvPKT_PKfPKi31ggml_cuda_mm_fusion_args_devicePfi15HIP_vector_typeIjLj3EEiiiSB_iiiSB_iiii.has_recursion, 0
	.set _ZL13mul_mat_vec_fI14__hip_bfloat16fLi8ELi224ELb0ELb0EEvPKT_PKfPKi31ggml_cuda_mm_fusion_args_devicePfi15HIP_vector_typeIjLj3EEiiiSB_iiiSB_iiii.has_indirect_call, 0
	.section	.AMDGPU.csdata,"",@progbits
; Kernel info:
; codeLenInByte = 3084
; TotalNumSgprs: 40
; NumVgprs: 33
; ScratchSize: 0
; MemoryBound: 0
; FloatMode: 240
; IeeeMode: 1
; LDSByteSize: 0 bytes/workgroup (compile time only)
; SGPRBlocks: 0
; VGPRBlocks: 4
; NumSGPRsForWavesPerEU: 40
; NumVGPRsForWavesPerEU: 33
; Occupancy: 16
; WaveLimiterHint : 0
; COMPUTE_PGM_RSRC2:SCRATCH_EN: 0
; COMPUTE_PGM_RSRC2:USER_SGPR: 6
; COMPUTE_PGM_RSRC2:TRAP_HANDLER: 0
; COMPUTE_PGM_RSRC2:TGID_X_EN: 1
; COMPUTE_PGM_RSRC2:TGID_Y_EN: 1
; COMPUTE_PGM_RSRC2:TGID_Z_EN: 1
; COMPUTE_PGM_RSRC2:TIDIG_COMP_CNT: 0
	.section	.text._ZL13mul_mat_vec_fI14__hip_bfloat16fLi8ELi256ELb0ELb0EEvPKT_PKfPKi31ggml_cuda_mm_fusion_args_devicePfi15HIP_vector_typeIjLj3EEiiiSB_iiiSB_iiii,"axG",@progbits,_ZL13mul_mat_vec_fI14__hip_bfloat16fLi8ELi256ELb0ELb0EEvPKT_PKfPKi31ggml_cuda_mm_fusion_args_devicePfi15HIP_vector_typeIjLj3EEiiiSB_iiiSB_iiii,comdat
	.globl	_ZL13mul_mat_vec_fI14__hip_bfloat16fLi8ELi256ELb0ELb0EEvPKT_PKfPKi31ggml_cuda_mm_fusion_args_devicePfi15HIP_vector_typeIjLj3EEiiiSB_iiiSB_iiii ; -- Begin function _ZL13mul_mat_vec_fI14__hip_bfloat16fLi8ELi256ELb0ELb0EEvPKT_PKfPKi31ggml_cuda_mm_fusion_args_devicePfi15HIP_vector_typeIjLj3EEiiiSB_iiiSB_iiii
	.p2align	8
	.type	_ZL13mul_mat_vec_fI14__hip_bfloat16fLi8ELi256ELb0ELb0EEvPKT_PKfPKi31ggml_cuda_mm_fusion_args_devicePfi15HIP_vector_typeIjLj3EEiiiSB_iiiSB_iiii,@function
_ZL13mul_mat_vec_fI14__hip_bfloat16fLi8ELi256ELb0ELb0EEvPKT_PKfPKi31ggml_cuda_mm_fusion_args_devicePfi15HIP_vector_typeIjLj3EEiiiSB_iiiSB_iiii: ; @_ZL13mul_mat_vec_fI14__hip_bfloat16fLi8ELi256ELb0ELb0EEvPKT_PKfPKi31ggml_cuda_mm_fusion_args_devicePfi15HIP_vector_typeIjLj3EEiiiSB_iiiSB_iiii
; %bb.0:
	s_clause 0x2
	s_load_dwordx2 s[0:1], s[4:5], 0x10
	s_load_dwordx8 s[12:19], s[4:5], 0x40
	s_load_dwordx4 s[20:23], s[4:5], 0x80
	s_waitcnt lgkmcnt(0)
	s_cmp_eq_u64 s[0:1], 0
	s_cselect_b32 s10, -1, 0
	s_cmp_lg_u64 s[0:1], 0
	s_cselect_b32 s11, -1, 0
	s_and_b32 vcc_lo, exec_lo, s10
	s_cbranch_vccnz .LBB351_2
; %bb.1:
	s_mul_i32 s2, s23, s8
	s_mov_b32 s3, 0
	s_add_i32 s2, s2, s7
	s_lshl_b64 s[24:25], s[2:3], 2
	s_add_u32 s0, s0, s24
	s_addc_u32 s1, s1, s25
	s_load_dword s9, s[0:1], 0x0
	s_cbranch_execz .LBB351_3
	s_branch .LBB351_4
.LBB351_2:
                                        ; implicit-def: $sgpr9
.LBB351_3:
	s_load_dwordx2 s[0:1], s[4:5], 0x5c
	s_waitcnt lgkmcnt(0)
	s_mul_hi_u32 s0, s0, s7
	s_add_i32 s0, s7, s0
	s_lshr_b32 s9, s0, s1
.LBB351_4:
	s_load_dwordx4 s[24:27], s[4:5], 0x68
	s_andn2_b32 vcc_lo, exec_lo, s11
	s_mov_b32 s19, s7
	s_cbranch_vccnz .LBB351_6
; %bb.5:
	s_mul_hi_u32 s0, s13, s7
	s_add_i32 s0, s7, s0
	s_lshr_b32 s0, s0, s14
	s_mul_i32 s0, s0, s15
	s_sub_i32 s19, s7, s0
.LBB351_6:
	s_load_dword s15, s[4:5], 0x78
	v_cmp_gt_u32_e32 vcc_lo, 32, v0
	v_lshl_add_u32 v5, v0, 2, 0
	s_and_saveexec_b32 s0, vcc_lo
; %bb.7:
	v_mov_b32_e32 v1, 0
	ds_write_b32 v5, v1
; %bb.8:
	s_or_b32 exec_lo, exec_lo, s0
	v_mov_b32_e32 v6, 0
	v_mov_b32_e32 v7, 0
	;; [unrolled: 1-line block ×8, first 2 shown]
	s_and_b32 s0, exec_lo, s10
	s_mov_b32 s11, 0
	s_cselect_b32 s10, s8, 0
	s_mov_b32 s13, exec_lo
	s_waitcnt lgkmcnt(0)
	s_barrier
	buffer_gl0_inv
	v_cmpx_gt_i32_e64 s12, v0
	s_cbranch_execz .LBB351_12
; %bb.9:
	s_load_dwordx4 s[0:3], s[4:5], 0x0
	s_mul_hi_u32 s23, s27, s10
	s_mul_hi_i32 s29, s21, s10
	s_mul_i32 s28, s21, s10
	s_mul_i32 s8, s9, s24
	;; [unrolled: 1-line block ×4, first 2 shown]
	s_add_i32 s16, s10, s23
	s_lshl_b64 s[28:29], s[28:29], 2
	s_ashr_i32 s9, s8, 31
	s_ashr_i32 s25, s24, 31
	s_ashr_i32 s31, s30, 31
	s_lshr_b32 s15, s16, s15
	s_mov_b32 s34, s17
	s_mul_hi_i32 s37, s15, s20
	s_mul_i32 s36, s15, s20
	v_lshlrev_b32_e32 v2, 3, v0
	v_lshlrev_b32_e32 v1, 2, v0
	v_mov_b32_e32 v12, 0
	v_mov_b32_e32 v13, v0
	s_waitcnt lgkmcnt(0)
	s_add_u32 s16, s2, s28
	s_addc_u32 s19, s3, s29
	s_lshl_b64 s[30:31], s[30:31], 2
	v_mov_b32_e32 v14, 0
	s_add_u32 s15, s16, s30
	s_addc_u32 s16, s19, s31
	s_lshl_b64 s[8:9], s[8:9], 1
	s_ashr_i32 s35, s17, 31
	s_add_i32 s19, s17, s17
	s_lshl_b32 s20, s17, 2
	s_lshl_b64 s[36:37], s[36:37], 1
	s_lshl_b64 s[24:25], s[24:25], 1
	s_add_u32 s0, s0, s8
	s_addc_u32 s1, s1, s9
	s_add_u32 s0, s0, s24
	s_addc_u32 s1, s1, s25
	;; [unrolled: 2-line block ×3, first 2 shown]
	s_lshl_b64 s[8:9], s[34:35], 3
	s_add_u32 s2, s2, s30
	s_addc_u32 s3, s3, s31
	s_add_u32 s2, s2, s28
	s_addc_u32 s3, s3, s29
	v_add_co_u32 v3, s2, s2, v2
	v_add_co_ci_u32_e64 v4, null, s3, 0, s2
	v_add_co_u32 v1, s0, s0, v1
	v_add_co_ci_u32_e64 v2, null, s1, 0, s0
	;; [unrolled: 2-line block ×3, first 2 shown]
	v_mov_b32_e32 v11, 0
	v_mov_b32_e32 v10, 0
	v_mov_b32_e32 v9, 0
	v_mov_b32_e32 v8, 0
	v_mov_b32_e32 v7, 0
	v_mov_b32_e32 v6, 0
	s_mul_i32 s14, s17, 3
	s_mul_i32 s1, s17, 5
	;; [unrolled: 1-line block ×4, first 2 shown]
.LBB351_10:                             ; =>This Inner Loop Header: Depth=1
	v_add_nc_u32_e32 v19, s19, v13
	v_add_nc_u32_e32 v21, s14, v13
	;; [unrolled: 1-line block ×5, first 2 shown]
	v_ashrrev_i32_e32 v20, 31, v19
	v_ashrrev_i32_e32 v22, 31, v21
	;; [unrolled: 1-line block ×3, first 2 shown]
	v_add_nc_u32_e32 v29, s3, v13
	v_ashrrev_i32_e32 v26, 31, v25
	v_lshlrev_b64 v[19:20], 3, v[19:20]
	v_lshlrev_b64 v[21:22], 3, v[21:22]
	v_ashrrev_i32_e32 v28, 31, v27
	v_add_co_u32 v17, s0, v3, s8
	v_lshlrev_b64 v[23:24], 3, v[23:24]
	v_ashrrev_i32_e32 v30, 31, v29
	v_add_co_ci_u32_e64 v18, null, s9, v4, s0
	v_lshlrev_b64 v[25:26], 3, v[25:26]
	v_add_co_u32 v19, s0, s15, v19
	v_lshlrev_b64 v[27:28], 3, v[27:28]
	v_add_co_ci_u32_e64 v20, null, s16, v20, s0
	v_add_co_u32 v21, s0, s15, v21
	v_lshlrev_b64 v[29:30], 3, v[29:30]
	v_add_co_ci_u32_e64 v22, null, s16, v22, s0
	v_add_co_u32 v23, s0, s15, v23
	v_add_co_ci_u32_e64 v24, null, s16, v24, s0
	v_add_co_u32 v25, s0, s15, v25
	;; [unrolled: 2-line block ×3, first 2 shown]
	global_load_dword v31, v[1:2], off
	global_load_dwordx2 v[15:16], v[3:4], off offset:-4
	v_add_co_ci_u32_e64 v28, null, s16, v28, s0
	v_add_co_u32 v29, s0, s15, v29
	v_add_co_ci_u32_e64 v30, null, s16, v30, s0
	global_load_dwordx2 v[17:18], v[17:18], off offset:-4
	s_clause 0x5
	global_load_dwordx2 v[19:20], v[19:20], off
	global_load_dwordx2 v[21:22], v[21:22], off
	;; [unrolled: 1-line block ×6, first 2 shown]
	v_add_nc_u32_e32 v13, 0x100, v13
	v_add_co_u32 v1, s0, 0x400, v1
	v_add_co_ci_u32_e64 v2, null, 0, v2, s0
	v_add_co_u32 v3, s0, 0x800, v3
	v_add_co_ci_u32_e64 v4, null, 0, v4, s0
	v_cmp_le_i32_e64 s0, s12, v13
	s_or_b32 s11, s0, s11
	s_waitcnt vmcnt(8)
	v_lshlrev_b32_e32 v32, 16, v31
	v_and_b32_e32 v31, 0xffff0000, v31
	s_waitcnt vmcnt(7)
	v_fmac_f32_e32 v12, v15, v32
	s_waitcnt vmcnt(5)
	v_fmac_f32_e32 v11, v19, v32
	;; [unrolled: 2-line block ×3, first 2 shown]
	v_fmac_f32_e32 v14, v17, v32
	s_waitcnt vmcnt(3)
	v_fmac_f32_e32 v9, v23, v32
	s_waitcnt vmcnt(2)
	;; [unrolled: 2-line block ×4, first 2 shown]
	v_fmac_f32_e32 v6, v29, v32
	v_fmac_f32_e32 v12, v16, v31
	;; [unrolled: 1-line block ×9, first 2 shown]
	s_andn2_b32 exec_lo, exec_lo, s11
	s_cbranch_execnz .LBB351_10
; %bb.11:
	s_or_b32 exec_lo, exec_lo, s11
.LBB351_12:
	s_or_b32 exec_lo, exec_lo, s13
	v_mbcnt_lo_u32_b32 v2, -1, 0
	v_xor_b32_e32 v1, 16, v2
	v_xor_b32_e32 v3, 8, v2
	v_cmp_gt_i32_e64 s0, 32, v1
	v_cndmask_b32_e64 v1, v2, v1, s0
	v_cmp_gt_i32_e64 s0, 32, v3
	v_lshlrev_b32_e32 v1, 2, v1
	v_cndmask_b32_e64 v3, v2, v3, s0
	ds_bpermute_b32 v4, v1, v12
	v_lshlrev_b32_e32 v3, 2, v3
	s_waitcnt lgkmcnt(0)
	v_add_f32_e32 v12, v12, v4
	v_xor_b32_e32 v4, 4, v2
	ds_bpermute_b32 v13, v3, v12
	v_cmp_gt_i32_e64 s0, 32, v4
	v_cndmask_b32_e64 v4, v2, v4, s0
	v_lshlrev_b32_e32 v4, 2, v4
	s_waitcnt lgkmcnt(0)
	v_add_f32_e32 v13, v12, v13
	v_xor_b32_e32 v12, 2, v2
	ds_bpermute_b32 v15, v4, v13
	v_cmp_gt_i32_e64 s0, 32, v12
	v_cndmask_b32_e64 v12, v2, v12, s0
	;; [unrolled: 7-line block ×3, first 2 shown]
	v_lshlrev_b32_e32 v13, 2, v2
	s_waitcnt lgkmcnt(0)
	v_add_f32_e32 v2, v15, v16
	v_lshrrev_b32_e32 v15, 3, v0
	ds_bpermute_b32 v16, v13, v2
	v_and_b32_e32 v15, 0x7c, v15
	v_add_nc_u32_e32 v15, 0, v15
	s_waitcnt lgkmcnt(0)
	v_add_f32_e32 v2, v2, v16
	ds_write_b32 v15, v2
	s_waitcnt lgkmcnt(0)
	s_barrier
	buffer_gl0_inv
	s_and_saveexec_b32 s0, vcc_lo
	s_cbranch_execz .LBB351_14
; %bb.13:
	ds_read_b32 v2, v5
	s_waitcnt lgkmcnt(0)
	ds_bpermute_b32 v16, v1, v2
	s_waitcnt lgkmcnt(0)
	v_add_f32_e32 v2, v2, v16
	ds_bpermute_b32 v16, v3, v2
	s_waitcnt lgkmcnt(0)
	v_add_f32_e32 v2, v2, v16
	ds_bpermute_b32 v16, v4, v2
	s_waitcnt lgkmcnt(0)
	v_add_f32_e32 v2, v2, v16
	ds_bpermute_b32 v16, v12, v2
	s_waitcnt lgkmcnt(0)
	v_add_f32_e32 v2, v2, v16
	ds_bpermute_b32 v16, v13, v2
	s_waitcnt lgkmcnt(0)
	v_add_f32_e32 v2, v2, v16
.LBB351_14:
	s_or_b32 exec_lo, exec_lo, s0
	ds_bpermute_b32 v16, v1, v14
	s_waitcnt lgkmcnt(0)
	s_barrier
	buffer_gl0_inv
	v_add_f32_e32 v14, v14, v16
	ds_bpermute_b32 v16, v3, v14
	s_waitcnt lgkmcnt(0)
	v_add_f32_e32 v14, v14, v16
	ds_bpermute_b32 v16, v4, v14
	s_waitcnt lgkmcnt(0)
	v_add_f32_e32 v14, v14, v16
	ds_bpermute_b32 v16, v12, v14
	s_waitcnt lgkmcnt(0)
	v_add_f32_e32 v14, v14, v16
	ds_bpermute_b32 v16, v13, v14
	s_waitcnt lgkmcnt(0)
	v_add_f32_e32 v14, v14, v16
	ds_write_b32 v15, v14
	s_waitcnt lgkmcnt(0)
	s_barrier
	buffer_gl0_inv
	s_and_saveexec_b32 s0, vcc_lo
	s_cbranch_execz .LBB351_16
; %bb.15:
	ds_read_b32 v14, v5
	s_waitcnt lgkmcnt(0)
	ds_bpermute_b32 v16, v1, v14
	s_waitcnt lgkmcnt(0)
	v_add_f32_e32 v14, v14, v16
	ds_bpermute_b32 v16, v3, v14
	s_waitcnt lgkmcnt(0)
	v_add_f32_e32 v14, v14, v16
	ds_bpermute_b32 v16, v4, v14
	s_waitcnt lgkmcnt(0)
	v_add_f32_e32 v14, v14, v16
	ds_bpermute_b32 v16, v12, v14
	s_waitcnt lgkmcnt(0)
	v_add_f32_e32 v14, v14, v16
	ds_bpermute_b32 v16, v13, v14
	s_waitcnt lgkmcnt(0)
	v_add_f32_e32 v14, v14, v16
.LBB351_16:
	s_or_b32 exec_lo, exec_lo, s0
	ds_bpermute_b32 v16, v1, v11
	s_waitcnt lgkmcnt(0)
	s_barrier
	buffer_gl0_inv
	v_add_f32_e32 v11, v11, v16
	ds_bpermute_b32 v16, v3, v11
	s_waitcnt lgkmcnt(0)
	v_add_f32_e32 v11, v11, v16
	ds_bpermute_b32 v16, v4, v11
	s_waitcnt lgkmcnt(0)
	v_add_f32_e32 v11, v11, v16
	ds_bpermute_b32 v16, v12, v11
	s_waitcnt lgkmcnt(0)
	v_add_f32_e32 v11, v11, v16
	ds_bpermute_b32 v16, v13, v11
	;; [unrolled: 43-line block ×7, first 2 shown]
	s_waitcnt lgkmcnt(0)
	v_add_f32_e32 v6, v6, v16
	ds_write_b32 v15, v6
	s_waitcnt lgkmcnt(0)
	s_barrier
	buffer_gl0_inv
	s_and_saveexec_b32 s0, vcc_lo
	s_cbranch_execz .LBB351_28
; %bb.27:
	ds_read_b32 v5, v5
	s_waitcnt lgkmcnt(0)
	ds_bpermute_b32 v1, v1, v5
	s_waitcnt lgkmcnt(0)
	v_add_f32_e32 v1, v5, v1
	ds_bpermute_b32 v3, v3, v1
	s_waitcnt lgkmcnt(0)
	v_add_f32_e32 v1, v1, v3
	;; [unrolled: 3-line block ×5, first 2 shown]
.LBB351_28:
	s_or_b32 exec_lo, exec_lo, s0
	s_barrier
	buffer_gl0_inv
	s_mov_b32 s0, exec_lo
	v_cmpx_gt_u32_e32 8, v0
	s_cbranch_execz .LBB351_30
; %bb.29:
	v_cmp_eq_u32_e32 vcc_lo, 1, v0
	s_load_dwordx2 s[0:1], s[4:5], 0x38
	s_mul_hi_i32 s3, s22, s10
	s_mul_i32 s2, s22, s10
	s_mul_i32 s4, s26, s7
	v_cndmask_b32_e32 v1, v2, v14, vcc_lo
	v_cmp_eq_u32_e32 vcc_lo, 2, v0
	s_lshl_b64 s[2:3], s[2:3], 2
	s_ashr_i32 s5, s4, 31
	v_cndmask_b32_e32 v3, v1, v11, vcc_lo
	v_cmp_eq_u32_e32 vcc_lo, 3, v0
	v_mad_u64_u32 v[1:2], null, s18, v0, s[6:7]
	v_cndmask_b32_e32 v2, v3, v10, vcc_lo
	v_cmp_eq_u32_e32 vcc_lo, 4, v0
	s_waitcnt lgkmcnt(0)
	s_add_u32 s2, s0, s2
	s_addc_u32 s3, s1, s3
	v_cndmask_b32_e32 v3, v2, v9, vcc_lo
	v_cmp_eq_u32_e32 vcc_lo, 5, v0
	v_ashrrev_i32_e32 v2, 31, v1
	s_lshl_b64 s[0:1], s[4:5], 2
	s_add_u32 s0, s2, s0
	v_cndmask_b32_e32 v3, v3, v8, vcc_lo
	v_cmp_eq_u32_e32 vcc_lo, 6, v0
	v_lshlrev_b64 v[1:2], 2, v[1:2]
	s_addc_u32 s1, s3, s1
	v_cndmask_b32_e32 v3, v3, v7, vcc_lo
	v_cmp_eq_u32_e32 vcc_lo, 7, v0
	v_cndmask_b32_e32 v3, v3, v6, vcc_lo
	v_add_co_u32 v0, vcc_lo, s0, v1
	v_add_co_ci_u32_e64 v1, null, s1, v2, vcc_lo
	global_store_dword v[0:1], v3, off
.LBB351_30:
	s_endpgm
	.section	.rodata,"a",@progbits
	.p2align	6, 0x0
	.amdhsa_kernel _ZL13mul_mat_vec_fI14__hip_bfloat16fLi8ELi256ELb0ELb0EEvPKT_PKfPKi31ggml_cuda_mm_fusion_args_devicePfi15HIP_vector_typeIjLj3EEiiiSB_iiiSB_iiii
		.amdhsa_group_segment_fixed_size 0
		.amdhsa_private_segment_fixed_size 0
		.amdhsa_kernarg_size 144
		.amdhsa_user_sgpr_count 6
		.amdhsa_user_sgpr_private_segment_buffer 1
		.amdhsa_user_sgpr_dispatch_ptr 0
		.amdhsa_user_sgpr_queue_ptr 0
		.amdhsa_user_sgpr_kernarg_segment_ptr 1
		.amdhsa_user_sgpr_dispatch_id 0
		.amdhsa_user_sgpr_flat_scratch_init 0
		.amdhsa_user_sgpr_private_segment_size 0
		.amdhsa_wavefront_size32 1
		.amdhsa_uses_dynamic_stack 0
		.amdhsa_system_sgpr_private_segment_wavefront_offset 0
		.amdhsa_system_sgpr_workgroup_id_x 1
		.amdhsa_system_sgpr_workgroup_id_y 1
		.amdhsa_system_sgpr_workgroup_id_z 1
		.amdhsa_system_sgpr_workgroup_info 0
		.amdhsa_system_vgpr_workitem_id 0
		.amdhsa_next_free_vgpr 33
		.amdhsa_next_free_sgpr 38
		.amdhsa_reserve_vcc 1
		.amdhsa_reserve_flat_scratch 0
		.amdhsa_float_round_mode_32 0
		.amdhsa_float_round_mode_16_64 0
		.amdhsa_float_denorm_mode_32 3
		.amdhsa_float_denorm_mode_16_64 3
		.amdhsa_dx10_clamp 1
		.amdhsa_ieee_mode 1
		.amdhsa_fp16_overflow 0
		.amdhsa_workgroup_processor_mode 1
		.amdhsa_memory_ordered 1
		.amdhsa_forward_progress 1
		.amdhsa_shared_vgpr_count 0
		.amdhsa_exception_fp_ieee_invalid_op 0
		.amdhsa_exception_fp_denorm_src 0
		.amdhsa_exception_fp_ieee_div_zero 0
		.amdhsa_exception_fp_ieee_overflow 0
		.amdhsa_exception_fp_ieee_underflow 0
		.amdhsa_exception_fp_ieee_inexact 0
		.amdhsa_exception_int_div_zero 0
	.end_amdhsa_kernel
	.section	.text._ZL13mul_mat_vec_fI14__hip_bfloat16fLi8ELi256ELb0ELb0EEvPKT_PKfPKi31ggml_cuda_mm_fusion_args_devicePfi15HIP_vector_typeIjLj3EEiiiSB_iiiSB_iiii,"axG",@progbits,_ZL13mul_mat_vec_fI14__hip_bfloat16fLi8ELi256ELb0ELb0EEvPKT_PKfPKi31ggml_cuda_mm_fusion_args_devicePfi15HIP_vector_typeIjLj3EEiiiSB_iiiSB_iiii,comdat
.Lfunc_end351:
	.size	_ZL13mul_mat_vec_fI14__hip_bfloat16fLi8ELi256ELb0ELb0EEvPKT_PKfPKi31ggml_cuda_mm_fusion_args_devicePfi15HIP_vector_typeIjLj3EEiiiSB_iiiSB_iiii, .Lfunc_end351-_ZL13mul_mat_vec_fI14__hip_bfloat16fLi8ELi256ELb0ELb0EEvPKT_PKfPKi31ggml_cuda_mm_fusion_args_devicePfi15HIP_vector_typeIjLj3EEiiiSB_iiiSB_iiii
                                        ; -- End function
	.set _ZL13mul_mat_vec_fI14__hip_bfloat16fLi8ELi256ELb0ELb0EEvPKT_PKfPKi31ggml_cuda_mm_fusion_args_devicePfi15HIP_vector_typeIjLj3EEiiiSB_iiiSB_iiii.num_vgpr, 33
	.set _ZL13mul_mat_vec_fI14__hip_bfloat16fLi8ELi256ELb0ELb0EEvPKT_PKfPKi31ggml_cuda_mm_fusion_args_devicePfi15HIP_vector_typeIjLj3EEiiiSB_iiiSB_iiii.num_agpr, 0
	.set _ZL13mul_mat_vec_fI14__hip_bfloat16fLi8ELi256ELb0ELb0EEvPKT_PKfPKi31ggml_cuda_mm_fusion_args_devicePfi15HIP_vector_typeIjLj3EEiiiSB_iiiSB_iiii.numbered_sgpr, 38
	.set _ZL13mul_mat_vec_fI14__hip_bfloat16fLi8ELi256ELb0ELb0EEvPKT_PKfPKi31ggml_cuda_mm_fusion_args_devicePfi15HIP_vector_typeIjLj3EEiiiSB_iiiSB_iiii.num_named_barrier, 0
	.set _ZL13mul_mat_vec_fI14__hip_bfloat16fLi8ELi256ELb0ELb0EEvPKT_PKfPKi31ggml_cuda_mm_fusion_args_devicePfi15HIP_vector_typeIjLj3EEiiiSB_iiiSB_iiii.private_seg_size, 0
	.set _ZL13mul_mat_vec_fI14__hip_bfloat16fLi8ELi256ELb0ELb0EEvPKT_PKfPKi31ggml_cuda_mm_fusion_args_devicePfi15HIP_vector_typeIjLj3EEiiiSB_iiiSB_iiii.uses_vcc, 1
	.set _ZL13mul_mat_vec_fI14__hip_bfloat16fLi8ELi256ELb0ELb0EEvPKT_PKfPKi31ggml_cuda_mm_fusion_args_devicePfi15HIP_vector_typeIjLj3EEiiiSB_iiiSB_iiii.uses_flat_scratch, 0
	.set _ZL13mul_mat_vec_fI14__hip_bfloat16fLi8ELi256ELb0ELb0EEvPKT_PKfPKi31ggml_cuda_mm_fusion_args_devicePfi15HIP_vector_typeIjLj3EEiiiSB_iiiSB_iiii.has_dyn_sized_stack, 0
	.set _ZL13mul_mat_vec_fI14__hip_bfloat16fLi8ELi256ELb0ELb0EEvPKT_PKfPKi31ggml_cuda_mm_fusion_args_devicePfi15HIP_vector_typeIjLj3EEiiiSB_iiiSB_iiii.has_recursion, 0
	.set _ZL13mul_mat_vec_fI14__hip_bfloat16fLi8ELi256ELb0ELb0EEvPKT_PKfPKi31ggml_cuda_mm_fusion_args_devicePfi15HIP_vector_typeIjLj3EEiiiSB_iiiSB_iiii.has_indirect_call, 0
	.section	.AMDGPU.csdata,"",@progbits
; Kernel info:
; codeLenInByte = 3084
; TotalNumSgprs: 40
; NumVgprs: 33
; ScratchSize: 0
; MemoryBound: 0
; FloatMode: 240
; IeeeMode: 1
; LDSByteSize: 0 bytes/workgroup (compile time only)
; SGPRBlocks: 0
; VGPRBlocks: 4
; NumSGPRsForWavesPerEU: 40
; NumVGPRsForWavesPerEU: 33
; Occupancy: 16
; WaveLimiterHint : 0
; COMPUTE_PGM_RSRC2:SCRATCH_EN: 0
; COMPUTE_PGM_RSRC2:USER_SGPR: 6
; COMPUTE_PGM_RSRC2:TRAP_HANDLER: 0
; COMPUTE_PGM_RSRC2:TGID_X_EN: 1
; COMPUTE_PGM_RSRC2:TGID_Y_EN: 1
; COMPUTE_PGM_RSRC2:TGID_Z_EN: 1
; COMPUTE_PGM_RSRC2:TIDIG_COMP_CNT: 0
	.section	.AMDGPU.gpr_maximums,"",@progbits
	.set amdgpu.max_num_vgpr, 0
	.set amdgpu.max_num_agpr, 0
	.set amdgpu.max_num_sgpr, 0
	.section	.AMDGPU.csdata,"",@progbits
	.type	__hip_cuid_bad7d4fa20a6d9cf,@object ; @__hip_cuid_bad7d4fa20a6d9cf
	.section	.bss,"aw",@nobits
	.globl	__hip_cuid_bad7d4fa20a6d9cf
__hip_cuid_bad7d4fa20a6d9cf:
	.byte	0                               ; 0x0
	.size	__hip_cuid_bad7d4fa20a6d9cf, 1

	.ident	"AMD clang version 22.0.0git (https://github.com/RadeonOpenCompute/llvm-project roc-7.2.4 26084 f58b06dce1f9c15707c5f808fd002e18c2accf7e)"
	.section	".note.GNU-stack","",@progbits
	.addrsig
	.addrsig_sym __hip_cuid_bad7d4fa20a6d9cf
	.amdgpu_metadata
---
amdhsa.kernels:
  - .args:
      - .address_space:  global
        .offset:         0
        .size:           8
        .value_kind:     global_buffer
      - .address_space:  global
        .offset:         8
        .size:           8
        .value_kind:     global_buffer
      - .address_space:  global
        .offset:         16
        .size:           8
        .value_kind:     global_buffer
      - .offset:         24
        .size:           32
        .value_kind:     by_value
      - .address_space:  global
        .offset:         56
        .size:           8
        .value_kind:     global_buffer
      - .offset:         64
        .size:           4
        .value_kind:     by_value
      - .offset:         68
        .size:           12
        .value_kind:     by_value
      - .offset:         80
        .size:           4
        .value_kind:     by_value
      - .offset:         84
        .size:           4
        .value_kind:     by_value
      - .offset:         88
        .size:           4
        .value_kind:     by_value
      - .offset:         92
        .size:           12
        .value_kind:     by_value
      - .offset:         104
        .size:           4
        .value_kind:     by_value
      - .offset:         108
        .size:           4
        .value_kind:     by_value
      - .offset:         112
        .size:           4
        .value_kind:     by_value
      - .offset:         116
        .size:           12
        .value_kind:     by_value
      - .offset:         128
        .size:           4
        .value_kind:     by_value
      - .offset:         132
        .size:           4
        .value_kind:     by_value
      - .offset:         136
        .size:           4
        .value_kind:     by_value
      - .offset:         140
        .size:           4
        .value_kind:     by_value
    .group_segment_fixed_size: 0
    .kernarg_segment_align: 8
    .kernarg_segment_size: 144
    .language:       OpenCL C
    .language_version:
      - 2
      - 0
    .max_flat_workgroup_size: 1024
    .name:           _ZL13mul_mat_vec_fIffLi1ELi32ELb1ELb1EEvPKT_PKfPKi31ggml_cuda_mm_fusion_args_devicePfi15HIP_vector_typeIjLj3EEiiiSA_iiiSA_iiii
    .private_segment_fixed_size: 0
    .sgpr_count:     42
    .sgpr_spill_count: 0
    .symbol:         _ZL13mul_mat_vec_fIffLi1ELi32ELb1ELb1EEvPKT_PKfPKi31ggml_cuda_mm_fusion_args_devicePfi15HIP_vector_typeIjLj3EEiiiSA_iiiSA_iiii.kd
    .uniform_work_group_size: 1
    .uses_dynamic_stack: false
    .vgpr_count:     16
    .vgpr_spill_count: 0
    .wavefront_size: 32
    .workgroup_processor_mode: 1
  - .args:
      - .address_space:  global
        .offset:         0
        .size:           8
        .value_kind:     global_buffer
      - .address_space:  global
        .offset:         8
        .size:           8
        .value_kind:     global_buffer
      - .address_space:  global
        .offset:         16
        .size:           8
        .value_kind:     global_buffer
      - .offset:         24
        .size:           32
        .value_kind:     by_value
      - .address_space:  global
        .offset:         56
        .size:           8
        .value_kind:     global_buffer
      - .offset:         64
        .size:           4
        .value_kind:     by_value
      - .offset:         68
        .size:           12
        .value_kind:     by_value
      - .offset:         80
        .size:           4
        .value_kind:     by_value
      - .offset:         84
        .size:           4
        .value_kind:     by_value
      - .offset:         88
        .size:           4
        .value_kind:     by_value
      - .offset:         92
        .size:           12
        .value_kind:     by_value
      - .offset:         104
        .size:           4
        .value_kind:     by_value
      - .offset:         108
        .size:           4
        .value_kind:     by_value
      - .offset:         112
        .size:           4
        .value_kind:     by_value
      - .offset:         116
        .size:           12
        .value_kind:     by_value
      - .offset:         128
        .size:           4
        .value_kind:     by_value
      - .offset:         132
        .size:           4
        .value_kind:     by_value
      - .offset:         136
        .size:           4
        .value_kind:     by_value
      - .offset:         140
        .size:           4
        .value_kind:     by_value
    .group_segment_fixed_size: 0
    .kernarg_segment_align: 8
    .kernarg_segment_size: 144
    .language:       OpenCL C
    .language_version:
      - 2
      - 0
    .max_flat_workgroup_size: 1024
    .name:           _ZL13mul_mat_vec_fIffLi1ELi32ELb0ELb1EEvPKT_PKfPKi31ggml_cuda_mm_fusion_args_devicePfi15HIP_vector_typeIjLj3EEiiiSA_iiiSA_iiii
    .private_segment_fixed_size: 0
    .sgpr_count:     26
    .sgpr_spill_count: 0
    .symbol:         _ZL13mul_mat_vec_fIffLi1ELi32ELb0ELb1EEvPKT_PKfPKi31ggml_cuda_mm_fusion_args_devicePfi15HIP_vector_typeIjLj3EEiiiSA_iiiSA_iiii.kd
    .uniform_work_group_size: 1
    .uses_dynamic_stack: false
    .vgpr_count:     11
    .vgpr_spill_count: 0
    .wavefront_size: 32
    .workgroup_processor_mode: 1
  - .args:
      - .address_space:  global
        .offset:         0
        .size:           8
        .value_kind:     global_buffer
      - .address_space:  global
        .offset:         8
        .size:           8
        .value_kind:     global_buffer
      - .address_space:  global
        .offset:         16
        .size:           8
        .value_kind:     global_buffer
      - .offset:         24
        .size:           32
        .value_kind:     by_value
      - .address_space:  global
        .offset:         56
        .size:           8
        .value_kind:     global_buffer
      - .offset:         64
        .size:           4
        .value_kind:     by_value
      - .offset:         68
        .size:           12
        .value_kind:     by_value
      - .offset:         80
        .size:           4
        .value_kind:     by_value
      - .offset:         84
        .size:           4
        .value_kind:     by_value
      - .offset:         88
        .size:           4
        .value_kind:     by_value
      - .offset:         92
        .size:           12
        .value_kind:     by_value
      - .offset:         104
        .size:           4
        .value_kind:     by_value
      - .offset:         108
        .size:           4
        .value_kind:     by_value
      - .offset:         112
        .size:           4
        .value_kind:     by_value
      - .offset:         116
        .size:           12
        .value_kind:     by_value
      - .offset:         128
        .size:           4
        .value_kind:     by_value
      - .offset:         132
        .size:           4
        .value_kind:     by_value
      - .offset:         136
        .size:           4
        .value_kind:     by_value
      - .offset:         140
        .size:           4
        .value_kind:     by_value
    .group_segment_fixed_size: 0
    .kernarg_segment_align: 8
    .kernarg_segment_size: 144
    .language:       OpenCL C
    .language_version:
      - 2
      - 0
    .max_flat_workgroup_size: 1024
    .name:           _ZL13mul_mat_vec_fIffLi1ELi64ELb1ELb1EEvPKT_PKfPKi31ggml_cuda_mm_fusion_args_devicePfi15HIP_vector_typeIjLj3EEiiiSA_iiiSA_iiii
    .private_segment_fixed_size: 0
    .sgpr_count:     42
    .sgpr_spill_count: 0
    .symbol:         _ZL13mul_mat_vec_fIffLi1ELi64ELb1ELb1EEvPKT_PKfPKi31ggml_cuda_mm_fusion_args_devicePfi15HIP_vector_typeIjLj3EEiiiSA_iiiSA_iiii.kd
    .uniform_work_group_size: 1
    .uses_dynamic_stack: false
    .vgpr_count:     17
    .vgpr_spill_count: 0
    .wavefront_size: 32
    .workgroup_processor_mode: 1
  - .args:
      - .address_space:  global
        .offset:         0
        .size:           8
        .value_kind:     global_buffer
      - .address_space:  global
        .offset:         8
        .size:           8
        .value_kind:     global_buffer
      - .address_space:  global
        .offset:         16
        .size:           8
        .value_kind:     global_buffer
      - .offset:         24
        .size:           32
        .value_kind:     by_value
      - .address_space:  global
        .offset:         56
        .size:           8
        .value_kind:     global_buffer
      - .offset:         64
        .size:           4
        .value_kind:     by_value
      - .offset:         68
        .size:           12
        .value_kind:     by_value
      - .offset:         80
        .size:           4
        .value_kind:     by_value
      - .offset:         84
        .size:           4
        .value_kind:     by_value
      - .offset:         88
        .size:           4
        .value_kind:     by_value
      - .offset:         92
        .size:           12
        .value_kind:     by_value
      - .offset:         104
        .size:           4
        .value_kind:     by_value
      - .offset:         108
        .size:           4
        .value_kind:     by_value
      - .offset:         112
        .size:           4
        .value_kind:     by_value
      - .offset:         116
        .size:           12
        .value_kind:     by_value
      - .offset:         128
        .size:           4
        .value_kind:     by_value
      - .offset:         132
        .size:           4
        .value_kind:     by_value
      - .offset:         136
        .size:           4
        .value_kind:     by_value
      - .offset:         140
        .size:           4
        .value_kind:     by_value
    .group_segment_fixed_size: 0
    .kernarg_segment_align: 8
    .kernarg_segment_size: 144
    .language:       OpenCL C
    .language_version:
      - 2
      - 0
    .max_flat_workgroup_size: 1024
    .name:           _ZL13mul_mat_vec_fIffLi1ELi64ELb0ELb1EEvPKT_PKfPKi31ggml_cuda_mm_fusion_args_devicePfi15HIP_vector_typeIjLj3EEiiiSA_iiiSA_iiii
    .private_segment_fixed_size: 0
    .sgpr_count:     26
    .sgpr_spill_count: 0
    .symbol:         _ZL13mul_mat_vec_fIffLi1ELi64ELb0ELb1EEvPKT_PKfPKi31ggml_cuda_mm_fusion_args_devicePfi15HIP_vector_typeIjLj3EEiiiSA_iiiSA_iiii.kd
    .uniform_work_group_size: 1
    .uses_dynamic_stack: false
    .vgpr_count:     12
    .vgpr_spill_count: 0
    .wavefront_size: 32
    .workgroup_processor_mode: 1
  - .args:
      - .address_space:  global
        .offset:         0
        .size:           8
        .value_kind:     global_buffer
      - .address_space:  global
        .offset:         8
        .size:           8
        .value_kind:     global_buffer
      - .address_space:  global
        .offset:         16
        .size:           8
        .value_kind:     global_buffer
      - .offset:         24
        .size:           32
        .value_kind:     by_value
      - .address_space:  global
        .offset:         56
        .size:           8
        .value_kind:     global_buffer
      - .offset:         64
        .size:           4
        .value_kind:     by_value
      - .offset:         68
        .size:           12
        .value_kind:     by_value
      - .offset:         80
        .size:           4
        .value_kind:     by_value
      - .offset:         84
        .size:           4
        .value_kind:     by_value
      - .offset:         88
        .size:           4
        .value_kind:     by_value
      - .offset:         92
        .size:           12
        .value_kind:     by_value
      - .offset:         104
        .size:           4
        .value_kind:     by_value
      - .offset:         108
        .size:           4
        .value_kind:     by_value
      - .offset:         112
        .size:           4
        .value_kind:     by_value
      - .offset:         116
        .size:           12
        .value_kind:     by_value
      - .offset:         128
        .size:           4
        .value_kind:     by_value
      - .offset:         132
        .size:           4
        .value_kind:     by_value
      - .offset:         136
        .size:           4
        .value_kind:     by_value
      - .offset:         140
        .size:           4
        .value_kind:     by_value
    .group_segment_fixed_size: 0
    .kernarg_segment_align: 8
    .kernarg_segment_size: 144
    .language:       OpenCL C
    .language_version:
      - 2
      - 0
    .max_flat_workgroup_size: 1024
    .name:           _ZL13mul_mat_vec_fIffLi1ELi96ELb1ELb1EEvPKT_PKfPKi31ggml_cuda_mm_fusion_args_devicePfi15HIP_vector_typeIjLj3EEiiiSA_iiiSA_iiii
    .private_segment_fixed_size: 0
    .sgpr_count:     42
    .sgpr_spill_count: 0
    .symbol:         _ZL13mul_mat_vec_fIffLi1ELi96ELb1ELb1EEvPKT_PKfPKi31ggml_cuda_mm_fusion_args_devicePfi15HIP_vector_typeIjLj3EEiiiSA_iiiSA_iiii.kd
    .uniform_work_group_size: 1
    .uses_dynamic_stack: false
    .vgpr_count:     17
    .vgpr_spill_count: 0
    .wavefront_size: 32
    .workgroup_processor_mode: 1
  - .args:
      - .address_space:  global
        .offset:         0
        .size:           8
        .value_kind:     global_buffer
      - .address_space:  global
        .offset:         8
        .size:           8
        .value_kind:     global_buffer
      - .address_space:  global
        .offset:         16
        .size:           8
        .value_kind:     global_buffer
      - .offset:         24
        .size:           32
        .value_kind:     by_value
      - .address_space:  global
        .offset:         56
        .size:           8
        .value_kind:     global_buffer
      - .offset:         64
        .size:           4
        .value_kind:     by_value
      - .offset:         68
        .size:           12
        .value_kind:     by_value
      - .offset:         80
        .size:           4
        .value_kind:     by_value
      - .offset:         84
        .size:           4
        .value_kind:     by_value
      - .offset:         88
        .size:           4
        .value_kind:     by_value
      - .offset:         92
        .size:           12
        .value_kind:     by_value
      - .offset:         104
        .size:           4
        .value_kind:     by_value
      - .offset:         108
        .size:           4
        .value_kind:     by_value
      - .offset:         112
        .size:           4
        .value_kind:     by_value
      - .offset:         116
        .size:           12
        .value_kind:     by_value
      - .offset:         128
        .size:           4
        .value_kind:     by_value
      - .offset:         132
        .size:           4
        .value_kind:     by_value
      - .offset:         136
        .size:           4
        .value_kind:     by_value
      - .offset:         140
        .size:           4
        .value_kind:     by_value
    .group_segment_fixed_size: 0
    .kernarg_segment_align: 8
    .kernarg_segment_size: 144
    .language:       OpenCL C
    .language_version:
      - 2
      - 0
    .max_flat_workgroup_size: 1024
    .name:           _ZL13mul_mat_vec_fIffLi1ELi96ELb0ELb1EEvPKT_PKfPKi31ggml_cuda_mm_fusion_args_devicePfi15HIP_vector_typeIjLj3EEiiiSA_iiiSA_iiii
    .private_segment_fixed_size: 0
    .sgpr_count:     26
    .sgpr_spill_count: 0
    .symbol:         _ZL13mul_mat_vec_fIffLi1ELi96ELb0ELb1EEvPKT_PKfPKi31ggml_cuda_mm_fusion_args_devicePfi15HIP_vector_typeIjLj3EEiiiSA_iiiSA_iiii.kd
    .uniform_work_group_size: 1
    .uses_dynamic_stack: false
    .vgpr_count:     12
    .vgpr_spill_count: 0
    .wavefront_size: 32
    .workgroup_processor_mode: 1
  - .args:
      - .address_space:  global
        .offset:         0
        .size:           8
        .value_kind:     global_buffer
      - .address_space:  global
        .offset:         8
        .size:           8
        .value_kind:     global_buffer
      - .address_space:  global
        .offset:         16
        .size:           8
        .value_kind:     global_buffer
      - .offset:         24
        .size:           32
        .value_kind:     by_value
      - .address_space:  global
        .offset:         56
        .size:           8
        .value_kind:     global_buffer
      - .offset:         64
        .size:           4
        .value_kind:     by_value
      - .offset:         68
        .size:           12
        .value_kind:     by_value
      - .offset:         80
        .size:           4
        .value_kind:     by_value
      - .offset:         84
        .size:           4
        .value_kind:     by_value
      - .offset:         88
        .size:           4
        .value_kind:     by_value
      - .offset:         92
        .size:           12
        .value_kind:     by_value
      - .offset:         104
        .size:           4
        .value_kind:     by_value
      - .offset:         108
        .size:           4
        .value_kind:     by_value
      - .offset:         112
        .size:           4
        .value_kind:     by_value
      - .offset:         116
        .size:           12
        .value_kind:     by_value
      - .offset:         128
        .size:           4
        .value_kind:     by_value
      - .offset:         132
        .size:           4
        .value_kind:     by_value
      - .offset:         136
        .size:           4
        .value_kind:     by_value
      - .offset:         140
        .size:           4
        .value_kind:     by_value
    .group_segment_fixed_size: 0
    .kernarg_segment_align: 8
    .kernarg_segment_size: 144
    .language:       OpenCL C
    .language_version:
      - 2
      - 0
    .max_flat_workgroup_size: 1024
    .name:           _ZL13mul_mat_vec_fIffLi1ELi128ELb1ELb1EEvPKT_PKfPKi31ggml_cuda_mm_fusion_args_devicePfi15HIP_vector_typeIjLj3EEiiiSA_iiiSA_iiii
    .private_segment_fixed_size: 0
    .sgpr_count:     42
    .sgpr_spill_count: 0
    .symbol:         _ZL13mul_mat_vec_fIffLi1ELi128ELb1ELb1EEvPKT_PKfPKi31ggml_cuda_mm_fusion_args_devicePfi15HIP_vector_typeIjLj3EEiiiSA_iiiSA_iiii.kd
    .uniform_work_group_size: 1
    .uses_dynamic_stack: false
    .vgpr_count:     17
    .vgpr_spill_count: 0
    .wavefront_size: 32
    .workgroup_processor_mode: 1
  - .args:
      - .address_space:  global
        .offset:         0
        .size:           8
        .value_kind:     global_buffer
      - .address_space:  global
        .offset:         8
        .size:           8
        .value_kind:     global_buffer
      - .address_space:  global
        .offset:         16
        .size:           8
        .value_kind:     global_buffer
      - .offset:         24
        .size:           32
        .value_kind:     by_value
      - .address_space:  global
        .offset:         56
        .size:           8
        .value_kind:     global_buffer
      - .offset:         64
        .size:           4
        .value_kind:     by_value
      - .offset:         68
        .size:           12
        .value_kind:     by_value
      - .offset:         80
        .size:           4
        .value_kind:     by_value
      - .offset:         84
        .size:           4
        .value_kind:     by_value
      - .offset:         88
        .size:           4
        .value_kind:     by_value
      - .offset:         92
        .size:           12
        .value_kind:     by_value
      - .offset:         104
        .size:           4
        .value_kind:     by_value
      - .offset:         108
        .size:           4
        .value_kind:     by_value
      - .offset:         112
        .size:           4
        .value_kind:     by_value
      - .offset:         116
        .size:           12
        .value_kind:     by_value
      - .offset:         128
        .size:           4
        .value_kind:     by_value
      - .offset:         132
        .size:           4
        .value_kind:     by_value
      - .offset:         136
        .size:           4
        .value_kind:     by_value
      - .offset:         140
        .size:           4
        .value_kind:     by_value
    .group_segment_fixed_size: 0
    .kernarg_segment_align: 8
    .kernarg_segment_size: 144
    .language:       OpenCL C
    .language_version:
      - 2
      - 0
    .max_flat_workgroup_size: 1024
    .name:           _ZL13mul_mat_vec_fIffLi1ELi128ELb0ELb1EEvPKT_PKfPKi31ggml_cuda_mm_fusion_args_devicePfi15HIP_vector_typeIjLj3EEiiiSA_iiiSA_iiii
    .private_segment_fixed_size: 0
    .sgpr_count:     26
    .sgpr_spill_count: 0
    .symbol:         _ZL13mul_mat_vec_fIffLi1ELi128ELb0ELb1EEvPKT_PKfPKi31ggml_cuda_mm_fusion_args_devicePfi15HIP_vector_typeIjLj3EEiiiSA_iiiSA_iiii.kd
    .uniform_work_group_size: 1
    .uses_dynamic_stack: false
    .vgpr_count:     12
    .vgpr_spill_count: 0
    .wavefront_size: 32
    .workgroup_processor_mode: 1
  - .args:
      - .address_space:  global
        .offset:         0
        .size:           8
        .value_kind:     global_buffer
      - .address_space:  global
        .offset:         8
        .size:           8
        .value_kind:     global_buffer
      - .address_space:  global
        .offset:         16
        .size:           8
        .value_kind:     global_buffer
      - .offset:         24
        .size:           32
        .value_kind:     by_value
      - .address_space:  global
        .offset:         56
        .size:           8
        .value_kind:     global_buffer
      - .offset:         64
        .size:           4
        .value_kind:     by_value
      - .offset:         68
        .size:           12
        .value_kind:     by_value
      - .offset:         80
        .size:           4
        .value_kind:     by_value
      - .offset:         84
        .size:           4
        .value_kind:     by_value
      - .offset:         88
        .size:           4
        .value_kind:     by_value
      - .offset:         92
        .size:           12
        .value_kind:     by_value
      - .offset:         104
        .size:           4
        .value_kind:     by_value
      - .offset:         108
        .size:           4
        .value_kind:     by_value
      - .offset:         112
        .size:           4
        .value_kind:     by_value
      - .offset:         116
        .size:           12
        .value_kind:     by_value
      - .offset:         128
        .size:           4
        .value_kind:     by_value
      - .offset:         132
        .size:           4
        .value_kind:     by_value
      - .offset:         136
        .size:           4
        .value_kind:     by_value
      - .offset:         140
        .size:           4
        .value_kind:     by_value
    .group_segment_fixed_size: 0
    .kernarg_segment_align: 8
    .kernarg_segment_size: 144
    .language:       OpenCL C
    .language_version:
      - 2
      - 0
    .max_flat_workgroup_size: 1024
    .name:           _ZL13mul_mat_vec_fIffLi1ELi160ELb1ELb1EEvPKT_PKfPKi31ggml_cuda_mm_fusion_args_devicePfi15HIP_vector_typeIjLj3EEiiiSA_iiiSA_iiii
    .private_segment_fixed_size: 0
    .sgpr_count:     42
    .sgpr_spill_count: 0
    .symbol:         _ZL13mul_mat_vec_fIffLi1ELi160ELb1ELb1EEvPKT_PKfPKi31ggml_cuda_mm_fusion_args_devicePfi15HIP_vector_typeIjLj3EEiiiSA_iiiSA_iiii.kd
    .uniform_work_group_size: 1
    .uses_dynamic_stack: false
    .vgpr_count:     17
    .vgpr_spill_count: 0
    .wavefront_size: 32
    .workgroup_processor_mode: 1
  - .args:
      - .address_space:  global
        .offset:         0
        .size:           8
        .value_kind:     global_buffer
      - .address_space:  global
        .offset:         8
        .size:           8
        .value_kind:     global_buffer
      - .address_space:  global
        .offset:         16
        .size:           8
        .value_kind:     global_buffer
      - .offset:         24
        .size:           32
        .value_kind:     by_value
      - .address_space:  global
        .offset:         56
        .size:           8
        .value_kind:     global_buffer
      - .offset:         64
        .size:           4
        .value_kind:     by_value
      - .offset:         68
        .size:           12
        .value_kind:     by_value
      - .offset:         80
        .size:           4
        .value_kind:     by_value
      - .offset:         84
        .size:           4
        .value_kind:     by_value
      - .offset:         88
        .size:           4
        .value_kind:     by_value
      - .offset:         92
        .size:           12
        .value_kind:     by_value
      - .offset:         104
        .size:           4
        .value_kind:     by_value
      - .offset:         108
        .size:           4
        .value_kind:     by_value
      - .offset:         112
        .size:           4
        .value_kind:     by_value
      - .offset:         116
        .size:           12
        .value_kind:     by_value
      - .offset:         128
        .size:           4
        .value_kind:     by_value
      - .offset:         132
        .size:           4
        .value_kind:     by_value
      - .offset:         136
        .size:           4
        .value_kind:     by_value
      - .offset:         140
        .size:           4
        .value_kind:     by_value
    .group_segment_fixed_size: 0
    .kernarg_segment_align: 8
    .kernarg_segment_size: 144
    .language:       OpenCL C
    .language_version:
      - 2
      - 0
    .max_flat_workgroup_size: 1024
    .name:           _ZL13mul_mat_vec_fIffLi1ELi160ELb0ELb1EEvPKT_PKfPKi31ggml_cuda_mm_fusion_args_devicePfi15HIP_vector_typeIjLj3EEiiiSA_iiiSA_iiii
    .private_segment_fixed_size: 0
    .sgpr_count:     26
    .sgpr_spill_count: 0
    .symbol:         _ZL13mul_mat_vec_fIffLi1ELi160ELb0ELb1EEvPKT_PKfPKi31ggml_cuda_mm_fusion_args_devicePfi15HIP_vector_typeIjLj3EEiiiSA_iiiSA_iiii.kd
    .uniform_work_group_size: 1
    .uses_dynamic_stack: false
    .vgpr_count:     12
    .vgpr_spill_count: 0
    .wavefront_size: 32
    .workgroup_processor_mode: 1
  - .args:
      - .address_space:  global
        .offset:         0
        .size:           8
        .value_kind:     global_buffer
      - .address_space:  global
        .offset:         8
        .size:           8
        .value_kind:     global_buffer
      - .address_space:  global
        .offset:         16
        .size:           8
        .value_kind:     global_buffer
      - .offset:         24
        .size:           32
        .value_kind:     by_value
      - .address_space:  global
        .offset:         56
        .size:           8
        .value_kind:     global_buffer
      - .offset:         64
        .size:           4
        .value_kind:     by_value
      - .offset:         68
        .size:           12
        .value_kind:     by_value
      - .offset:         80
        .size:           4
        .value_kind:     by_value
      - .offset:         84
        .size:           4
        .value_kind:     by_value
      - .offset:         88
        .size:           4
        .value_kind:     by_value
      - .offset:         92
        .size:           12
        .value_kind:     by_value
      - .offset:         104
        .size:           4
        .value_kind:     by_value
      - .offset:         108
        .size:           4
        .value_kind:     by_value
      - .offset:         112
        .size:           4
        .value_kind:     by_value
      - .offset:         116
        .size:           12
        .value_kind:     by_value
      - .offset:         128
        .size:           4
        .value_kind:     by_value
      - .offset:         132
        .size:           4
        .value_kind:     by_value
      - .offset:         136
        .size:           4
        .value_kind:     by_value
      - .offset:         140
        .size:           4
        .value_kind:     by_value
    .group_segment_fixed_size: 0
    .kernarg_segment_align: 8
    .kernarg_segment_size: 144
    .language:       OpenCL C
    .language_version:
      - 2
      - 0
    .max_flat_workgroup_size: 1024
    .name:           _ZL13mul_mat_vec_fIffLi1ELi192ELb1ELb1EEvPKT_PKfPKi31ggml_cuda_mm_fusion_args_devicePfi15HIP_vector_typeIjLj3EEiiiSA_iiiSA_iiii
    .private_segment_fixed_size: 0
    .sgpr_count:     42
    .sgpr_spill_count: 0
    .symbol:         _ZL13mul_mat_vec_fIffLi1ELi192ELb1ELb1EEvPKT_PKfPKi31ggml_cuda_mm_fusion_args_devicePfi15HIP_vector_typeIjLj3EEiiiSA_iiiSA_iiii.kd
    .uniform_work_group_size: 1
    .uses_dynamic_stack: false
    .vgpr_count:     17
    .vgpr_spill_count: 0
    .wavefront_size: 32
    .workgroup_processor_mode: 1
  - .args:
      - .address_space:  global
        .offset:         0
        .size:           8
        .value_kind:     global_buffer
      - .address_space:  global
        .offset:         8
        .size:           8
        .value_kind:     global_buffer
      - .address_space:  global
        .offset:         16
        .size:           8
        .value_kind:     global_buffer
      - .offset:         24
        .size:           32
        .value_kind:     by_value
      - .address_space:  global
        .offset:         56
        .size:           8
        .value_kind:     global_buffer
      - .offset:         64
        .size:           4
        .value_kind:     by_value
      - .offset:         68
        .size:           12
        .value_kind:     by_value
      - .offset:         80
        .size:           4
        .value_kind:     by_value
      - .offset:         84
        .size:           4
        .value_kind:     by_value
      - .offset:         88
        .size:           4
        .value_kind:     by_value
      - .offset:         92
        .size:           12
        .value_kind:     by_value
      - .offset:         104
        .size:           4
        .value_kind:     by_value
      - .offset:         108
        .size:           4
        .value_kind:     by_value
      - .offset:         112
        .size:           4
        .value_kind:     by_value
      - .offset:         116
        .size:           12
        .value_kind:     by_value
      - .offset:         128
        .size:           4
        .value_kind:     by_value
      - .offset:         132
        .size:           4
        .value_kind:     by_value
      - .offset:         136
        .size:           4
        .value_kind:     by_value
      - .offset:         140
        .size:           4
        .value_kind:     by_value
    .group_segment_fixed_size: 0
    .kernarg_segment_align: 8
    .kernarg_segment_size: 144
    .language:       OpenCL C
    .language_version:
      - 2
      - 0
    .max_flat_workgroup_size: 1024
    .name:           _ZL13mul_mat_vec_fIffLi1ELi192ELb0ELb1EEvPKT_PKfPKi31ggml_cuda_mm_fusion_args_devicePfi15HIP_vector_typeIjLj3EEiiiSA_iiiSA_iiii
    .private_segment_fixed_size: 0
    .sgpr_count:     26
    .sgpr_spill_count: 0
    .symbol:         _ZL13mul_mat_vec_fIffLi1ELi192ELb0ELb1EEvPKT_PKfPKi31ggml_cuda_mm_fusion_args_devicePfi15HIP_vector_typeIjLj3EEiiiSA_iiiSA_iiii.kd
    .uniform_work_group_size: 1
    .uses_dynamic_stack: false
    .vgpr_count:     12
    .vgpr_spill_count: 0
    .wavefront_size: 32
    .workgroup_processor_mode: 1
  - .args:
      - .address_space:  global
        .offset:         0
        .size:           8
        .value_kind:     global_buffer
      - .address_space:  global
        .offset:         8
        .size:           8
        .value_kind:     global_buffer
      - .address_space:  global
        .offset:         16
        .size:           8
        .value_kind:     global_buffer
      - .offset:         24
        .size:           32
        .value_kind:     by_value
      - .address_space:  global
        .offset:         56
        .size:           8
        .value_kind:     global_buffer
      - .offset:         64
        .size:           4
        .value_kind:     by_value
      - .offset:         68
        .size:           12
        .value_kind:     by_value
      - .offset:         80
        .size:           4
        .value_kind:     by_value
      - .offset:         84
        .size:           4
        .value_kind:     by_value
      - .offset:         88
        .size:           4
        .value_kind:     by_value
      - .offset:         92
        .size:           12
        .value_kind:     by_value
      - .offset:         104
        .size:           4
        .value_kind:     by_value
      - .offset:         108
        .size:           4
        .value_kind:     by_value
      - .offset:         112
        .size:           4
        .value_kind:     by_value
      - .offset:         116
        .size:           12
        .value_kind:     by_value
      - .offset:         128
        .size:           4
        .value_kind:     by_value
      - .offset:         132
        .size:           4
        .value_kind:     by_value
      - .offset:         136
        .size:           4
        .value_kind:     by_value
      - .offset:         140
        .size:           4
        .value_kind:     by_value
    .group_segment_fixed_size: 0
    .kernarg_segment_align: 8
    .kernarg_segment_size: 144
    .language:       OpenCL C
    .language_version:
      - 2
      - 0
    .max_flat_workgroup_size: 1024
    .name:           _ZL13mul_mat_vec_fIffLi1ELi224ELb1ELb1EEvPKT_PKfPKi31ggml_cuda_mm_fusion_args_devicePfi15HIP_vector_typeIjLj3EEiiiSA_iiiSA_iiii
    .private_segment_fixed_size: 0
    .sgpr_count:     42
    .sgpr_spill_count: 0
    .symbol:         _ZL13mul_mat_vec_fIffLi1ELi224ELb1ELb1EEvPKT_PKfPKi31ggml_cuda_mm_fusion_args_devicePfi15HIP_vector_typeIjLj3EEiiiSA_iiiSA_iiii.kd
    .uniform_work_group_size: 1
    .uses_dynamic_stack: false
    .vgpr_count:     17
    .vgpr_spill_count: 0
    .wavefront_size: 32
    .workgroup_processor_mode: 1
  - .args:
      - .address_space:  global
        .offset:         0
        .size:           8
        .value_kind:     global_buffer
      - .address_space:  global
        .offset:         8
        .size:           8
        .value_kind:     global_buffer
      - .address_space:  global
        .offset:         16
        .size:           8
        .value_kind:     global_buffer
      - .offset:         24
        .size:           32
        .value_kind:     by_value
      - .address_space:  global
        .offset:         56
        .size:           8
        .value_kind:     global_buffer
      - .offset:         64
        .size:           4
        .value_kind:     by_value
      - .offset:         68
        .size:           12
        .value_kind:     by_value
      - .offset:         80
        .size:           4
        .value_kind:     by_value
      - .offset:         84
        .size:           4
        .value_kind:     by_value
      - .offset:         88
        .size:           4
        .value_kind:     by_value
      - .offset:         92
        .size:           12
        .value_kind:     by_value
      - .offset:         104
        .size:           4
        .value_kind:     by_value
      - .offset:         108
        .size:           4
        .value_kind:     by_value
      - .offset:         112
        .size:           4
        .value_kind:     by_value
      - .offset:         116
        .size:           12
        .value_kind:     by_value
      - .offset:         128
        .size:           4
        .value_kind:     by_value
      - .offset:         132
        .size:           4
        .value_kind:     by_value
      - .offset:         136
        .size:           4
        .value_kind:     by_value
      - .offset:         140
        .size:           4
        .value_kind:     by_value
    .group_segment_fixed_size: 0
    .kernarg_segment_align: 8
    .kernarg_segment_size: 144
    .language:       OpenCL C
    .language_version:
      - 2
      - 0
    .max_flat_workgroup_size: 1024
    .name:           _ZL13mul_mat_vec_fIffLi1ELi224ELb0ELb1EEvPKT_PKfPKi31ggml_cuda_mm_fusion_args_devicePfi15HIP_vector_typeIjLj3EEiiiSA_iiiSA_iiii
    .private_segment_fixed_size: 0
    .sgpr_count:     26
    .sgpr_spill_count: 0
    .symbol:         _ZL13mul_mat_vec_fIffLi1ELi224ELb0ELb1EEvPKT_PKfPKi31ggml_cuda_mm_fusion_args_devicePfi15HIP_vector_typeIjLj3EEiiiSA_iiiSA_iiii.kd
    .uniform_work_group_size: 1
    .uses_dynamic_stack: false
    .vgpr_count:     12
    .vgpr_spill_count: 0
    .wavefront_size: 32
    .workgroup_processor_mode: 1
  - .args:
      - .address_space:  global
        .offset:         0
        .size:           8
        .value_kind:     global_buffer
      - .address_space:  global
        .offset:         8
        .size:           8
        .value_kind:     global_buffer
      - .address_space:  global
        .offset:         16
        .size:           8
        .value_kind:     global_buffer
      - .offset:         24
        .size:           32
        .value_kind:     by_value
      - .address_space:  global
        .offset:         56
        .size:           8
        .value_kind:     global_buffer
      - .offset:         64
        .size:           4
        .value_kind:     by_value
      - .offset:         68
        .size:           12
        .value_kind:     by_value
      - .offset:         80
        .size:           4
        .value_kind:     by_value
      - .offset:         84
        .size:           4
        .value_kind:     by_value
      - .offset:         88
        .size:           4
        .value_kind:     by_value
      - .offset:         92
        .size:           12
        .value_kind:     by_value
      - .offset:         104
        .size:           4
        .value_kind:     by_value
      - .offset:         108
        .size:           4
        .value_kind:     by_value
      - .offset:         112
        .size:           4
        .value_kind:     by_value
      - .offset:         116
        .size:           12
        .value_kind:     by_value
      - .offset:         128
        .size:           4
        .value_kind:     by_value
      - .offset:         132
        .size:           4
        .value_kind:     by_value
      - .offset:         136
        .size:           4
        .value_kind:     by_value
      - .offset:         140
        .size:           4
        .value_kind:     by_value
    .group_segment_fixed_size: 0
    .kernarg_segment_align: 8
    .kernarg_segment_size: 144
    .language:       OpenCL C
    .language_version:
      - 2
      - 0
    .max_flat_workgroup_size: 1024
    .name:           _ZL13mul_mat_vec_fIffLi1ELi256ELb1ELb1EEvPKT_PKfPKi31ggml_cuda_mm_fusion_args_devicePfi15HIP_vector_typeIjLj3EEiiiSA_iiiSA_iiii
    .private_segment_fixed_size: 0
    .sgpr_count:     42
    .sgpr_spill_count: 0
    .symbol:         _ZL13mul_mat_vec_fIffLi1ELi256ELb1ELb1EEvPKT_PKfPKi31ggml_cuda_mm_fusion_args_devicePfi15HIP_vector_typeIjLj3EEiiiSA_iiiSA_iiii.kd
    .uniform_work_group_size: 1
    .uses_dynamic_stack: false
    .vgpr_count:     17
    .vgpr_spill_count: 0
    .wavefront_size: 32
    .workgroup_processor_mode: 1
  - .args:
      - .address_space:  global
        .offset:         0
        .size:           8
        .value_kind:     global_buffer
      - .address_space:  global
        .offset:         8
        .size:           8
        .value_kind:     global_buffer
      - .address_space:  global
        .offset:         16
        .size:           8
        .value_kind:     global_buffer
      - .offset:         24
        .size:           32
        .value_kind:     by_value
      - .address_space:  global
        .offset:         56
        .size:           8
        .value_kind:     global_buffer
      - .offset:         64
        .size:           4
        .value_kind:     by_value
      - .offset:         68
        .size:           12
        .value_kind:     by_value
      - .offset:         80
        .size:           4
        .value_kind:     by_value
      - .offset:         84
        .size:           4
        .value_kind:     by_value
      - .offset:         88
        .size:           4
        .value_kind:     by_value
      - .offset:         92
        .size:           12
        .value_kind:     by_value
      - .offset:         104
        .size:           4
        .value_kind:     by_value
      - .offset:         108
        .size:           4
        .value_kind:     by_value
      - .offset:         112
        .size:           4
        .value_kind:     by_value
      - .offset:         116
        .size:           12
        .value_kind:     by_value
      - .offset:         128
        .size:           4
        .value_kind:     by_value
      - .offset:         132
        .size:           4
        .value_kind:     by_value
      - .offset:         136
        .size:           4
        .value_kind:     by_value
      - .offset:         140
        .size:           4
        .value_kind:     by_value
    .group_segment_fixed_size: 0
    .kernarg_segment_align: 8
    .kernarg_segment_size: 144
    .language:       OpenCL C
    .language_version:
      - 2
      - 0
    .max_flat_workgroup_size: 1024
    .name:           _ZL13mul_mat_vec_fIffLi1ELi256ELb0ELb1EEvPKT_PKfPKi31ggml_cuda_mm_fusion_args_devicePfi15HIP_vector_typeIjLj3EEiiiSA_iiiSA_iiii
    .private_segment_fixed_size: 0
    .sgpr_count:     26
    .sgpr_spill_count: 0
    .symbol:         _ZL13mul_mat_vec_fIffLi1ELi256ELb0ELb1EEvPKT_PKfPKi31ggml_cuda_mm_fusion_args_devicePfi15HIP_vector_typeIjLj3EEiiiSA_iiiSA_iiii.kd
    .uniform_work_group_size: 1
    .uses_dynamic_stack: false
    .vgpr_count:     12
    .vgpr_spill_count: 0
    .wavefront_size: 32
    .workgroup_processor_mode: 1
  - .args:
      - .address_space:  global
        .offset:         0
        .size:           8
        .value_kind:     global_buffer
      - .address_space:  global
        .offset:         8
        .size:           8
        .value_kind:     global_buffer
      - .address_space:  global
        .offset:         16
        .size:           8
        .value_kind:     global_buffer
      - .offset:         24
        .size:           32
        .value_kind:     by_value
      - .address_space:  global
        .offset:         56
        .size:           8
        .value_kind:     global_buffer
      - .offset:         64
        .size:           4
        .value_kind:     by_value
      - .offset:         68
        .size:           12
        .value_kind:     by_value
      - .offset:         80
        .size:           4
        .value_kind:     by_value
      - .offset:         84
        .size:           4
        .value_kind:     by_value
      - .offset:         88
        .size:           4
        .value_kind:     by_value
      - .offset:         92
        .size:           12
        .value_kind:     by_value
      - .offset:         104
        .size:           4
        .value_kind:     by_value
      - .offset:         108
        .size:           4
        .value_kind:     by_value
      - .offset:         112
        .size:           4
        .value_kind:     by_value
      - .offset:         116
        .size:           12
        .value_kind:     by_value
      - .offset:         128
        .size:           4
        .value_kind:     by_value
      - .offset:         132
        .size:           4
        .value_kind:     by_value
      - .offset:         136
        .size:           4
        .value_kind:     by_value
      - .offset:         140
        .size:           4
        .value_kind:     by_value
    .group_segment_fixed_size: 0
    .kernarg_segment_align: 8
    .kernarg_segment_size: 144
    .language:       OpenCL C
    .language_version:
      - 2
      - 0
    .max_flat_workgroup_size: 1024
    .name:           _ZL13mul_mat_vec_fIffLi1ELi32ELb1ELb0EEvPKT_PKfPKi31ggml_cuda_mm_fusion_args_devicePfi15HIP_vector_typeIjLj3EEiiiSA_iiiSA_iiii
    .private_segment_fixed_size: 0
    .sgpr_count:     42
    .sgpr_spill_count: 0
    .symbol:         _ZL13mul_mat_vec_fIffLi1ELi32ELb1ELb0EEvPKT_PKfPKi31ggml_cuda_mm_fusion_args_devicePfi15HIP_vector_typeIjLj3EEiiiSA_iiiSA_iiii.kd
    .uniform_work_group_size: 1
    .uses_dynamic_stack: false
    .vgpr_count:     16
    .vgpr_spill_count: 0
    .wavefront_size: 32
    .workgroup_processor_mode: 1
  - .args:
      - .address_space:  global
        .offset:         0
        .size:           8
        .value_kind:     global_buffer
      - .address_space:  global
        .offset:         8
        .size:           8
        .value_kind:     global_buffer
      - .address_space:  global
        .offset:         16
        .size:           8
        .value_kind:     global_buffer
      - .offset:         24
        .size:           32
        .value_kind:     by_value
      - .address_space:  global
        .offset:         56
        .size:           8
        .value_kind:     global_buffer
      - .offset:         64
        .size:           4
        .value_kind:     by_value
      - .offset:         68
        .size:           12
        .value_kind:     by_value
      - .offset:         80
        .size:           4
        .value_kind:     by_value
      - .offset:         84
        .size:           4
        .value_kind:     by_value
      - .offset:         88
        .size:           4
        .value_kind:     by_value
      - .offset:         92
        .size:           12
        .value_kind:     by_value
      - .offset:         104
        .size:           4
        .value_kind:     by_value
      - .offset:         108
        .size:           4
        .value_kind:     by_value
      - .offset:         112
        .size:           4
        .value_kind:     by_value
      - .offset:         116
        .size:           12
        .value_kind:     by_value
      - .offset:         128
        .size:           4
        .value_kind:     by_value
      - .offset:         132
        .size:           4
        .value_kind:     by_value
      - .offset:         136
        .size:           4
        .value_kind:     by_value
      - .offset:         140
        .size:           4
        .value_kind:     by_value
    .group_segment_fixed_size: 0
    .kernarg_segment_align: 8
    .kernarg_segment_size: 144
    .language:       OpenCL C
    .language_version:
      - 2
      - 0
    .max_flat_workgroup_size: 1024
    .name:           _ZL13mul_mat_vec_fIffLi1ELi32ELb0ELb0EEvPKT_PKfPKi31ggml_cuda_mm_fusion_args_devicePfi15HIP_vector_typeIjLj3EEiiiSA_iiiSA_iiii
    .private_segment_fixed_size: 0
    .sgpr_count:     30
    .sgpr_spill_count: 0
    .symbol:         _ZL13mul_mat_vec_fIffLi1ELi32ELb0ELb0EEvPKT_PKfPKi31ggml_cuda_mm_fusion_args_devicePfi15HIP_vector_typeIjLj3EEiiiSA_iiiSA_iiii.kd
    .uniform_work_group_size: 1
    .uses_dynamic_stack: false
    .vgpr_count:     11
    .vgpr_spill_count: 0
    .wavefront_size: 32
    .workgroup_processor_mode: 1
  - .args:
      - .address_space:  global
        .offset:         0
        .size:           8
        .value_kind:     global_buffer
      - .address_space:  global
        .offset:         8
        .size:           8
        .value_kind:     global_buffer
      - .address_space:  global
        .offset:         16
        .size:           8
        .value_kind:     global_buffer
      - .offset:         24
        .size:           32
        .value_kind:     by_value
      - .address_space:  global
        .offset:         56
        .size:           8
        .value_kind:     global_buffer
      - .offset:         64
        .size:           4
        .value_kind:     by_value
      - .offset:         68
        .size:           12
        .value_kind:     by_value
      - .offset:         80
        .size:           4
        .value_kind:     by_value
      - .offset:         84
        .size:           4
        .value_kind:     by_value
      - .offset:         88
        .size:           4
        .value_kind:     by_value
      - .offset:         92
        .size:           12
        .value_kind:     by_value
      - .offset:         104
        .size:           4
        .value_kind:     by_value
      - .offset:         108
        .size:           4
        .value_kind:     by_value
      - .offset:         112
        .size:           4
        .value_kind:     by_value
      - .offset:         116
        .size:           12
        .value_kind:     by_value
      - .offset:         128
        .size:           4
        .value_kind:     by_value
      - .offset:         132
        .size:           4
        .value_kind:     by_value
      - .offset:         136
        .size:           4
        .value_kind:     by_value
      - .offset:         140
        .size:           4
        .value_kind:     by_value
    .group_segment_fixed_size: 0
    .kernarg_segment_align: 8
    .kernarg_segment_size: 144
    .language:       OpenCL C
    .language_version:
      - 2
      - 0
    .max_flat_workgroup_size: 1024
    .name:           _ZL13mul_mat_vec_fIffLi1ELi64ELb1ELb0EEvPKT_PKfPKi31ggml_cuda_mm_fusion_args_devicePfi15HIP_vector_typeIjLj3EEiiiSA_iiiSA_iiii
    .private_segment_fixed_size: 0
    .sgpr_count:     42
    .sgpr_spill_count: 0
    .symbol:         _ZL13mul_mat_vec_fIffLi1ELi64ELb1ELb0EEvPKT_PKfPKi31ggml_cuda_mm_fusion_args_devicePfi15HIP_vector_typeIjLj3EEiiiSA_iiiSA_iiii.kd
    .uniform_work_group_size: 1
    .uses_dynamic_stack: false
    .vgpr_count:     17
    .vgpr_spill_count: 0
    .wavefront_size: 32
    .workgroup_processor_mode: 1
  - .args:
      - .address_space:  global
        .offset:         0
        .size:           8
        .value_kind:     global_buffer
      - .address_space:  global
        .offset:         8
        .size:           8
        .value_kind:     global_buffer
      - .address_space:  global
        .offset:         16
        .size:           8
        .value_kind:     global_buffer
      - .offset:         24
        .size:           32
        .value_kind:     by_value
      - .address_space:  global
        .offset:         56
        .size:           8
        .value_kind:     global_buffer
      - .offset:         64
        .size:           4
        .value_kind:     by_value
      - .offset:         68
        .size:           12
        .value_kind:     by_value
      - .offset:         80
        .size:           4
        .value_kind:     by_value
      - .offset:         84
        .size:           4
        .value_kind:     by_value
      - .offset:         88
        .size:           4
        .value_kind:     by_value
      - .offset:         92
        .size:           12
        .value_kind:     by_value
      - .offset:         104
        .size:           4
        .value_kind:     by_value
      - .offset:         108
        .size:           4
        .value_kind:     by_value
      - .offset:         112
        .size:           4
        .value_kind:     by_value
      - .offset:         116
        .size:           12
        .value_kind:     by_value
      - .offset:         128
        .size:           4
        .value_kind:     by_value
      - .offset:         132
        .size:           4
        .value_kind:     by_value
      - .offset:         136
        .size:           4
        .value_kind:     by_value
      - .offset:         140
        .size:           4
        .value_kind:     by_value
    .group_segment_fixed_size: 0
    .kernarg_segment_align: 8
    .kernarg_segment_size: 144
    .language:       OpenCL C
    .language_version:
      - 2
      - 0
    .max_flat_workgroup_size: 1024
    .name:           _ZL13mul_mat_vec_fIffLi1ELi64ELb0ELb0EEvPKT_PKfPKi31ggml_cuda_mm_fusion_args_devicePfi15HIP_vector_typeIjLj3EEiiiSA_iiiSA_iiii
    .private_segment_fixed_size: 0
    .sgpr_count:     32
    .sgpr_spill_count: 0
    .symbol:         _ZL13mul_mat_vec_fIffLi1ELi64ELb0ELb0EEvPKT_PKfPKi31ggml_cuda_mm_fusion_args_devicePfi15HIP_vector_typeIjLj3EEiiiSA_iiiSA_iiii.kd
    .uniform_work_group_size: 1
    .uses_dynamic_stack: false
    .vgpr_count:     12
    .vgpr_spill_count: 0
    .wavefront_size: 32
    .workgroup_processor_mode: 1
  - .args:
      - .address_space:  global
        .offset:         0
        .size:           8
        .value_kind:     global_buffer
      - .address_space:  global
        .offset:         8
        .size:           8
        .value_kind:     global_buffer
      - .address_space:  global
        .offset:         16
        .size:           8
        .value_kind:     global_buffer
      - .offset:         24
        .size:           32
        .value_kind:     by_value
      - .address_space:  global
        .offset:         56
        .size:           8
        .value_kind:     global_buffer
      - .offset:         64
        .size:           4
        .value_kind:     by_value
      - .offset:         68
        .size:           12
        .value_kind:     by_value
      - .offset:         80
        .size:           4
        .value_kind:     by_value
      - .offset:         84
        .size:           4
        .value_kind:     by_value
      - .offset:         88
        .size:           4
        .value_kind:     by_value
      - .offset:         92
        .size:           12
        .value_kind:     by_value
      - .offset:         104
        .size:           4
        .value_kind:     by_value
      - .offset:         108
        .size:           4
        .value_kind:     by_value
      - .offset:         112
        .size:           4
        .value_kind:     by_value
      - .offset:         116
        .size:           12
        .value_kind:     by_value
      - .offset:         128
        .size:           4
        .value_kind:     by_value
      - .offset:         132
        .size:           4
        .value_kind:     by_value
      - .offset:         136
        .size:           4
        .value_kind:     by_value
      - .offset:         140
        .size:           4
        .value_kind:     by_value
    .group_segment_fixed_size: 0
    .kernarg_segment_align: 8
    .kernarg_segment_size: 144
    .language:       OpenCL C
    .language_version:
      - 2
      - 0
    .max_flat_workgroup_size: 1024
    .name:           _ZL13mul_mat_vec_fIffLi1ELi96ELb1ELb0EEvPKT_PKfPKi31ggml_cuda_mm_fusion_args_devicePfi15HIP_vector_typeIjLj3EEiiiSA_iiiSA_iiii
    .private_segment_fixed_size: 0
    .sgpr_count:     42
    .sgpr_spill_count: 0
    .symbol:         _ZL13mul_mat_vec_fIffLi1ELi96ELb1ELb0EEvPKT_PKfPKi31ggml_cuda_mm_fusion_args_devicePfi15HIP_vector_typeIjLj3EEiiiSA_iiiSA_iiii.kd
    .uniform_work_group_size: 1
    .uses_dynamic_stack: false
    .vgpr_count:     17
    .vgpr_spill_count: 0
    .wavefront_size: 32
    .workgroup_processor_mode: 1
  - .args:
      - .address_space:  global
        .offset:         0
        .size:           8
        .value_kind:     global_buffer
      - .address_space:  global
        .offset:         8
        .size:           8
        .value_kind:     global_buffer
      - .address_space:  global
        .offset:         16
        .size:           8
        .value_kind:     global_buffer
      - .offset:         24
        .size:           32
        .value_kind:     by_value
      - .address_space:  global
        .offset:         56
        .size:           8
        .value_kind:     global_buffer
      - .offset:         64
        .size:           4
        .value_kind:     by_value
      - .offset:         68
        .size:           12
        .value_kind:     by_value
      - .offset:         80
        .size:           4
        .value_kind:     by_value
      - .offset:         84
        .size:           4
        .value_kind:     by_value
      - .offset:         88
        .size:           4
        .value_kind:     by_value
      - .offset:         92
        .size:           12
        .value_kind:     by_value
      - .offset:         104
        .size:           4
        .value_kind:     by_value
      - .offset:         108
        .size:           4
        .value_kind:     by_value
      - .offset:         112
        .size:           4
        .value_kind:     by_value
      - .offset:         116
        .size:           12
        .value_kind:     by_value
      - .offset:         128
        .size:           4
        .value_kind:     by_value
      - .offset:         132
        .size:           4
        .value_kind:     by_value
      - .offset:         136
        .size:           4
        .value_kind:     by_value
      - .offset:         140
        .size:           4
        .value_kind:     by_value
    .group_segment_fixed_size: 0
    .kernarg_segment_align: 8
    .kernarg_segment_size: 144
    .language:       OpenCL C
    .language_version:
      - 2
      - 0
    .max_flat_workgroup_size: 1024
    .name:           _ZL13mul_mat_vec_fIffLi1ELi96ELb0ELb0EEvPKT_PKfPKi31ggml_cuda_mm_fusion_args_devicePfi15HIP_vector_typeIjLj3EEiiiSA_iiiSA_iiii
    .private_segment_fixed_size: 0
    .sgpr_count:     32
    .sgpr_spill_count: 0
    .symbol:         _ZL13mul_mat_vec_fIffLi1ELi96ELb0ELb0EEvPKT_PKfPKi31ggml_cuda_mm_fusion_args_devicePfi15HIP_vector_typeIjLj3EEiiiSA_iiiSA_iiii.kd
    .uniform_work_group_size: 1
    .uses_dynamic_stack: false
    .vgpr_count:     12
    .vgpr_spill_count: 0
    .wavefront_size: 32
    .workgroup_processor_mode: 1
  - .args:
      - .address_space:  global
        .offset:         0
        .size:           8
        .value_kind:     global_buffer
      - .address_space:  global
        .offset:         8
        .size:           8
        .value_kind:     global_buffer
      - .address_space:  global
        .offset:         16
        .size:           8
        .value_kind:     global_buffer
      - .offset:         24
        .size:           32
        .value_kind:     by_value
      - .address_space:  global
        .offset:         56
        .size:           8
        .value_kind:     global_buffer
      - .offset:         64
        .size:           4
        .value_kind:     by_value
      - .offset:         68
        .size:           12
        .value_kind:     by_value
      - .offset:         80
        .size:           4
        .value_kind:     by_value
      - .offset:         84
        .size:           4
        .value_kind:     by_value
      - .offset:         88
        .size:           4
        .value_kind:     by_value
      - .offset:         92
        .size:           12
        .value_kind:     by_value
      - .offset:         104
        .size:           4
        .value_kind:     by_value
      - .offset:         108
        .size:           4
        .value_kind:     by_value
      - .offset:         112
        .size:           4
        .value_kind:     by_value
      - .offset:         116
        .size:           12
        .value_kind:     by_value
      - .offset:         128
        .size:           4
        .value_kind:     by_value
      - .offset:         132
        .size:           4
        .value_kind:     by_value
      - .offset:         136
        .size:           4
        .value_kind:     by_value
      - .offset:         140
        .size:           4
        .value_kind:     by_value
    .group_segment_fixed_size: 0
    .kernarg_segment_align: 8
    .kernarg_segment_size: 144
    .language:       OpenCL C
    .language_version:
      - 2
      - 0
    .max_flat_workgroup_size: 1024
    .name:           _ZL13mul_mat_vec_fIffLi1ELi128ELb1ELb0EEvPKT_PKfPKi31ggml_cuda_mm_fusion_args_devicePfi15HIP_vector_typeIjLj3EEiiiSA_iiiSA_iiii
    .private_segment_fixed_size: 0
    .sgpr_count:     42
    .sgpr_spill_count: 0
    .symbol:         _ZL13mul_mat_vec_fIffLi1ELi128ELb1ELb0EEvPKT_PKfPKi31ggml_cuda_mm_fusion_args_devicePfi15HIP_vector_typeIjLj3EEiiiSA_iiiSA_iiii.kd
    .uniform_work_group_size: 1
    .uses_dynamic_stack: false
    .vgpr_count:     17
    .vgpr_spill_count: 0
    .wavefront_size: 32
    .workgroup_processor_mode: 1
  - .args:
      - .address_space:  global
        .offset:         0
        .size:           8
        .value_kind:     global_buffer
      - .address_space:  global
        .offset:         8
        .size:           8
        .value_kind:     global_buffer
      - .address_space:  global
        .offset:         16
        .size:           8
        .value_kind:     global_buffer
      - .offset:         24
        .size:           32
        .value_kind:     by_value
      - .address_space:  global
        .offset:         56
        .size:           8
        .value_kind:     global_buffer
      - .offset:         64
        .size:           4
        .value_kind:     by_value
      - .offset:         68
        .size:           12
        .value_kind:     by_value
      - .offset:         80
        .size:           4
        .value_kind:     by_value
      - .offset:         84
        .size:           4
        .value_kind:     by_value
      - .offset:         88
        .size:           4
        .value_kind:     by_value
      - .offset:         92
        .size:           12
        .value_kind:     by_value
      - .offset:         104
        .size:           4
        .value_kind:     by_value
      - .offset:         108
        .size:           4
        .value_kind:     by_value
      - .offset:         112
        .size:           4
        .value_kind:     by_value
      - .offset:         116
        .size:           12
        .value_kind:     by_value
      - .offset:         128
        .size:           4
        .value_kind:     by_value
      - .offset:         132
        .size:           4
        .value_kind:     by_value
      - .offset:         136
        .size:           4
        .value_kind:     by_value
      - .offset:         140
        .size:           4
        .value_kind:     by_value
    .group_segment_fixed_size: 0
    .kernarg_segment_align: 8
    .kernarg_segment_size: 144
    .language:       OpenCL C
    .language_version:
      - 2
      - 0
    .max_flat_workgroup_size: 1024
    .name:           _ZL13mul_mat_vec_fIffLi1ELi128ELb0ELb0EEvPKT_PKfPKi31ggml_cuda_mm_fusion_args_devicePfi15HIP_vector_typeIjLj3EEiiiSA_iiiSA_iiii
    .private_segment_fixed_size: 0
    .sgpr_count:     32
    .sgpr_spill_count: 0
    .symbol:         _ZL13mul_mat_vec_fIffLi1ELi128ELb0ELb0EEvPKT_PKfPKi31ggml_cuda_mm_fusion_args_devicePfi15HIP_vector_typeIjLj3EEiiiSA_iiiSA_iiii.kd
    .uniform_work_group_size: 1
    .uses_dynamic_stack: false
    .vgpr_count:     12
    .vgpr_spill_count: 0
    .wavefront_size: 32
    .workgroup_processor_mode: 1
  - .args:
      - .address_space:  global
        .offset:         0
        .size:           8
        .value_kind:     global_buffer
      - .address_space:  global
        .offset:         8
        .size:           8
        .value_kind:     global_buffer
      - .address_space:  global
        .offset:         16
        .size:           8
        .value_kind:     global_buffer
      - .offset:         24
        .size:           32
        .value_kind:     by_value
      - .address_space:  global
        .offset:         56
        .size:           8
        .value_kind:     global_buffer
      - .offset:         64
        .size:           4
        .value_kind:     by_value
      - .offset:         68
        .size:           12
        .value_kind:     by_value
      - .offset:         80
        .size:           4
        .value_kind:     by_value
      - .offset:         84
        .size:           4
        .value_kind:     by_value
      - .offset:         88
        .size:           4
        .value_kind:     by_value
      - .offset:         92
        .size:           12
        .value_kind:     by_value
      - .offset:         104
        .size:           4
        .value_kind:     by_value
      - .offset:         108
        .size:           4
        .value_kind:     by_value
      - .offset:         112
        .size:           4
        .value_kind:     by_value
      - .offset:         116
        .size:           12
        .value_kind:     by_value
      - .offset:         128
        .size:           4
        .value_kind:     by_value
      - .offset:         132
        .size:           4
        .value_kind:     by_value
      - .offset:         136
        .size:           4
        .value_kind:     by_value
      - .offset:         140
        .size:           4
        .value_kind:     by_value
    .group_segment_fixed_size: 0
    .kernarg_segment_align: 8
    .kernarg_segment_size: 144
    .language:       OpenCL C
    .language_version:
      - 2
      - 0
    .max_flat_workgroup_size: 1024
    .name:           _ZL13mul_mat_vec_fIffLi1ELi160ELb1ELb0EEvPKT_PKfPKi31ggml_cuda_mm_fusion_args_devicePfi15HIP_vector_typeIjLj3EEiiiSA_iiiSA_iiii
    .private_segment_fixed_size: 0
    .sgpr_count:     42
    .sgpr_spill_count: 0
    .symbol:         _ZL13mul_mat_vec_fIffLi1ELi160ELb1ELb0EEvPKT_PKfPKi31ggml_cuda_mm_fusion_args_devicePfi15HIP_vector_typeIjLj3EEiiiSA_iiiSA_iiii.kd
    .uniform_work_group_size: 1
    .uses_dynamic_stack: false
    .vgpr_count:     17
    .vgpr_spill_count: 0
    .wavefront_size: 32
    .workgroup_processor_mode: 1
  - .args:
      - .address_space:  global
        .offset:         0
        .size:           8
        .value_kind:     global_buffer
      - .address_space:  global
        .offset:         8
        .size:           8
        .value_kind:     global_buffer
      - .address_space:  global
        .offset:         16
        .size:           8
        .value_kind:     global_buffer
      - .offset:         24
        .size:           32
        .value_kind:     by_value
      - .address_space:  global
        .offset:         56
        .size:           8
        .value_kind:     global_buffer
      - .offset:         64
        .size:           4
        .value_kind:     by_value
      - .offset:         68
        .size:           12
        .value_kind:     by_value
      - .offset:         80
        .size:           4
        .value_kind:     by_value
      - .offset:         84
        .size:           4
        .value_kind:     by_value
      - .offset:         88
        .size:           4
        .value_kind:     by_value
      - .offset:         92
        .size:           12
        .value_kind:     by_value
      - .offset:         104
        .size:           4
        .value_kind:     by_value
      - .offset:         108
        .size:           4
        .value_kind:     by_value
      - .offset:         112
        .size:           4
        .value_kind:     by_value
      - .offset:         116
        .size:           12
        .value_kind:     by_value
      - .offset:         128
        .size:           4
        .value_kind:     by_value
      - .offset:         132
        .size:           4
        .value_kind:     by_value
      - .offset:         136
        .size:           4
        .value_kind:     by_value
      - .offset:         140
        .size:           4
        .value_kind:     by_value
    .group_segment_fixed_size: 0
    .kernarg_segment_align: 8
    .kernarg_segment_size: 144
    .language:       OpenCL C
    .language_version:
      - 2
      - 0
    .max_flat_workgroup_size: 1024
    .name:           _ZL13mul_mat_vec_fIffLi1ELi160ELb0ELb0EEvPKT_PKfPKi31ggml_cuda_mm_fusion_args_devicePfi15HIP_vector_typeIjLj3EEiiiSA_iiiSA_iiii
    .private_segment_fixed_size: 0
    .sgpr_count:     32
    .sgpr_spill_count: 0
    .symbol:         _ZL13mul_mat_vec_fIffLi1ELi160ELb0ELb0EEvPKT_PKfPKi31ggml_cuda_mm_fusion_args_devicePfi15HIP_vector_typeIjLj3EEiiiSA_iiiSA_iiii.kd
    .uniform_work_group_size: 1
    .uses_dynamic_stack: false
    .vgpr_count:     12
    .vgpr_spill_count: 0
    .wavefront_size: 32
    .workgroup_processor_mode: 1
  - .args:
      - .address_space:  global
        .offset:         0
        .size:           8
        .value_kind:     global_buffer
      - .address_space:  global
        .offset:         8
        .size:           8
        .value_kind:     global_buffer
      - .address_space:  global
        .offset:         16
        .size:           8
        .value_kind:     global_buffer
      - .offset:         24
        .size:           32
        .value_kind:     by_value
      - .address_space:  global
        .offset:         56
        .size:           8
        .value_kind:     global_buffer
      - .offset:         64
        .size:           4
        .value_kind:     by_value
      - .offset:         68
        .size:           12
        .value_kind:     by_value
      - .offset:         80
        .size:           4
        .value_kind:     by_value
      - .offset:         84
        .size:           4
        .value_kind:     by_value
      - .offset:         88
        .size:           4
        .value_kind:     by_value
      - .offset:         92
        .size:           12
        .value_kind:     by_value
      - .offset:         104
        .size:           4
        .value_kind:     by_value
      - .offset:         108
        .size:           4
        .value_kind:     by_value
      - .offset:         112
        .size:           4
        .value_kind:     by_value
      - .offset:         116
        .size:           12
        .value_kind:     by_value
      - .offset:         128
        .size:           4
        .value_kind:     by_value
      - .offset:         132
        .size:           4
        .value_kind:     by_value
      - .offset:         136
        .size:           4
        .value_kind:     by_value
      - .offset:         140
        .size:           4
        .value_kind:     by_value
    .group_segment_fixed_size: 0
    .kernarg_segment_align: 8
    .kernarg_segment_size: 144
    .language:       OpenCL C
    .language_version:
      - 2
      - 0
    .max_flat_workgroup_size: 1024
    .name:           _ZL13mul_mat_vec_fIffLi1ELi192ELb1ELb0EEvPKT_PKfPKi31ggml_cuda_mm_fusion_args_devicePfi15HIP_vector_typeIjLj3EEiiiSA_iiiSA_iiii
    .private_segment_fixed_size: 0
    .sgpr_count:     42
    .sgpr_spill_count: 0
    .symbol:         _ZL13mul_mat_vec_fIffLi1ELi192ELb1ELb0EEvPKT_PKfPKi31ggml_cuda_mm_fusion_args_devicePfi15HIP_vector_typeIjLj3EEiiiSA_iiiSA_iiii.kd
    .uniform_work_group_size: 1
    .uses_dynamic_stack: false
    .vgpr_count:     17
    .vgpr_spill_count: 0
    .wavefront_size: 32
    .workgroup_processor_mode: 1
  - .args:
      - .address_space:  global
        .offset:         0
        .size:           8
        .value_kind:     global_buffer
      - .address_space:  global
        .offset:         8
        .size:           8
        .value_kind:     global_buffer
      - .address_space:  global
        .offset:         16
        .size:           8
        .value_kind:     global_buffer
      - .offset:         24
        .size:           32
        .value_kind:     by_value
      - .address_space:  global
        .offset:         56
        .size:           8
        .value_kind:     global_buffer
      - .offset:         64
        .size:           4
        .value_kind:     by_value
      - .offset:         68
        .size:           12
        .value_kind:     by_value
      - .offset:         80
        .size:           4
        .value_kind:     by_value
      - .offset:         84
        .size:           4
        .value_kind:     by_value
      - .offset:         88
        .size:           4
        .value_kind:     by_value
      - .offset:         92
        .size:           12
        .value_kind:     by_value
      - .offset:         104
        .size:           4
        .value_kind:     by_value
      - .offset:         108
        .size:           4
        .value_kind:     by_value
      - .offset:         112
        .size:           4
        .value_kind:     by_value
      - .offset:         116
        .size:           12
        .value_kind:     by_value
      - .offset:         128
        .size:           4
        .value_kind:     by_value
      - .offset:         132
        .size:           4
        .value_kind:     by_value
      - .offset:         136
        .size:           4
        .value_kind:     by_value
      - .offset:         140
        .size:           4
        .value_kind:     by_value
    .group_segment_fixed_size: 0
    .kernarg_segment_align: 8
    .kernarg_segment_size: 144
    .language:       OpenCL C
    .language_version:
      - 2
      - 0
    .max_flat_workgroup_size: 1024
    .name:           _ZL13mul_mat_vec_fIffLi1ELi192ELb0ELb0EEvPKT_PKfPKi31ggml_cuda_mm_fusion_args_devicePfi15HIP_vector_typeIjLj3EEiiiSA_iiiSA_iiii
    .private_segment_fixed_size: 0
    .sgpr_count:     32
    .sgpr_spill_count: 0
    .symbol:         _ZL13mul_mat_vec_fIffLi1ELi192ELb0ELb0EEvPKT_PKfPKi31ggml_cuda_mm_fusion_args_devicePfi15HIP_vector_typeIjLj3EEiiiSA_iiiSA_iiii.kd
    .uniform_work_group_size: 1
    .uses_dynamic_stack: false
    .vgpr_count:     12
    .vgpr_spill_count: 0
    .wavefront_size: 32
    .workgroup_processor_mode: 1
  - .args:
      - .address_space:  global
        .offset:         0
        .size:           8
        .value_kind:     global_buffer
      - .address_space:  global
        .offset:         8
        .size:           8
        .value_kind:     global_buffer
      - .address_space:  global
        .offset:         16
        .size:           8
        .value_kind:     global_buffer
      - .offset:         24
        .size:           32
        .value_kind:     by_value
      - .address_space:  global
        .offset:         56
        .size:           8
        .value_kind:     global_buffer
      - .offset:         64
        .size:           4
        .value_kind:     by_value
      - .offset:         68
        .size:           12
        .value_kind:     by_value
      - .offset:         80
        .size:           4
        .value_kind:     by_value
      - .offset:         84
        .size:           4
        .value_kind:     by_value
      - .offset:         88
        .size:           4
        .value_kind:     by_value
      - .offset:         92
        .size:           12
        .value_kind:     by_value
      - .offset:         104
        .size:           4
        .value_kind:     by_value
      - .offset:         108
        .size:           4
        .value_kind:     by_value
      - .offset:         112
        .size:           4
        .value_kind:     by_value
      - .offset:         116
        .size:           12
        .value_kind:     by_value
      - .offset:         128
        .size:           4
        .value_kind:     by_value
      - .offset:         132
        .size:           4
        .value_kind:     by_value
      - .offset:         136
        .size:           4
        .value_kind:     by_value
      - .offset:         140
        .size:           4
        .value_kind:     by_value
    .group_segment_fixed_size: 0
    .kernarg_segment_align: 8
    .kernarg_segment_size: 144
    .language:       OpenCL C
    .language_version:
      - 2
      - 0
    .max_flat_workgroup_size: 1024
    .name:           _ZL13mul_mat_vec_fIffLi1ELi224ELb1ELb0EEvPKT_PKfPKi31ggml_cuda_mm_fusion_args_devicePfi15HIP_vector_typeIjLj3EEiiiSA_iiiSA_iiii
    .private_segment_fixed_size: 0
    .sgpr_count:     42
    .sgpr_spill_count: 0
    .symbol:         _ZL13mul_mat_vec_fIffLi1ELi224ELb1ELb0EEvPKT_PKfPKi31ggml_cuda_mm_fusion_args_devicePfi15HIP_vector_typeIjLj3EEiiiSA_iiiSA_iiii.kd
    .uniform_work_group_size: 1
    .uses_dynamic_stack: false
    .vgpr_count:     17
    .vgpr_spill_count: 0
    .wavefront_size: 32
    .workgroup_processor_mode: 1
  - .args:
      - .address_space:  global
        .offset:         0
        .size:           8
        .value_kind:     global_buffer
      - .address_space:  global
        .offset:         8
        .size:           8
        .value_kind:     global_buffer
      - .address_space:  global
        .offset:         16
        .size:           8
        .value_kind:     global_buffer
      - .offset:         24
        .size:           32
        .value_kind:     by_value
      - .address_space:  global
        .offset:         56
        .size:           8
        .value_kind:     global_buffer
      - .offset:         64
        .size:           4
        .value_kind:     by_value
      - .offset:         68
        .size:           12
        .value_kind:     by_value
      - .offset:         80
        .size:           4
        .value_kind:     by_value
      - .offset:         84
        .size:           4
        .value_kind:     by_value
      - .offset:         88
        .size:           4
        .value_kind:     by_value
      - .offset:         92
        .size:           12
        .value_kind:     by_value
      - .offset:         104
        .size:           4
        .value_kind:     by_value
      - .offset:         108
        .size:           4
        .value_kind:     by_value
      - .offset:         112
        .size:           4
        .value_kind:     by_value
      - .offset:         116
        .size:           12
        .value_kind:     by_value
      - .offset:         128
        .size:           4
        .value_kind:     by_value
      - .offset:         132
        .size:           4
        .value_kind:     by_value
      - .offset:         136
        .size:           4
        .value_kind:     by_value
      - .offset:         140
        .size:           4
        .value_kind:     by_value
    .group_segment_fixed_size: 0
    .kernarg_segment_align: 8
    .kernarg_segment_size: 144
    .language:       OpenCL C
    .language_version:
      - 2
      - 0
    .max_flat_workgroup_size: 1024
    .name:           _ZL13mul_mat_vec_fIffLi1ELi224ELb0ELb0EEvPKT_PKfPKi31ggml_cuda_mm_fusion_args_devicePfi15HIP_vector_typeIjLj3EEiiiSA_iiiSA_iiii
    .private_segment_fixed_size: 0
    .sgpr_count:     32
    .sgpr_spill_count: 0
    .symbol:         _ZL13mul_mat_vec_fIffLi1ELi224ELb0ELb0EEvPKT_PKfPKi31ggml_cuda_mm_fusion_args_devicePfi15HIP_vector_typeIjLj3EEiiiSA_iiiSA_iiii.kd
    .uniform_work_group_size: 1
    .uses_dynamic_stack: false
    .vgpr_count:     12
    .vgpr_spill_count: 0
    .wavefront_size: 32
    .workgroup_processor_mode: 1
  - .args:
      - .address_space:  global
        .offset:         0
        .size:           8
        .value_kind:     global_buffer
      - .address_space:  global
        .offset:         8
        .size:           8
        .value_kind:     global_buffer
      - .address_space:  global
        .offset:         16
        .size:           8
        .value_kind:     global_buffer
      - .offset:         24
        .size:           32
        .value_kind:     by_value
      - .address_space:  global
        .offset:         56
        .size:           8
        .value_kind:     global_buffer
      - .offset:         64
        .size:           4
        .value_kind:     by_value
      - .offset:         68
        .size:           12
        .value_kind:     by_value
      - .offset:         80
        .size:           4
        .value_kind:     by_value
      - .offset:         84
        .size:           4
        .value_kind:     by_value
      - .offset:         88
        .size:           4
        .value_kind:     by_value
      - .offset:         92
        .size:           12
        .value_kind:     by_value
      - .offset:         104
        .size:           4
        .value_kind:     by_value
      - .offset:         108
        .size:           4
        .value_kind:     by_value
      - .offset:         112
        .size:           4
        .value_kind:     by_value
      - .offset:         116
        .size:           12
        .value_kind:     by_value
      - .offset:         128
        .size:           4
        .value_kind:     by_value
      - .offset:         132
        .size:           4
        .value_kind:     by_value
      - .offset:         136
        .size:           4
        .value_kind:     by_value
      - .offset:         140
        .size:           4
        .value_kind:     by_value
    .group_segment_fixed_size: 0
    .kernarg_segment_align: 8
    .kernarg_segment_size: 144
    .language:       OpenCL C
    .language_version:
      - 2
      - 0
    .max_flat_workgroup_size: 1024
    .name:           _ZL13mul_mat_vec_fIffLi1ELi256ELb1ELb0EEvPKT_PKfPKi31ggml_cuda_mm_fusion_args_devicePfi15HIP_vector_typeIjLj3EEiiiSA_iiiSA_iiii
    .private_segment_fixed_size: 0
    .sgpr_count:     42
    .sgpr_spill_count: 0
    .symbol:         _ZL13mul_mat_vec_fIffLi1ELi256ELb1ELb0EEvPKT_PKfPKi31ggml_cuda_mm_fusion_args_devicePfi15HIP_vector_typeIjLj3EEiiiSA_iiiSA_iiii.kd
    .uniform_work_group_size: 1
    .uses_dynamic_stack: false
    .vgpr_count:     17
    .vgpr_spill_count: 0
    .wavefront_size: 32
    .workgroup_processor_mode: 1
  - .args:
      - .address_space:  global
        .offset:         0
        .size:           8
        .value_kind:     global_buffer
      - .address_space:  global
        .offset:         8
        .size:           8
        .value_kind:     global_buffer
      - .address_space:  global
        .offset:         16
        .size:           8
        .value_kind:     global_buffer
      - .offset:         24
        .size:           32
        .value_kind:     by_value
      - .address_space:  global
        .offset:         56
        .size:           8
        .value_kind:     global_buffer
      - .offset:         64
        .size:           4
        .value_kind:     by_value
      - .offset:         68
        .size:           12
        .value_kind:     by_value
      - .offset:         80
        .size:           4
        .value_kind:     by_value
      - .offset:         84
        .size:           4
        .value_kind:     by_value
      - .offset:         88
        .size:           4
        .value_kind:     by_value
      - .offset:         92
        .size:           12
        .value_kind:     by_value
      - .offset:         104
        .size:           4
        .value_kind:     by_value
      - .offset:         108
        .size:           4
        .value_kind:     by_value
      - .offset:         112
        .size:           4
        .value_kind:     by_value
      - .offset:         116
        .size:           12
        .value_kind:     by_value
      - .offset:         128
        .size:           4
        .value_kind:     by_value
      - .offset:         132
        .size:           4
        .value_kind:     by_value
      - .offset:         136
        .size:           4
        .value_kind:     by_value
      - .offset:         140
        .size:           4
        .value_kind:     by_value
    .group_segment_fixed_size: 0
    .kernarg_segment_align: 8
    .kernarg_segment_size: 144
    .language:       OpenCL C
    .language_version:
      - 2
      - 0
    .max_flat_workgroup_size: 1024
    .name:           _ZL13mul_mat_vec_fIffLi1ELi256ELb0ELb0EEvPKT_PKfPKi31ggml_cuda_mm_fusion_args_devicePfi15HIP_vector_typeIjLj3EEiiiSA_iiiSA_iiii
    .private_segment_fixed_size: 0
    .sgpr_count:     32
    .sgpr_spill_count: 0
    .symbol:         _ZL13mul_mat_vec_fIffLi1ELi256ELb0ELb0EEvPKT_PKfPKi31ggml_cuda_mm_fusion_args_devicePfi15HIP_vector_typeIjLj3EEiiiSA_iiiSA_iiii.kd
    .uniform_work_group_size: 1
    .uses_dynamic_stack: false
    .vgpr_count:     12
    .vgpr_spill_count: 0
    .wavefront_size: 32
    .workgroup_processor_mode: 1
  - .args:
      - .address_space:  global
        .offset:         0
        .size:           8
        .value_kind:     global_buffer
      - .address_space:  global
        .offset:         8
        .size:           8
        .value_kind:     global_buffer
      - .address_space:  global
        .offset:         16
        .size:           8
        .value_kind:     global_buffer
      - .offset:         24
        .size:           32
        .value_kind:     by_value
      - .address_space:  global
        .offset:         56
        .size:           8
        .value_kind:     global_buffer
      - .offset:         64
        .size:           4
        .value_kind:     by_value
      - .offset:         68
        .size:           12
        .value_kind:     by_value
      - .offset:         80
        .size:           4
        .value_kind:     by_value
      - .offset:         84
        .size:           4
        .value_kind:     by_value
      - .offset:         88
        .size:           4
        .value_kind:     by_value
      - .offset:         92
        .size:           12
        .value_kind:     by_value
      - .offset:         104
        .size:           4
        .value_kind:     by_value
      - .offset:         108
        .size:           4
        .value_kind:     by_value
      - .offset:         112
        .size:           4
        .value_kind:     by_value
      - .offset:         116
        .size:           12
        .value_kind:     by_value
      - .offset:         128
        .size:           4
        .value_kind:     by_value
      - .offset:         132
        .size:           4
        .value_kind:     by_value
      - .offset:         136
        .size:           4
        .value_kind:     by_value
      - .offset:         140
        .size:           4
        .value_kind:     by_value
    .group_segment_fixed_size: 0
    .kernarg_segment_align: 8
    .kernarg_segment_size: 144
    .language:       OpenCL C
    .language_version:
      - 2
      - 0
    .max_flat_workgroup_size: 1024
    .name:           _ZL13mul_mat_vec_fIffLi2ELi32ELb0ELb0EEvPKT_PKfPKi31ggml_cuda_mm_fusion_args_devicePfi15HIP_vector_typeIjLj3EEiiiSA_iiiSA_iiii
    .private_segment_fixed_size: 0
    .sgpr_count:     32
    .sgpr_spill_count: 0
    .symbol:         _ZL13mul_mat_vec_fIffLi2ELi32ELb0ELb0EEvPKT_PKfPKi31ggml_cuda_mm_fusion_args_devicePfi15HIP_vector_typeIjLj3EEiiiSA_iiiSA_iiii.kd
    .uniform_work_group_size: 1
    .uses_dynamic_stack: false
    .vgpr_count:     14
    .vgpr_spill_count: 0
    .wavefront_size: 32
    .workgroup_processor_mode: 1
  - .args:
      - .address_space:  global
        .offset:         0
        .size:           8
        .value_kind:     global_buffer
      - .address_space:  global
        .offset:         8
        .size:           8
        .value_kind:     global_buffer
      - .address_space:  global
        .offset:         16
        .size:           8
        .value_kind:     global_buffer
      - .offset:         24
        .size:           32
        .value_kind:     by_value
      - .address_space:  global
        .offset:         56
        .size:           8
        .value_kind:     global_buffer
      - .offset:         64
        .size:           4
        .value_kind:     by_value
      - .offset:         68
        .size:           12
        .value_kind:     by_value
      - .offset:         80
        .size:           4
        .value_kind:     by_value
      - .offset:         84
        .size:           4
        .value_kind:     by_value
      - .offset:         88
        .size:           4
        .value_kind:     by_value
      - .offset:         92
        .size:           12
        .value_kind:     by_value
      - .offset:         104
        .size:           4
        .value_kind:     by_value
      - .offset:         108
        .size:           4
        .value_kind:     by_value
      - .offset:         112
        .size:           4
        .value_kind:     by_value
      - .offset:         116
        .size:           12
        .value_kind:     by_value
      - .offset:         128
        .size:           4
        .value_kind:     by_value
      - .offset:         132
        .size:           4
        .value_kind:     by_value
      - .offset:         136
        .size:           4
        .value_kind:     by_value
      - .offset:         140
        .size:           4
        .value_kind:     by_value
    .group_segment_fixed_size: 0
    .kernarg_segment_align: 8
    .kernarg_segment_size: 144
    .language:       OpenCL C
    .language_version:
      - 2
      - 0
    .max_flat_workgroup_size: 1024
    .name:           _ZL13mul_mat_vec_fIffLi2ELi64ELb0ELb0EEvPKT_PKfPKi31ggml_cuda_mm_fusion_args_devicePfi15HIP_vector_typeIjLj3EEiiiSA_iiiSA_iiii
    .private_segment_fixed_size: 0
    .sgpr_count:     32
    .sgpr_spill_count: 0
    .symbol:         _ZL13mul_mat_vec_fIffLi2ELi64ELb0ELb0EEvPKT_PKfPKi31ggml_cuda_mm_fusion_args_devicePfi15HIP_vector_typeIjLj3EEiiiSA_iiiSA_iiii.kd
    .uniform_work_group_size: 1
    .uses_dynamic_stack: false
    .vgpr_count:     15
    .vgpr_spill_count: 0
    .wavefront_size: 32
    .workgroup_processor_mode: 1
  - .args:
      - .address_space:  global
        .offset:         0
        .size:           8
        .value_kind:     global_buffer
      - .address_space:  global
        .offset:         8
        .size:           8
        .value_kind:     global_buffer
      - .address_space:  global
        .offset:         16
        .size:           8
        .value_kind:     global_buffer
      - .offset:         24
        .size:           32
        .value_kind:     by_value
      - .address_space:  global
        .offset:         56
        .size:           8
        .value_kind:     global_buffer
      - .offset:         64
        .size:           4
        .value_kind:     by_value
      - .offset:         68
        .size:           12
        .value_kind:     by_value
      - .offset:         80
        .size:           4
        .value_kind:     by_value
      - .offset:         84
        .size:           4
        .value_kind:     by_value
      - .offset:         88
        .size:           4
        .value_kind:     by_value
      - .offset:         92
        .size:           12
        .value_kind:     by_value
      - .offset:         104
        .size:           4
        .value_kind:     by_value
      - .offset:         108
        .size:           4
        .value_kind:     by_value
      - .offset:         112
        .size:           4
        .value_kind:     by_value
      - .offset:         116
        .size:           12
        .value_kind:     by_value
      - .offset:         128
        .size:           4
        .value_kind:     by_value
      - .offset:         132
        .size:           4
        .value_kind:     by_value
      - .offset:         136
        .size:           4
        .value_kind:     by_value
      - .offset:         140
        .size:           4
        .value_kind:     by_value
    .group_segment_fixed_size: 0
    .kernarg_segment_align: 8
    .kernarg_segment_size: 144
    .language:       OpenCL C
    .language_version:
      - 2
      - 0
    .max_flat_workgroup_size: 1024
    .name:           _ZL13mul_mat_vec_fIffLi2ELi96ELb0ELb0EEvPKT_PKfPKi31ggml_cuda_mm_fusion_args_devicePfi15HIP_vector_typeIjLj3EEiiiSA_iiiSA_iiii
    .private_segment_fixed_size: 0
    .sgpr_count:     32
    .sgpr_spill_count: 0
    .symbol:         _ZL13mul_mat_vec_fIffLi2ELi96ELb0ELb0EEvPKT_PKfPKi31ggml_cuda_mm_fusion_args_devicePfi15HIP_vector_typeIjLj3EEiiiSA_iiiSA_iiii.kd
    .uniform_work_group_size: 1
    .uses_dynamic_stack: false
    .vgpr_count:     15
    .vgpr_spill_count: 0
    .wavefront_size: 32
    .workgroup_processor_mode: 1
  - .args:
      - .address_space:  global
        .offset:         0
        .size:           8
        .value_kind:     global_buffer
      - .address_space:  global
        .offset:         8
        .size:           8
        .value_kind:     global_buffer
      - .address_space:  global
        .offset:         16
        .size:           8
        .value_kind:     global_buffer
      - .offset:         24
        .size:           32
        .value_kind:     by_value
      - .address_space:  global
        .offset:         56
        .size:           8
        .value_kind:     global_buffer
      - .offset:         64
        .size:           4
        .value_kind:     by_value
      - .offset:         68
        .size:           12
        .value_kind:     by_value
      - .offset:         80
        .size:           4
        .value_kind:     by_value
      - .offset:         84
        .size:           4
        .value_kind:     by_value
      - .offset:         88
        .size:           4
        .value_kind:     by_value
      - .offset:         92
        .size:           12
        .value_kind:     by_value
      - .offset:         104
        .size:           4
        .value_kind:     by_value
      - .offset:         108
        .size:           4
        .value_kind:     by_value
      - .offset:         112
        .size:           4
        .value_kind:     by_value
      - .offset:         116
        .size:           12
        .value_kind:     by_value
      - .offset:         128
        .size:           4
        .value_kind:     by_value
      - .offset:         132
        .size:           4
        .value_kind:     by_value
      - .offset:         136
        .size:           4
        .value_kind:     by_value
      - .offset:         140
        .size:           4
        .value_kind:     by_value
    .group_segment_fixed_size: 0
    .kernarg_segment_align: 8
    .kernarg_segment_size: 144
    .language:       OpenCL C
    .language_version:
      - 2
      - 0
    .max_flat_workgroup_size: 1024
    .name:           _ZL13mul_mat_vec_fIffLi2ELi128ELb0ELb0EEvPKT_PKfPKi31ggml_cuda_mm_fusion_args_devicePfi15HIP_vector_typeIjLj3EEiiiSA_iiiSA_iiii
    .private_segment_fixed_size: 0
    .sgpr_count:     32
    .sgpr_spill_count: 0
    .symbol:         _ZL13mul_mat_vec_fIffLi2ELi128ELb0ELb0EEvPKT_PKfPKi31ggml_cuda_mm_fusion_args_devicePfi15HIP_vector_typeIjLj3EEiiiSA_iiiSA_iiii.kd
    .uniform_work_group_size: 1
    .uses_dynamic_stack: false
    .vgpr_count:     15
    .vgpr_spill_count: 0
    .wavefront_size: 32
    .workgroup_processor_mode: 1
  - .args:
      - .address_space:  global
        .offset:         0
        .size:           8
        .value_kind:     global_buffer
      - .address_space:  global
        .offset:         8
        .size:           8
        .value_kind:     global_buffer
      - .address_space:  global
        .offset:         16
        .size:           8
        .value_kind:     global_buffer
      - .offset:         24
        .size:           32
        .value_kind:     by_value
      - .address_space:  global
        .offset:         56
        .size:           8
        .value_kind:     global_buffer
      - .offset:         64
        .size:           4
        .value_kind:     by_value
      - .offset:         68
        .size:           12
        .value_kind:     by_value
      - .offset:         80
        .size:           4
        .value_kind:     by_value
      - .offset:         84
        .size:           4
        .value_kind:     by_value
      - .offset:         88
        .size:           4
        .value_kind:     by_value
      - .offset:         92
        .size:           12
        .value_kind:     by_value
      - .offset:         104
        .size:           4
        .value_kind:     by_value
      - .offset:         108
        .size:           4
        .value_kind:     by_value
      - .offset:         112
        .size:           4
        .value_kind:     by_value
      - .offset:         116
        .size:           12
        .value_kind:     by_value
      - .offset:         128
        .size:           4
        .value_kind:     by_value
      - .offset:         132
        .size:           4
        .value_kind:     by_value
      - .offset:         136
        .size:           4
        .value_kind:     by_value
      - .offset:         140
        .size:           4
        .value_kind:     by_value
    .group_segment_fixed_size: 0
    .kernarg_segment_align: 8
    .kernarg_segment_size: 144
    .language:       OpenCL C
    .language_version:
      - 2
      - 0
    .max_flat_workgroup_size: 1024
    .name:           _ZL13mul_mat_vec_fIffLi2ELi160ELb0ELb0EEvPKT_PKfPKi31ggml_cuda_mm_fusion_args_devicePfi15HIP_vector_typeIjLj3EEiiiSA_iiiSA_iiii
    .private_segment_fixed_size: 0
    .sgpr_count:     32
    .sgpr_spill_count: 0
    .symbol:         _ZL13mul_mat_vec_fIffLi2ELi160ELb0ELb0EEvPKT_PKfPKi31ggml_cuda_mm_fusion_args_devicePfi15HIP_vector_typeIjLj3EEiiiSA_iiiSA_iiii.kd
    .uniform_work_group_size: 1
    .uses_dynamic_stack: false
    .vgpr_count:     15
    .vgpr_spill_count: 0
    .wavefront_size: 32
    .workgroup_processor_mode: 1
  - .args:
      - .address_space:  global
        .offset:         0
        .size:           8
        .value_kind:     global_buffer
      - .address_space:  global
        .offset:         8
        .size:           8
        .value_kind:     global_buffer
      - .address_space:  global
        .offset:         16
        .size:           8
        .value_kind:     global_buffer
      - .offset:         24
        .size:           32
        .value_kind:     by_value
      - .address_space:  global
        .offset:         56
        .size:           8
        .value_kind:     global_buffer
      - .offset:         64
        .size:           4
        .value_kind:     by_value
      - .offset:         68
        .size:           12
        .value_kind:     by_value
      - .offset:         80
        .size:           4
        .value_kind:     by_value
      - .offset:         84
        .size:           4
        .value_kind:     by_value
      - .offset:         88
        .size:           4
        .value_kind:     by_value
      - .offset:         92
        .size:           12
        .value_kind:     by_value
      - .offset:         104
        .size:           4
        .value_kind:     by_value
      - .offset:         108
        .size:           4
        .value_kind:     by_value
      - .offset:         112
        .size:           4
        .value_kind:     by_value
      - .offset:         116
        .size:           12
        .value_kind:     by_value
      - .offset:         128
        .size:           4
        .value_kind:     by_value
      - .offset:         132
        .size:           4
        .value_kind:     by_value
      - .offset:         136
        .size:           4
        .value_kind:     by_value
      - .offset:         140
        .size:           4
        .value_kind:     by_value
    .group_segment_fixed_size: 0
    .kernarg_segment_align: 8
    .kernarg_segment_size: 144
    .language:       OpenCL C
    .language_version:
      - 2
      - 0
    .max_flat_workgroup_size: 1024
    .name:           _ZL13mul_mat_vec_fIffLi2ELi192ELb0ELb0EEvPKT_PKfPKi31ggml_cuda_mm_fusion_args_devicePfi15HIP_vector_typeIjLj3EEiiiSA_iiiSA_iiii
    .private_segment_fixed_size: 0
    .sgpr_count:     32
    .sgpr_spill_count: 0
    .symbol:         _ZL13mul_mat_vec_fIffLi2ELi192ELb0ELb0EEvPKT_PKfPKi31ggml_cuda_mm_fusion_args_devicePfi15HIP_vector_typeIjLj3EEiiiSA_iiiSA_iiii.kd
    .uniform_work_group_size: 1
    .uses_dynamic_stack: false
    .vgpr_count:     15
    .vgpr_spill_count: 0
    .wavefront_size: 32
    .workgroup_processor_mode: 1
  - .args:
      - .address_space:  global
        .offset:         0
        .size:           8
        .value_kind:     global_buffer
      - .address_space:  global
        .offset:         8
        .size:           8
        .value_kind:     global_buffer
      - .address_space:  global
        .offset:         16
        .size:           8
        .value_kind:     global_buffer
      - .offset:         24
        .size:           32
        .value_kind:     by_value
      - .address_space:  global
        .offset:         56
        .size:           8
        .value_kind:     global_buffer
      - .offset:         64
        .size:           4
        .value_kind:     by_value
      - .offset:         68
        .size:           12
        .value_kind:     by_value
      - .offset:         80
        .size:           4
        .value_kind:     by_value
      - .offset:         84
        .size:           4
        .value_kind:     by_value
      - .offset:         88
        .size:           4
        .value_kind:     by_value
      - .offset:         92
        .size:           12
        .value_kind:     by_value
      - .offset:         104
        .size:           4
        .value_kind:     by_value
      - .offset:         108
        .size:           4
        .value_kind:     by_value
      - .offset:         112
        .size:           4
        .value_kind:     by_value
      - .offset:         116
        .size:           12
        .value_kind:     by_value
      - .offset:         128
        .size:           4
        .value_kind:     by_value
      - .offset:         132
        .size:           4
        .value_kind:     by_value
      - .offset:         136
        .size:           4
        .value_kind:     by_value
      - .offset:         140
        .size:           4
        .value_kind:     by_value
    .group_segment_fixed_size: 0
    .kernarg_segment_align: 8
    .kernarg_segment_size: 144
    .language:       OpenCL C
    .language_version:
      - 2
      - 0
    .max_flat_workgroup_size: 1024
    .name:           _ZL13mul_mat_vec_fIffLi2ELi224ELb0ELb0EEvPKT_PKfPKi31ggml_cuda_mm_fusion_args_devicePfi15HIP_vector_typeIjLj3EEiiiSA_iiiSA_iiii
    .private_segment_fixed_size: 0
    .sgpr_count:     32
    .sgpr_spill_count: 0
    .symbol:         _ZL13mul_mat_vec_fIffLi2ELi224ELb0ELb0EEvPKT_PKfPKi31ggml_cuda_mm_fusion_args_devicePfi15HIP_vector_typeIjLj3EEiiiSA_iiiSA_iiii.kd
    .uniform_work_group_size: 1
    .uses_dynamic_stack: false
    .vgpr_count:     15
    .vgpr_spill_count: 0
    .wavefront_size: 32
    .workgroup_processor_mode: 1
  - .args:
      - .address_space:  global
        .offset:         0
        .size:           8
        .value_kind:     global_buffer
      - .address_space:  global
        .offset:         8
        .size:           8
        .value_kind:     global_buffer
      - .address_space:  global
        .offset:         16
        .size:           8
        .value_kind:     global_buffer
      - .offset:         24
        .size:           32
        .value_kind:     by_value
      - .address_space:  global
        .offset:         56
        .size:           8
        .value_kind:     global_buffer
      - .offset:         64
        .size:           4
        .value_kind:     by_value
      - .offset:         68
        .size:           12
        .value_kind:     by_value
      - .offset:         80
        .size:           4
        .value_kind:     by_value
      - .offset:         84
        .size:           4
        .value_kind:     by_value
      - .offset:         88
        .size:           4
        .value_kind:     by_value
      - .offset:         92
        .size:           12
        .value_kind:     by_value
      - .offset:         104
        .size:           4
        .value_kind:     by_value
      - .offset:         108
        .size:           4
        .value_kind:     by_value
      - .offset:         112
        .size:           4
        .value_kind:     by_value
      - .offset:         116
        .size:           12
        .value_kind:     by_value
      - .offset:         128
        .size:           4
        .value_kind:     by_value
      - .offset:         132
        .size:           4
        .value_kind:     by_value
      - .offset:         136
        .size:           4
        .value_kind:     by_value
      - .offset:         140
        .size:           4
        .value_kind:     by_value
    .group_segment_fixed_size: 0
    .kernarg_segment_align: 8
    .kernarg_segment_size: 144
    .language:       OpenCL C
    .language_version:
      - 2
      - 0
    .max_flat_workgroup_size: 1024
    .name:           _ZL13mul_mat_vec_fIffLi2ELi256ELb0ELb0EEvPKT_PKfPKi31ggml_cuda_mm_fusion_args_devicePfi15HIP_vector_typeIjLj3EEiiiSA_iiiSA_iiii
    .private_segment_fixed_size: 0
    .sgpr_count:     32
    .sgpr_spill_count: 0
    .symbol:         _ZL13mul_mat_vec_fIffLi2ELi256ELb0ELb0EEvPKT_PKfPKi31ggml_cuda_mm_fusion_args_devicePfi15HIP_vector_typeIjLj3EEiiiSA_iiiSA_iiii.kd
    .uniform_work_group_size: 1
    .uses_dynamic_stack: false
    .vgpr_count:     15
    .vgpr_spill_count: 0
    .wavefront_size: 32
    .workgroup_processor_mode: 1
  - .args:
      - .address_space:  global
        .offset:         0
        .size:           8
        .value_kind:     global_buffer
      - .address_space:  global
        .offset:         8
        .size:           8
        .value_kind:     global_buffer
      - .address_space:  global
        .offset:         16
        .size:           8
        .value_kind:     global_buffer
      - .offset:         24
        .size:           32
        .value_kind:     by_value
      - .address_space:  global
        .offset:         56
        .size:           8
        .value_kind:     global_buffer
      - .offset:         64
        .size:           4
        .value_kind:     by_value
      - .offset:         68
        .size:           12
        .value_kind:     by_value
      - .offset:         80
        .size:           4
        .value_kind:     by_value
      - .offset:         84
        .size:           4
        .value_kind:     by_value
      - .offset:         88
        .size:           4
        .value_kind:     by_value
      - .offset:         92
        .size:           12
        .value_kind:     by_value
      - .offset:         104
        .size:           4
        .value_kind:     by_value
      - .offset:         108
        .size:           4
        .value_kind:     by_value
      - .offset:         112
        .size:           4
        .value_kind:     by_value
      - .offset:         116
        .size:           12
        .value_kind:     by_value
      - .offset:         128
        .size:           4
        .value_kind:     by_value
      - .offset:         132
        .size:           4
        .value_kind:     by_value
      - .offset:         136
        .size:           4
        .value_kind:     by_value
      - .offset:         140
        .size:           4
        .value_kind:     by_value
    .group_segment_fixed_size: 0
    .kernarg_segment_align: 8
    .kernarg_segment_size: 144
    .language:       OpenCL C
    .language_version:
      - 2
      - 0
    .max_flat_workgroup_size: 1024
    .name:           _ZL13mul_mat_vec_fIffLi3ELi32ELb0ELb0EEvPKT_PKfPKi31ggml_cuda_mm_fusion_args_devicePfi15HIP_vector_typeIjLj3EEiiiSA_iiiSA_iiii
    .private_segment_fixed_size: 0
    .sgpr_count:     34
    .sgpr_spill_count: 0
    .symbol:         _ZL13mul_mat_vec_fIffLi3ELi32ELb0ELb0EEvPKT_PKfPKi31ggml_cuda_mm_fusion_args_devicePfi15HIP_vector_typeIjLj3EEiiiSA_iiiSA_iiii.kd
    .uniform_work_group_size: 1
    .uses_dynamic_stack: false
    .vgpr_count:     17
    .vgpr_spill_count: 0
    .wavefront_size: 32
    .workgroup_processor_mode: 1
  - .args:
      - .address_space:  global
        .offset:         0
        .size:           8
        .value_kind:     global_buffer
      - .address_space:  global
        .offset:         8
        .size:           8
        .value_kind:     global_buffer
      - .address_space:  global
        .offset:         16
        .size:           8
        .value_kind:     global_buffer
      - .offset:         24
        .size:           32
        .value_kind:     by_value
      - .address_space:  global
        .offset:         56
        .size:           8
        .value_kind:     global_buffer
      - .offset:         64
        .size:           4
        .value_kind:     by_value
      - .offset:         68
        .size:           12
        .value_kind:     by_value
      - .offset:         80
        .size:           4
        .value_kind:     by_value
      - .offset:         84
        .size:           4
        .value_kind:     by_value
      - .offset:         88
        .size:           4
        .value_kind:     by_value
      - .offset:         92
        .size:           12
        .value_kind:     by_value
      - .offset:         104
        .size:           4
        .value_kind:     by_value
      - .offset:         108
        .size:           4
        .value_kind:     by_value
      - .offset:         112
        .size:           4
        .value_kind:     by_value
      - .offset:         116
        .size:           12
        .value_kind:     by_value
      - .offset:         128
        .size:           4
        .value_kind:     by_value
      - .offset:         132
        .size:           4
        .value_kind:     by_value
      - .offset:         136
        .size:           4
        .value_kind:     by_value
      - .offset:         140
        .size:           4
        .value_kind:     by_value
    .group_segment_fixed_size: 0
    .kernarg_segment_align: 8
    .kernarg_segment_size: 144
    .language:       OpenCL C
    .language_version:
      - 2
      - 0
    .max_flat_workgroup_size: 1024
    .name:           _ZL13mul_mat_vec_fIffLi3ELi64ELb0ELb0EEvPKT_PKfPKi31ggml_cuda_mm_fusion_args_devicePfi15HIP_vector_typeIjLj3EEiiiSA_iiiSA_iiii
    .private_segment_fixed_size: 0
    .sgpr_count:     38
    .sgpr_spill_count: 0
    .symbol:         _ZL13mul_mat_vec_fIffLi3ELi64ELb0ELb0EEvPKT_PKfPKi31ggml_cuda_mm_fusion_args_devicePfi15HIP_vector_typeIjLj3EEiiiSA_iiiSA_iiii.kd
    .uniform_work_group_size: 1
    .uses_dynamic_stack: false
    .vgpr_count:     18
    .vgpr_spill_count: 0
    .wavefront_size: 32
    .workgroup_processor_mode: 1
  - .args:
      - .address_space:  global
        .offset:         0
        .size:           8
        .value_kind:     global_buffer
      - .address_space:  global
        .offset:         8
        .size:           8
        .value_kind:     global_buffer
      - .address_space:  global
        .offset:         16
        .size:           8
        .value_kind:     global_buffer
      - .offset:         24
        .size:           32
        .value_kind:     by_value
      - .address_space:  global
        .offset:         56
        .size:           8
        .value_kind:     global_buffer
      - .offset:         64
        .size:           4
        .value_kind:     by_value
      - .offset:         68
        .size:           12
        .value_kind:     by_value
      - .offset:         80
        .size:           4
        .value_kind:     by_value
      - .offset:         84
        .size:           4
        .value_kind:     by_value
      - .offset:         88
        .size:           4
        .value_kind:     by_value
      - .offset:         92
        .size:           12
        .value_kind:     by_value
      - .offset:         104
        .size:           4
        .value_kind:     by_value
      - .offset:         108
        .size:           4
        .value_kind:     by_value
      - .offset:         112
        .size:           4
        .value_kind:     by_value
      - .offset:         116
        .size:           12
        .value_kind:     by_value
      - .offset:         128
        .size:           4
        .value_kind:     by_value
      - .offset:         132
        .size:           4
        .value_kind:     by_value
      - .offset:         136
        .size:           4
        .value_kind:     by_value
      - .offset:         140
        .size:           4
        .value_kind:     by_value
    .group_segment_fixed_size: 0
    .kernarg_segment_align: 8
    .kernarg_segment_size: 144
    .language:       OpenCL C
    .language_version:
      - 2
      - 0
    .max_flat_workgroup_size: 1024
    .name:           _ZL13mul_mat_vec_fIffLi3ELi96ELb0ELb0EEvPKT_PKfPKi31ggml_cuda_mm_fusion_args_devicePfi15HIP_vector_typeIjLj3EEiiiSA_iiiSA_iiii
    .private_segment_fixed_size: 0
    .sgpr_count:     38
    .sgpr_spill_count: 0
    .symbol:         _ZL13mul_mat_vec_fIffLi3ELi96ELb0ELb0EEvPKT_PKfPKi31ggml_cuda_mm_fusion_args_devicePfi15HIP_vector_typeIjLj3EEiiiSA_iiiSA_iiii.kd
    .uniform_work_group_size: 1
    .uses_dynamic_stack: false
    .vgpr_count:     18
    .vgpr_spill_count: 0
    .wavefront_size: 32
    .workgroup_processor_mode: 1
  - .args:
      - .address_space:  global
        .offset:         0
        .size:           8
        .value_kind:     global_buffer
      - .address_space:  global
        .offset:         8
        .size:           8
        .value_kind:     global_buffer
      - .address_space:  global
        .offset:         16
        .size:           8
        .value_kind:     global_buffer
      - .offset:         24
        .size:           32
        .value_kind:     by_value
      - .address_space:  global
        .offset:         56
        .size:           8
        .value_kind:     global_buffer
      - .offset:         64
        .size:           4
        .value_kind:     by_value
      - .offset:         68
        .size:           12
        .value_kind:     by_value
      - .offset:         80
        .size:           4
        .value_kind:     by_value
      - .offset:         84
        .size:           4
        .value_kind:     by_value
      - .offset:         88
        .size:           4
        .value_kind:     by_value
      - .offset:         92
        .size:           12
        .value_kind:     by_value
      - .offset:         104
        .size:           4
        .value_kind:     by_value
      - .offset:         108
        .size:           4
        .value_kind:     by_value
      - .offset:         112
        .size:           4
        .value_kind:     by_value
      - .offset:         116
        .size:           12
        .value_kind:     by_value
      - .offset:         128
        .size:           4
        .value_kind:     by_value
      - .offset:         132
        .size:           4
        .value_kind:     by_value
      - .offset:         136
        .size:           4
        .value_kind:     by_value
      - .offset:         140
        .size:           4
        .value_kind:     by_value
    .group_segment_fixed_size: 0
    .kernarg_segment_align: 8
    .kernarg_segment_size: 144
    .language:       OpenCL C
    .language_version:
      - 2
      - 0
    .max_flat_workgroup_size: 1024
    .name:           _ZL13mul_mat_vec_fIffLi3ELi128ELb0ELb0EEvPKT_PKfPKi31ggml_cuda_mm_fusion_args_devicePfi15HIP_vector_typeIjLj3EEiiiSA_iiiSA_iiii
    .private_segment_fixed_size: 0
    .sgpr_count:     38
    .sgpr_spill_count: 0
    .symbol:         _ZL13mul_mat_vec_fIffLi3ELi128ELb0ELb0EEvPKT_PKfPKi31ggml_cuda_mm_fusion_args_devicePfi15HIP_vector_typeIjLj3EEiiiSA_iiiSA_iiii.kd
    .uniform_work_group_size: 1
    .uses_dynamic_stack: false
    .vgpr_count:     18
    .vgpr_spill_count: 0
    .wavefront_size: 32
    .workgroup_processor_mode: 1
  - .args:
      - .address_space:  global
        .offset:         0
        .size:           8
        .value_kind:     global_buffer
      - .address_space:  global
        .offset:         8
        .size:           8
        .value_kind:     global_buffer
      - .address_space:  global
        .offset:         16
        .size:           8
        .value_kind:     global_buffer
      - .offset:         24
        .size:           32
        .value_kind:     by_value
      - .address_space:  global
        .offset:         56
        .size:           8
        .value_kind:     global_buffer
      - .offset:         64
        .size:           4
        .value_kind:     by_value
      - .offset:         68
        .size:           12
        .value_kind:     by_value
      - .offset:         80
        .size:           4
        .value_kind:     by_value
      - .offset:         84
        .size:           4
        .value_kind:     by_value
      - .offset:         88
        .size:           4
        .value_kind:     by_value
      - .offset:         92
        .size:           12
        .value_kind:     by_value
      - .offset:         104
        .size:           4
        .value_kind:     by_value
      - .offset:         108
        .size:           4
        .value_kind:     by_value
      - .offset:         112
        .size:           4
        .value_kind:     by_value
      - .offset:         116
        .size:           12
        .value_kind:     by_value
      - .offset:         128
        .size:           4
        .value_kind:     by_value
      - .offset:         132
        .size:           4
        .value_kind:     by_value
      - .offset:         136
        .size:           4
        .value_kind:     by_value
      - .offset:         140
        .size:           4
        .value_kind:     by_value
    .group_segment_fixed_size: 0
    .kernarg_segment_align: 8
    .kernarg_segment_size: 144
    .language:       OpenCL C
    .language_version:
      - 2
      - 0
    .max_flat_workgroup_size: 1024
    .name:           _ZL13mul_mat_vec_fIffLi3ELi160ELb0ELb0EEvPKT_PKfPKi31ggml_cuda_mm_fusion_args_devicePfi15HIP_vector_typeIjLj3EEiiiSA_iiiSA_iiii
    .private_segment_fixed_size: 0
    .sgpr_count:     38
    .sgpr_spill_count: 0
    .symbol:         _ZL13mul_mat_vec_fIffLi3ELi160ELb0ELb0EEvPKT_PKfPKi31ggml_cuda_mm_fusion_args_devicePfi15HIP_vector_typeIjLj3EEiiiSA_iiiSA_iiii.kd
    .uniform_work_group_size: 1
    .uses_dynamic_stack: false
    .vgpr_count:     18
    .vgpr_spill_count: 0
    .wavefront_size: 32
    .workgroup_processor_mode: 1
  - .args:
      - .address_space:  global
        .offset:         0
        .size:           8
        .value_kind:     global_buffer
      - .address_space:  global
        .offset:         8
        .size:           8
        .value_kind:     global_buffer
      - .address_space:  global
        .offset:         16
        .size:           8
        .value_kind:     global_buffer
      - .offset:         24
        .size:           32
        .value_kind:     by_value
      - .address_space:  global
        .offset:         56
        .size:           8
        .value_kind:     global_buffer
      - .offset:         64
        .size:           4
        .value_kind:     by_value
      - .offset:         68
        .size:           12
        .value_kind:     by_value
      - .offset:         80
        .size:           4
        .value_kind:     by_value
      - .offset:         84
        .size:           4
        .value_kind:     by_value
      - .offset:         88
        .size:           4
        .value_kind:     by_value
      - .offset:         92
        .size:           12
        .value_kind:     by_value
      - .offset:         104
        .size:           4
        .value_kind:     by_value
      - .offset:         108
        .size:           4
        .value_kind:     by_value
      - .offset:         112
        .size:           4
        .value_kind:     by_value
      - .offset:         116
        .size:           12
        .value_kind:     by_value
      - .offset:         128
        .size:           4
        .value_kind:     by_value
      - .offset:         132
        .size:           4
        .value_kind:     by_value
      - .offset:         136
        .size:           4
        .value_kind:     by_value
      - .offset:         140
        .size:           4
        .value_kind:     by_value
    .group_segment_fixed_size: 0
    .kernarg_segment_align: 8
    .kernarg_segment_size: 144
    .language:       OpenCL C
    .language_version:
      - 2
      - 0
    .max_flat_workgroup_size: 1024
    .name:           _ZL13mul_mat_vec_fIffLi3ELi192ELb0ELb0EEvPKT_PKfPKi31ggml_cuda_mm_fusion_args_devicePfi15HIP_vector_typeIjLj3EEiiiSA_iiiSA_iiii
    .private_segment_fixed_size: 0
    .sgpr_count:     38
    .sgpr_spill_count: 0
    .symbol:         _ZL13mul_mat_vec_fIffLi3ELi192ELb0ELb0EEvPKT_PKfPKi31ggml_cuda_mm_fusion_args_devicePfi15HIP_vector_typeIjLj3EEiiiSA_iiiSA_iiii.kd
    .uniform_work_group_size: 1
    .uses_dynamic_stack: false
    .vgpr_count:     18
    .vgpr_spill_count: 0
    .wavefront_size: 32
    .workgroup_processor_mode: 1
  - .args:
      - .address_space:  global
        .offset:         0
        .size:           8
        .value_kind:     global_buffer
      - .address_space:  global
        .offset:         8
        .size:           8
        .value_kind:     global_buffer
      - .address_space:  global
        .offset:         16
        .size:           8
        .value_kind:     global_buffer
      - .offset:         24
        .size:           32
        .value_kind:     by_value
      - .address_space:  global
        .offset:         56
        .size:           8
        .value_kind:     global_buffer
      - .offset:         64
        .size:           4
        .value_kind:     by_value
      - .offset:         68
        .size:           12
        .value_kind:     by_value
      - .offset:         80
        .size:           4
        .value_kind:     by_value
      - .offset:         84
        .size:           4
        .value_kind:     by_value
      - .offset:         88
        .size:           4
        .value_kind:     by_value
      - .offset:         92
        .size:           12
        .value_kind:     by_value
      - .offset:         104
        .size:           4
        .value_kind:     by_value
      - .offset:         108
        .size:           4
        .value_kind:     by_value
      - .offset:         112
        .size:           4
        .value_kind:     by_value
      - .offset:         116
        .size:           12
        .value_kind:     by_value
      - .offset:         128
        .size:           4
        .value_kind:     by_value
      - .offset:         132
        .size:           4
        .value_kind:     by_value
      - .offset:         136
        .size:           4
        .value_kind:     by_value
      - .offset:         140
        .size:           4
        .value_kind:     by_value
    .group_segment_fixed_size: 0
    .kernarg_segment_align: 8
    .kernarg_segment_size: 144
    .language:       OpenCL C
    .language_version:
      - 2
      - 0
    .max_flat_workgroup_size: 1024
    .name:           _ZL13mul_mat_vec_fIffLi3ELi224ELb0ELb0EEvPKT_PKfPKi31ggml_cuda_mm_fusion_args_devicePfi15HIP_vector_typeIjLj3EEiiiSA_iiiSA_iiii
    .private_segment_fixed_size: 0
    .sgpr_count:     38
    .sgpr_spill_count: 0
    .symbol:         _ZL13mul_mat_vec_fIffLi3ELi224ELb0ELb0EEvPKT_PKfPKi31ggml_cuda_mm_fusion_args_devicePfi15HIP_vector_typeIjLj3EEiiiSA_iiiSA_iiii.kd
    .uniform_work_group_size: 1
    .uses_dynamic_stack: false
    .vgpr_count:     18
    .vgpr_spill_count: 0
    .wavefront_size: 32
    .workgroup_processor_mode: 1
  - .args:
      - .address_space:  global
        .offset:         0
        .size:           8
        .value_kind:     global_buffer
      - .address_space:  global
        .offset:         8
        .size:           8
        .value_kind:     global_buffer
      - .address_space:  global
        .offset:         16
        .size:           8
        .value_kind:     global_buffer
      - .offset:         24
        .size:           32
        .value_kind:     by_value
      - .address_space:  global
        .offset:         56
        .size:           8
        .value_kind:     global_buffer
      - .offset:         64
        .size:           4
        .value_kind:     by_value
      - .offset:         68
        .size:           12
        .value_kind:     by_value
      - .offset:         80
        .size:           4
        .value_kind:     by_value
      - .offset:         84
        .size:           4
        .value_kind:     by_value
      - .offset:         88
        .size:           4
        .value_kind:     by_value
      - .offset:         92
        .size:           12
        .value_kind:     by_value
      - .offset:         104
        .size:           4
        .value_kind:     by_value
      - .offset:         108
        .size:           4
        .value_kind:     by_value
      - .offset:         112
        .size:           4
        .value_kind:     by_value
      - .offset:         116
        .size:           12
        .value_kind:     by_value
      - .offset:         128
        .size:           4
        .value_kind:     by_value
      - .offset:         132
        .size:           4
        .value_kind:     by_value
      - .offset:         136
        .size:           4
        .value_kind:     by_value
      - .offset:         140
        .size:           4
        .value_kind:     by_value
    .group_segment_fixed_size: 0
    .kernarg_segment_align: 8
    .kernarg_segment_size: 144
    .language:       OpenCL C
    .language_version:
      - 2
      - 0
    .max_flat_workgroup_size: 1024
    .name:           _ZL13mul_mat_vec_fIffLi3ELi256ELb0ELb0EEvPKT_PKfPKi31ggml_cuda_mm_fusion_args_devicePfi15HIP_vector_typeIjLj3EEiiiSA_iiiSA_iiii
    .private_segment_fixed_size: 0
    .sgpr_count:     38
    .sgpr_spill_count: 0
    .symbol:         _ZL13mul_mat_vec_fIffLi3ELi256ELb0ELb0EEvPKT_PKfPKi31ggml_cuda_mm_fusion_args_devicePfi15HIP_vector_typeIjLj3EEiiiSA_iiiSA_iiii.kd
    .uniform_work_group_size: 1
    .uses_dynamic_stack: false
    .vgpr_count:     18
    .vgpr_spill_count: 0
    .wavefront_size: 32
    .workgroup_processor_mode: 1
  - .args:
      - .address_space:  global
        .offset:         0
        .size:           8
        .value_kind:     global_buffer
      - .address_space:  global
        .offset:         8
        .size:           8
        .value_kind:     global_buffer
      - .address_space:  global
        .offset:         16
        .size:           8
        .value_kind:     global_buffer
      - .offset:         24
        .size:           32
        .value_kind:     by_value
      - .address_space:  global
        .offset:         56
        .size:           8
        .value_kind:     global_buffer
      - .offset:         64
        .size:           4
        .value_kind:     by_value
      - .offset:         68
        .size:           12
        .value_kind:     by_value
      - .offset:         80
        .size:           4
        .value_kind:     by_value
      - .offset:         84
        .size:           4
        .value_kind:     by_value
      - .offset:         88
        .size:           4
        .value_kind:     by_value
      - .offset:         92
        .size:           12
        .value_kind:     by_value
      - .offset:         104
        .size:           4
        .value_kind:     by_value
      - .offset:         108
        .size:           4
        .value_kind:     by_value
      - .offset:         112
        .size:           4
        .value_kind:     by_value
      - .offset:         116
        .size:           12
        .value_kind:     by_value
      - .offset:         128
        .size:           4
        .value_kind:     by_value
      - .offset:         132
        .size:           4
        .value_kind:     by_value
      - .offset:         136
        .size:           4
        .value_kind:     by_value
      - .offset:         140
        .size:           4
        .value_kind:     by_value
    .group_segment_fixed_size: 0
    .kernarg_segment_align: 8
    .kernarg_segment_size: 144
    .language:       OpenCL C
    .language_version:
      - 2
      - 0
    .max_flat_workgroup_size: 1024
    .name:           _ZL13mul_mat_vec_fIffLi4ELi32ELb0ELb0EEvPKT_PKfPKi31ggml_cuda_mm_fusion_args_devicePfi15HIP_vector_typeIjLj3EEiiiSA_iiiSA_iiii
    .private_segment_fixed_size: 0
    .sgpr_count:     34
    .sgpr_spill_count: 0
    .symbol:         _ZL13mul_mat_vec_fIffLi4ELi32ELb0ELb0EEvPKT_PKfPKi31ggml_cuda_mm_fusion_args_devicePfi15HIP_vector_typeIjLj3EEiiiSA_iiiSA_iiii.kd
    .uniform_work_group_size: 1
    .uses_dynamic_stack: false
    .vgpr_count:     20
    .vgpr_spill_count: 0
    .wavefront_size: 32
    .workgroup_processor_mode: 1
  - .args:
      - .address_space:  global
        .offset:         0
        .size:           8
        .value_kind:     global_buffer
      - .address_space:  global
        .offset:         8
        .size:           8
        .value_kind:     global_buffer
      - .address_space:  global
        .offset:         16
        .size:           8
        .value_kind:     global_buffer
      - .offset:         24
        .size:           32
        .value_kind:     by_value
      - .address_space:  global
        .offset:         56
        .size:           8
        .value_kind:     global_buffer
      - .offset:         64
        .size:           4
        .value_kind:     by_value
      - .offset:         68
        .size:           12
        .value_kind:     by_value
      - .offset:         80
        .size:           4
        .value_kind:     by_value
      - .offset:         84
        .size:           4
        .value_kind:     by_value
      - .offset:         88
        .size:           4
        .value_kind:     by_value
      - .offset:         92
        .size:           12
        .value_kind:     by_value
      - .offset:         104
        .size:           4
        .value_kind:     by_value
      - .offset:         108
        .size:           4
        .value_kind:     by_value
      - .offset:         112
        .size:           4
        .value_kind:     by_value
      - .offset:         116
        .size:           12
        .value_kind:     by_value
      - .offset:         128
        .size:           4
        .value_kind:     by_value
      - .offset:         132
        .size:           4
        .value_kind:     by_value
      - .offset:         136
        .size:           4
        .value_kind:     by_value
      - .offset:         140
        .size:           4
        .value_kind:     by_value
    .group_segment_fixed_size: 0
    .kernarg_segment_align: 8
    .kernarg_segment_size: 144
    .language:       OpenCL C
    .language_version:
      - 2
      - 0
    .max_flat_workgroup_size: 1024
    .name:           _ZL13mul_mat_vec_fIffLi4ELi64ELb0ELb0EEvPKT_PKfPKi31ggml_cuda_mm_fusion_args_devicePfi15HIP_vector_typeIjLj3EEiiiSA_iiiSA_iiii
    .private_segment_fixed_size: 0
    .sgpr_count:     38
    .sgpr_spill_count: 0
    .symbol:         _ZL13mul_mat_vec_fIffLi4ELi64ELb0ELb0EEvPKT_PKfPKi31ggml_cuda_mm_fusion_args_devicePfi15HIP_vector_typeIjLj3EEiiiSA_iiiSA_iiii.kd
    .uniform_work_group_size: 1
    .uses_dynamic_stack: false
    .vgpr_count:     21
    .vgpr_spill_count: 0
    .wavefront_size: 32
    .workgroup_processor_mode: 1
  - .args:
      - .address_space:  global
        .offset:         0
        .size:           8
        .value_kind:     global_buffer
      - .address_space:  global
        .offset:         8
        .size:           8
        .value_kind:     global_buffer
      - .address_space:  global
        .offset:         16
        .size:           8
        .value_kind:     global_buffer
      - .offset:         24
        .size:           32
        .value_kind:     by_value
      - .address_space:  global
        .offset:         56
        .size:           8
        .value_kind:     global_buffer
      - .offset:         64
        .size:           4
        .value_kind:     by_value
      - .offset:         68
        .size:           12
        .value_kind:     by_value
      - .offset:         80
        .size:           4
        .value_kind:     by_value
      - .offset:         84
        .size:           4
        .value_kind:     by_value
      - .offset:         88
        .size:           4
        .value_kind:     by_value
      - .offset:         92
        .size:           12
        .value_kind:     by_value
      - .offset:         104
        .size:           4
        .value_kind:     by_value
      - .offset:         108
        .size:           4
        .value_kind:     by_value
      - .offset:         112
        .size:           4
        .value_kind:     by_value
      - .offset:         116
        .size:           12
        .value_kind:     by_value
      - .offset:         128
        .size:           4
        .value_kind:     by_value
      - .offset:         132
        .size:           4
        .value_kind:     by_value
      - .offset:         136
        .size:           4
        .value_kind:     by_value
      - .offset:         140
        .size:           4
        .value_kind:     by_value
    .group_segment_fixed_size: 0
    .kernarg_segment_align: 8
    .kernarg_segment_size: 144
    .language:       OpenCL C
    .language_version:
      - 2
      - 0
    .max_flat_workgroup_size: 1024
    .name:           _ZL13mul_mat_vec_fIffLi4ELi96ELb0ELb0EEvPKT_PKfPKi31ggml_cuda_mm_fusion_args_devicePfi15HIP_vector_typeIjLj3EEiiiSA_iiiSA_iiii
    .private_segment_fixed_size: 0
    .sgpr_count:     38
    .sgpr_spill_count: 0
    .symbol:         _ZL13mul_mat_vec_fIffLi4ELi96ELb0ELb0EEvPKT_PKfPKi31ggml_cuda_mm_fusion_args_devicePfi15HIP_vector_typeIjLj3EEiiiSA_iiiSA_iiii.kd
    .uniform_work_group_size: 1
    .uses_dynamic_stack: false
    .vgpr_count:     21
    .vgpr_spill_count: 0
    .wavefront_size: 32
    .workgroup_processor_mode: 1
  - .args:
      - .address_space:  global
        .offset:         0
        .size:           8
        .value_kind:     global_buffer
      - .address_space:  global
        .offset:         8
        .size:           8
        .value_kind:     global_buffer
      - .address_space:  global
        .offset:         16
        .size:           8
        .value_kind:     global_buffer
      - .offset:         24
        .size:           32
        .value_kind:     by_value
      - .address_space:  global
        .offset:         56
        .size:           8
        .value_kind:     global_buffer
      - .offset:         64
        .size:           4
        .value_kind:     by_value
      - .offset:         68
        .size:           12
        .value_kind:     by_value
      - .offset:         80
        .size:           4
        .value_kind:     by_value
      - .offset:         84
        .size:           4
        .value_kind:     by_value
      - .offset:         88
        .size:           4
        .value_kind:     by_value
      - .offset:         92
        .size:           12
        .value_kind:     by_value
      - .offset:         104
        .size:           4
        .value_kind:     by_value
      - .offset:         108
        .size:           4
        .value_kind:     by_value
      - .offset:         112
        .size:           4
        .value_kind:     by_value
      - .offset:         116
        .size:           12
        .value_kind:     by_value
      - .offset:         128
        .size:           4
        .value_kind:     by_value
      - .offset:         132
        .size:           4
        .value_kind:     by_value
      - .offset:         136
        .size:           4
        .value_kind:     by_value
      - .offset:         140
        .size:           4
        .value_kind:     by_value
    .group_segment_fixed_size: 0
    .kernarg_segment_align: 8
    .kernarg_segment_size: 144
    .language:       OpenCL C
    .language_version:
      - 2
      - 0
    .max_flat_workgroup_size: 1024
    .name:           _ZL13mul_mat_vec_fIffLi4ELi128ELb0ELb0EEvPKT_PKfPKi31ggml_cuda_mm_fusion_args_devicePfi15HIP_vector_typeIjLj3EEiiiSA_iiiSA_iiii
    .private_segment_fixed_size: 0
    .sgpr_count:     38
    .sgpr_spill_count: 0
    .symbol:         _ZL13mul_mat_vec_fIffLi4ELi128ELb0ELb0EEvPKT_PKfPKi31ggml_cuda_mm_fusion_args_devicePfi15HIP_vector_typeIjLj3EEiiiSA_iiiSA_iiii.kd
    .uniform_work_group_size: 1
    .uses_dynamic_stack: false
    .vgpr_count:     21
    .vgpr_spill_count: 0
    .wavefront_size: 32
    .workgroup_processor_mode: 1
  - .args:
      - .address_space:  global
        .offset:         0
        .size:           8
        .value_kind:     global_buffer
      - .address_space:  global
        .offset:         8
        .size:           8
        .value_kind:     global_buffer
      - .address_space:  global
        .offset:         16
        .size:           8
        .value_kind:     global_buffer
      - .offset:         24
        .size:           32
        .value_kind:     by_value
      - .address_space:  global
        .offset:         56
        .size:           8
        .value_kind:     global_buffer
      - .offset:         64
        .size:           4
        .value_kind:     by_value
      - .offset:         68
        .size:           12
        .value_kind:     by_value
      - .offset:         80
        .size:           4
        .value_kind:     by_value
      - .offset:         84
        .size:           4
        .value_kind:     by_value
      - .offset:         88
        .size:           4
        .value_kind:     by_value
      - .offset:         92
        .size:           12
        .value_kind:     by_value
      - .offset:         104
        .size:           4
        .value_kind:     by_value
      - .offset:         108
        .size:           4
        .value_kind:     by_value
      - .offset:         112
        .size:           4
        .value_kind:     by_value
      - .offset:         116
        .size:           12
        .value_kind:     by_value
      - .offset:         128
        .size:           4
        .value_kind:     by_value
      - .offset:         132
        .size:           4
        .value_kind:     by_value
      - .offset:         136
        .size:           4
        .value_kind:     by_value
      - .offset:         140
        .size:           4
        .value_kind:     by_value
    .group_segment_fixed_size: 0
    .kernarg_segment_align: 8
    .kernarg_segment_size: 144
    .language:       OpenCL C
    .language_version:
      - 2
      - 0
    .max_flat_workgroup_size: 1024
    .name:           _ZL13mul_mat_vec_fIffLi4ELi160ELb0ELb0EEvPKT_PKfPKi31ggml_cuda_mm_fusion_args_devicePfi15HIP_vector_typeIjLj3EEiiiSA_iiiSA_iiii
    .private_segment_fixed_size: 0
    .sgpr_count:     38
    .sgpr_spill_count: 0
    .symbol:         _ZL13mul_mat_vec_fIffLi4ELi160ELb0ELb0EEvPKT_PKfPKi31ggml_cuda_mm_fusion_args_devicePfi15HIP_vector_typeIjLj3EEiiiSA_iiiSA_iiii.kd
    .uniform_work_group_size: 1
    .uses_dynamic_stack: false
    .vgpr_count:     21
    .vgpr_spill_count: 0
    .wavefront_size: 32
    .workgroup_processor_mode: 1
  - .args:
      - .address_space:  global
        .offset:         0
        .size:           8
        .value_kind:     global_buffer
      - .address_space:  global
        .offset:         8
        .size:           8
        .value_kind:     global_buffer
      - .address_space:  global
        .offset:         16
        .size:           8
        .value_kind:     global_buffer
      - .offset:         24
        .size:           32
        .value_kind:     by_value
      - .address_space:  global
        .offset:         56
        .size:           8
        .value_kind:     global_buffer
      - .offset:         64
        .size:           4
        .value_kind:     by_value
      - .offset:         68
        .size:           12
        .value_kind:     by_value
      - .offset:         80
        .size:           4
        .value_kind:     by_value
      - .offset:         84
        .size:           4
        .value_kind:     by_value
      - .offset:         88
        .size:           4
        .value_kind:     by_value
      - .offset:         92
        .size:           12
        .value_kind:     by_value
      - .offset:         104
        .size:           4
        .value_kind:     by_value
      - .offset:         108
        .size:           4
        .value_kind:     by_value
      - .offset:         112
        .size:           4
        .value_kind:     by_value
      - .offset:         116
        .size:           12
        .value_kind:     by_value
      - .offset:         128
        .size:           4
        .value_kind:     by_value
      - .offset:         132
        .size:           4
        .value_kind:     by_value
      - .offset:         136
        .size:           4
        .value_kind:     by_value
      - .offset:         140
        .size:           4
        .value_kind:     by_value
    .group_segment_fixed_size: 0
    .kernarg_segment_align: 8
    .kernarg_segment_size: 144
    .language:       OpenCL C
    .language_version:
      - 2
      - 0
    .max_flat_workgroup_size: 1024
    .name:           _ZL13mul_mat_vec_fIffLi4ELi192ELb0ELb0EEvPKT_PKfPKi31ggml_cuda_mm_fusion_args_devicePfi15HIP_vector_typeIjLj3EEiiiSA_iiiSA_iiii
    .private_segment_fixed_size: 0
    .sgpr_count:     38
    .sgpr_spill_count: 0
    .symbol:         _ZL13mul_mat_vec_fIffLi4ELi192ELb0ELb0EEvPKT_PKfPKi31ggml_cuda_mm_fusion_args_devicePfi15HIP_vector_typeIjLj3EEiiiSA_iiiSA_iiii.kd
    .uniform_work_group_size: 1
    .uses_dynamic_stack: false
    .vgpr_count:     21
    .vgpr_spill_count: 0
    .wavefront_size: 32
    .workgroup_processor_mode: 1
  - .args:
      - .address_space:  global
        .offset:         0
        .size:           8
        .value_kind:     global_buffer
      - .address_space:  global
        .offset:         8
        .size:           8
        .value_kind:     global_buffer
      - .address_space:  global
        .offset:         16
        .size:           8
        .value_kind:     global_buffer
      - .offset:         24
        .size:           32
        .value_kind:     by_value
      - .address_space:  global
        .offset:         56
        .size:           8
        .value_kind:     global_buffer
      - .offset:         64
        .size:           4
        .value_kind:     by_value
      - .offset:         68
        .size:           12
        .value_kind:     by_value
      - .offset:         80
        .size:           4
        .value_kind:     by_value
      - .offset:         84
        .size:           4
        .value_kind:     by_value
      - .offset:         88
        .size:           4
        .value_kind:     by_value
      - .offset:         92
        .size:           12
        .value_kind:     by_value
      - .offset:         104
        .size:           4
        .value_kind:     by_value
      - .offset:         108
        .size:           4
        .value_kind:     by_value
      - .offset:         112
        .size:           4
        .value_kind:     by_value
      - .offset:         116
        .size:           12
        .value_kind:     by_value
      - .offset:         128
        .size:           4
        .value_kind:     by_value
      - .offset:         132
        .size:           4
        .value_kind:     by_value
      - .offset:         136
        .size:           4
        .value_kind:     by_value
      - .offset:         140
        .size:           4
        .value_kind:     by_value
    .group_segment_fixed_size: 0
    .kernarg_segment_align: 8
    .kernarg_segment_size: 144
    .language:       OpenCL C
    .language_version:
      - 2
      - 0
    .max_flat_workgroup_size: 1024
    .name:           _ZL13mul_mat_vec_fIffLi4ELi224ELb0ELb0EEvPKT_PKfPKi31ggml_cuda_mm_fusion_args_devicePfi15HIP_vector_typeIjLj3EEiiiSA_iiiSA_iiii
    .private_segment_fixed_size: 0
    .sgpr_count:     38
    .sgpr_spill_count: 0
    .symbol:         _ZL13mul_mat_vec_fIffLi4ELi224ELb0ELb0EEvPKT_PKfPKi31ggml_cuda_mm_fusion_args_devicePfi15HIP_vector_typeIjLj3EEiiiSA_iiiSA_iiii.kd
    .uniform_work_group_size: 1
    .uses_dynamic_stack: false
    .vgpr_count:     21
    .vgpr_spill_count: 0
    .wavefront_size: 32
    .workgroup_processor_mode: 1
  - .args:
      - .address_space:  global
        .offset:         0
        .size:           8
        .value_kind:     global_buffer
      - .address_space:  global
        .offset:         8
        .size:           8
        .value_kind:     global_buffer
      - .address_space:  global
        .offset:         16
        .size:           8
        .value_kind:     global_buffer
      - .offset:         24
        .size:           32
        .value_kind:     by_value
      - .address_space:  global
        .offset:         56
        .size:           8
        .value_kind:     global_buffer
      - .offset:         64
        .size:           4
        .value_kind:     by_value
      - .offset:         68
        .size:           12
        .value_kind:     by_value
      - .offset:         80
        .size:           4
        .value_kind:     by_value
      - .offset:         84
        .size:           4
        .value_kind:     by_value
      - .offset:         88
        .size:           4
        .value_kind:     by_value
      - .offset:         92
        .size:           12
        .value_kind:     by_value
      - .offset:         104
        .size:           4
        .value_kind:     by_value
      - .offset:         108
        .size:           4
        .value_kind:     by_value
      - .offset:         112
        .size:           4
        .value_kind:     by_value
      - .offset:         116
        .size:           12
        .value_kind:     by_value
      - .offset:         128
        .size:           4
        .value_kind:     by_value
      - .offset:         132
        .size:           4
        .value_kind:     by_value
      - .offset:         136
        .size:           4
        .value_kind:     by_value
      - .offset:         140
        .size:           4
        .value_kind:     by_value
    .group_segment_fixed_size: 0
    .kernarg_segment_align: 8
    .kernarg_segment_size: 144
    .language:       OpenCL C
    .language_version:
      - 2
      - 0
    .max_flat_workgroup_size: 1024
    .name:           _ZL13mul_mat_vec_fIffLi4ELi256ELb0ELb0EEvPKT_PKfPKi31ggml_cuda_mm_fusion_args_devicePfi15HIP_vector_typeIjLj3EEiiiSA_iiiSA_iiii
    .private_segment_fixed_size: 0
    .sgpr_count:     38
    .sgpr_spill_count: 0
    .symbol:         _ZL13mul_mat_vec_fIffLi4ELi256ELb0ELb0EEvPKT_PKfPKi31ggml_cuda_mm_fusion_args_devicePfi15HIP_vector_typeIjLj3EEiiiSA_iiiSA_iiii.kd
    .uniform_work_group_size: 1
    .uses_dynamic_stack: false
    .vgpr_count:     21
    .vgpr_spill_count: 0
    .wavefront_size: 32
    .workgroup_processor_mode: 1
  - .args:
      - .address_space:  global
        .offset:         0
        .size:           8
        .value_kind:     global_buffer
      - .address_space:  global
        .offset:         8
        .size:           8
        .value_kind:     global_buffer
      - .address_space:  global
        .offset:         16
        .size:           8
        .value_kind:     global_buffer
      - .offset:         24
        .size:           32
        .value_kind:     by_value
      - .address_space:  global
        .offset:         56
        .size:           8
        .value_kind:     global_buffer
      - .offset:         64
        .size:           4
        .value_kind:     by_value
      - .offset:         68
        .size:           12
        .value_kind:     by_value
      - .offset:         80
        .size:           4
        .value_kind:     by_value
      - .offset:         84
        .size:           4
        .value_kind:     by_value
      - .offset:         88
        .size:           4
        .value_kind:     by_value
      - .offset:         92
        .size:           12
        .value_kind:     by_value
      - .offset:         104
        .size:           4
        .value_kind:     by_value
      - .offset:         108
        .size:           4
        .value_kind:     by_value
      - .offset:         112
        .size:           4
        .value_kind:     by_value
      - .offset:         116
        .size:           12
        .value_kind:     by_value
      - .offset:         128
        .size:           4
        .value_kind:     by_value
      - .offset:         132
        .size:           4
        .value_kind:     by_value
      - .offset:         136
        .size:           4
        .value_kind:     by_value
      - .offset:         140
        .size:           4
        .value_kind:     by_value
    .group_segment_fixed_size: 0
    .kernarg_segment_align: 8
    .kernarg_segment_size: 144
    .language:       OpenCL C
    .language_version:
      - 2
      - 0
    .max_flat_workgroup_size: 1024
    .name:           _ZL13mul_mat_vec_fIffLi5ELi32ELb0ELb0EEvPKT_PKfPKi31ggml_cuda_mm_fusion_args_devicePfi15HIP_vector_typeIjLj3EEiiiSA_iiiSA_iiii
    .private_segment_fixed_size: 0
    .sgpr_count:     38
    .sgpr_spill_count: 0
    .symbol:         _ZL13mul_mat_vec_fIffLi5ELi32ELb0ELb0EEvPKT_PKfPKi31ggml_cuda_mm_fusion_args_devicePfi15HIP_vector_typeIjLj3EEiiiSA_iiiSA_iiii.kd
    .uniform_work_group_size: 1
    .uses_dynamic_stack: false
    .vgpr_count:     23
    .vgpr_spill_count: 0
    .wavefront_size: 32
    .workgroup_processor_mode: 1
  - .args:
      - .address_space:  global
        .offset:         0
        .size:           8
        .value_kind:     global_buffer
      - .address_space:  global
        .offset:         8
        .size:           8
        .value_kind:     global_buffer
      - .address_space:  global
        .offset:         16
        .size:           8
        .value_kind:     global_buffer
      - .offset:         24
        .size:           32
        .value_kind:     by_value
      - .address_space:  global
        .offset:         56
        .size:           8
        .value_kind:     global_buffer
      - .offset:         64
        .size:           4
        .value_kind:     by_value
      - .offset:         68
        .size:           12
        .value_kind:     by_value
      - .offset:         80
        .size:           4
        .value_kind:     by_value
      - .offset:         84
        .size:           4
        .value_kind:     by_value
      - .offset:         88
        .size:           4
        .value_kind:     by_value
      - .offset:         92
        .size:           12
        .value_kind:     by_value
      - .offset:         104
        .size:           4
        .value_kind:     by_value
      - .offset:         108
        .size:           4
        .value_kind:     by_value
      - .offset:         112
        .size:           4
        .value_kind:     by_value
      - .offset:         116
        .size:           12
        .value_kind:     by_value
      - .offset:         128
        .size:           4
        .value_kind:     by_value
      - .offset:         132
        .size:           4
        .value_kind:     by_value
      - .offset:         136
        .size:           4
        .value_kind:     by_value
      - .offset:         140
        .size:           4
        .value_kind:     by_value
    .group_segment_fixed_size: 0
    .kernarg_segment_align: 8
    .kernarg_segment_size: 144
    .language:       OpenCL C
    .language_version:
      - 2
      - 0
    .max_flat_workgroup_size: 1024
    .name:           _ZL13mul_mat_vec_fIffLi5ELi64ELb0ELb0EEvPKT_PKfPKi31ggml_cuda_mm_fusion_args_devicePfi15HIP_vector_typeIjLj3EEiiiSA_iiiSA_iiii
    .private_segment_fixed_size: 0
    .sgpr_count:     38
    .sgpr_spill_count: 0
    .symbol:         _ZL13mul_mat_vec_fIffLi5ELi64ELb0ELb0EEvPKT_PKfPKi31ggml_cuda_mm_fusion_args_devicePfi15HIP_vector_typeIjLj3EEiiiSA_iiiSA_iiii.kd
    .uniform_work_group_size: 1
    .uses_dynamic_stack: false
    .vgpr_count:     24
    .vgpr_spill_count: 0
    .wavefront_size: 32
    .workgroup_processor_mode: 1
  - .args:
      - .address_space:  global
        .offset:         0
        .size:           8
        .value_kind:     global_buffer
      - .address_space:  global
        .offset:         8
        .size:           8
        .value_kind:     global_buffer
      - .address_space:  global
        .offset:         16
        .size:           8
        .value_kind:     global_buffer
      - .offset:         24
        .size:           32
        .value_kind:     by_value
      - .address_space:  global
        .offset:         56
        .size:           8
        .value_kind:     global_buffer
      - .offset:         64
        .size:           4
        .value_kind:     by_value
      - .offset:         68
        .size:           12
        .value_kind:     by_value
      - .offset:         80
        .size:           4
        .value_kind:     by_value
      - .offset:         84
        .size:           4
        .value_kind:     by_value
      - .offset:         88
        .size:           4
        .value_kind:     by_value
      - .offset:         92
        .size:           12
        .value_kind:     by_value
      - .offset:         104
        .size:           4
        .value_kind:     by_value
      - .offset:         108
        .size:           4
        .value_kind:     by_value
      - .offset:         112
        .size:           4
        .value_kind:     by_value
      - .offset:         116
        .size:           12
        .value_kind:     by_value
      - .offset:         128
        .size:           4
        .value_kind:     by_value
      - .offset:         132
        .size:           4
        .value_kind:     by_value
      - .offset:         136
        .size:           4
        .value_kind:     by_value
      - .offset:         140
        .size:           4
        .value_kind:     by_value
    .group_segment_fixed_size: 0
    .kernarg_segment_align: 8
    .kernarg_segment_size: 144
    .language:       OpenCL C
    .language_version:
      - 2
      - 0
    .max_flat_workgroup_size: 1024
    .name:           _ZL13mul_mat_vec_fIffLi5ELi96ELb0ELb0EEvPKT_PKfPKi31ggml_cuda_mm_fusion_args_devicePfi15HIP_vector_typeIjLj3EEiiiSA_iiiSA_iiii
    .private_segment_fixed_size: 0
    .sgpr_count:     38
    .sgpr_spill_count: 0
    .symbol:         _ZL13mul_mat_vec_fIffLi5ELi96ELb0ELb0EEvPKT_PKfPKi31ggml_cuda_mm_fusion_args_devicePfi15HIP_vector_typeIjLj3EEiiiSA_iiiSA_iiii.kd
    .uniform_work_group_size: 1
    .uses_dynamic_stack: false
    .vgpr_count:     24
    .vgpr_spill_count: 0
    .wavefront_size: 32
    .workgroup_processor_mode: 1
  - .args:
      - .address_space:  global
        .offset:         0
        .size:           8
        .value_kind:     global_buffer
      - .address_space:  global
        .offset:         8
        .size:           8
        .value_kind:     global_buffer
      - .address_space:  global
        .offset:         16
        .size:           8
        .value_kind:     global_buffer
      - .offset:         24
        .size:           32
        .value_kind:     by_value
      - .address_space:  global
        .offset:         56
        .size:           8
        .value_kind:     global_buffer
      - .offset:         64
        .size:           4
        .value_kind:     by_value
      - .offset:         68
        .size:           12
        .value_kind:     by_value
      - .offset:         80
        .size:           4
        .value_kind:     by_value
      - .offset:         84
        .size:           4
        .value_kind:     by_value
      - .offset:         88
        .size:           4
        .value_kind:     by_value
      - .offset:         92
        .size:           12
        .value_kind:     by_value
      - .offset:         104
        .size:           4
        .value_kind:     by_value
      - .offset:         108
        .size:           4
        .value_kind:     by_value
      - .offset:         112
        .size:           4
        .value_kind:     by_value
      - .offset:         116
        .size:           12
        .value_kind:     by_value
      - .offset:         128
        .size:           4
        .value_kind:     by_value
      - .offset:         132
        .size:           4
        .value_kind:     by_value
      - .offset:         136
        .size:           4
        .value_kind:     by_value
      - .offset:         140
        .size:           4
        .value_kind:     by_value
    .group_segment_fixed_size: 0
    .kernarg_segment_align: 8
    .kernarg_segment_size: 144
    .language:       OpenCL C
    .language_version:
      - 2
      - 0
    .max_flat_workgroup_size: 1024
    .name:           _ZL13mul_mat_vec_fIffLi5ELi128ELb0ELb0EEvPKT_PKfPKi31ggml_cuda_mm_fusion_args_devicePfi15HIP_vector_typeIjLj3EEiiiSA_iiiSA_iiii
    .private_segment_fixed_size: 0
    .sgpr_count:     38
    .sgpr_spill_count: 0
    .symbol:         _ZL13mul_mat_vec_fIffLi5ELi128ELb0ELb0EEvPKT_PKfPKi31ggml_cuda_mm_fusion_args_devicePfi15HIP_vector_typeIjLj3EEiiiSA_iiiSA_iiii.kd
    .uniform_work_group_size: 1
    .uses_dynamic_stack: false
    .vgpr_count:     24
    .vgpr_spill_count: 0
    .wavefront_size: 32
    .workgroup_processor_mode: 1
  - .args:
      - .address_space:  global
        .offset:         0
        .size:           8
        .value_kind:     global_buffer
      - .address_space:  global
        .offset:         8
        .size:           8
        .value_kind:     global_buffer
      - .address_space:  global
        .offset:         16
        .size:           8
        .value_kind:     global_buffer
      - .offset:         24
        .size:           32
        .value_kind:     by_value
      - .address_space:  global
        .offset:         56
        .size:           8
        .value_kind:     global_buffer
      - .offset:         64
        .size:           4
        .value_kind:     by_value
      - .offset:         68
        .size:           12
        .value_kind:     by_value
      - .offset:         80
        .size:           4
        .value_kind:     by_value
      - .offset:         84
        .size:           4
        .value_kind:     by_value
      - .offset:         88
        .size:           4
        .value_kind:     by_value
      - .offset:         92
        .size:           12
        .value_kind:     by_value
      - .offset:         104
        .size:           4
        .value_kind:     by_value
      - .offset:         108
        .size:           4
        .value_kind:     by_value
      - .offset:         112
        .size:           4
        .value_kind:     by_value
      - .offset:         116
        .size:           12
        .value_kind:     by_value
      - .offset:         128
        .size:           4
        .value_kind:     by_value
      - .offset:         132
        .size:           4
        .value_kind:     by_value
      - .offset:         136
        .size:           4
        .value_kind:     by_value
      - .offset:         140
        .size:           4
        .value_kind:     by_value
    .group_segment_fixed_size: 0
    .kernarg_segment_align: 8
    .kernarg_segment_size: 144
    .language:       OpenCL C
    .language_version:
      - 2
      - 0
    .max_flat_workgroup_size: 1024
    .name:           _ZL13mul_mat_vec_fIffLi5ELi160ELb0ELb0EEvPKT_PKfPKi31ggml_cuda_mm_fusion_args_devicePfi15HIP_vector_typeIjLj3EEiiiSA_iiiSA_iiii
    .private_segment_fixed_size: 0
    .sgpr_count:     38
    .sgpr_spill_count: 0
    .symbol:         _ZL13mul_mat_vec_fIffLi5ELi160ELb0ELb0EEvPKT_PKfPKi31ggml_cuda_mm_fusion_args_devicePfi15HIP_vector_typeIjLj3EEiiiSA_iiiSA_iiii.kd
    .uniform_work_group_size: 1
    .uses_dynamic_stack: false
    .vgpr_count:     24
    .vgpr_spill_count: 0
    .wavefront_size: 32
    .workgroup_processor_mode: 1
  - .args:
      - .address_space:  global
        .offset:         0
        .size:           8
        .value_kind:     global_buffer
      - .address_space:  global
        .offset:         8
        .size:           8
        .value_kind:     global_buffer
      - .address_space:  global
        .offset:         16
        .size:           8
        .value_kind:     global_buffer
      - .offset:         24
        .size:           32
        .value_kind:     by_value
      - .address_space:  global
        .offset:         56
        .size:           8
        .value_kind:     global_buffer
      - .offset:         64
        .size:           4
        .value_kind:     by_value
      - .offset:         68
        .size:           12
        .value_kind:     by_value
      - .offset:         80
        .size:           4
        .value_kind:     by_value
      - .offset:         84
        .size:           4
        .value_kind:     by_value
      - .offset:         88
        .size:           4
        .value_kind:     by_value
      - .offset:         92
        .size:           12
        .value_kind:     by_value
      - .offset:         104
        .size:           4
        .value_kind:     by_value
      - .offset:         108
        .size:           4
        .value_kind:     by_value
      - .offset:         112
        .size:           4
        .value_kind:     by_value
      - .offset:         116
        .size:           12
        .value_kind:     by_value
      - .offset:         128
        .size:           4
        .value_kind:     by_value
      - .offset:         132
        .size:           4
        .value_kind:     by_value
      - .offset:         136
        .size:           4
        .value_kind:     by_value
      - .offset:         140
        .size:           4
        .value_kind:     by_value
    .group_segment_fixed_size: 0
    .kernarg_segment_align: 8
    .kernarg_segment_size: 144
    .language:       OpenCL C
    .language_version:
      - 2
      - 0
    .max_flat_workgroup_size: 1024
    .name:           _ZL13mul_mat_vec_fIffLi5ELi192ELb0ELb0EEvPKT_PKfPKi31ggml_cuda_mm_fusion_args_devicePfi15HIP_vector_typeIjLj3EEiiiSA_iiiSA_iiii
    .private_segment_fixed_size: 0
    .sgpr_count:     38
    .sgpr_spill_count: 0
    .symbol:         _ZL13mul_mat_vec_fIffLi5ELi192ELb0ELb0EEvPKT_PKfPKi31ggml_cuda_mm_fusion_args_devicePfi15HIP_vector_typeIjLj3EEiiiSA_iiiSA_iiii.kd
    .uniform_work_group_size: 1
    .uses_dynamic_stack: false
    .vgpr_count:     24
    .vgpr_spill_count: 0
    .wavefront_size: 32
    .workgroup_processor_mode: 1
  - .args:
      - .address_space:  global
        .offset:         0
        .size:           8
        .value_kind:     global_buffer
      - .address_space:  global
        .offset:         8
        .size:           8
        .value_kind:     global_buffer
      - .address_space:  global
        .offset:         16
        .size:           8
        .value_kind:     global_buffer
      - .offset:         24
        .size:           32
        .value_kind:     by_value
      - .address_space:  global
        .offset:         56
        .size:           8
        .value_kind:     global_buffer
      - .offset:         64
        .size:           4
        .value_kind:     by_value
      - .offset:         68
        .size:           12
        .value_kind:     by_value
      - .offset:         80
        .size:           4
        .value_kind:     by_value
      - .offset:         84
        .size:           4
        .value_kind:     by_value
      - .offset:         88
        .size:           4
        .value_kind:     by_value
      - .offset:         92
        .size:           12
        .value_kind:     by_value
      - .offset:         104
        .size:           4
        .value_kind:     by_value
      - .offset:         108
        .size:           4
        .value_kind:     by_value
      - .offset:         112
        .size:           4
        .value_kind:     by_value
      - .offset:         116
        .size:           12
        .value_kind:     by_value
      - .offset:         128
        .size:           4
        .value_kind:     by_value
      - .offset:         132
        .size:           4
        .value_kind:     by_value
      - .offset:         136
        .size:           4
        .value_kind:     by_value
      - .offset:         140
        .size:           4
        .value_kind:     by_value
    .group_segment_fixed_size: 0
    .kernarg_segment_align: 8
    .kernarg_segment_size: 144
    .language:       OpenCL C
    .language_version:
      - 2
      - 0
    .max_flat_workgroup_size: 1024
    .name:           _ZL13mul_mat_vec_fIffLi5ELi224ELb0ELb0EEvPKT_PKfPKi31ggml_cuda_mm_fusion_args_devicePfi15HIP_vector_typeIjLj3EEiiiSA_iiiSA_iiii
    .private_segment_fixed_size: 0
    .sgpr_count:     38
    .sgpr_spill_count: 0
    .symbol:         _ZL13mul_mat_vec_fIffLi5ELi224ELb0ELb0EEvPKT_PKfPKi31ggml_cuda_mm_fusion_args_devicePfi15HIP_vector_typeIjLj3EEiiiSA_iiiSA_iiii.kd
    .uniform_work_group_size: 1
    .uses_dynamic_stack: false
    .vgpr_count:     24
    .vgpr_spill_count: 0
    .wavefront_size: 32
    .workgroup_processor_mode: 1
  - .args:
      - .address_space:  global
        .offset:         0
        .size:           8
        .value_kind:     global_buffer
      - .address_space:  global
        .offset:         8
        .size:           8
        .value_kind:     global_buffer
      - .address_space:  global
        .offset:         16
        .size:           8
        .value_kind:     global_buffer
      - .offset:         24
        .size:           32
        .value_kind:     by_value
      - .address_space:  global
        .offset:         56
        .size:           8
        .value_kind:     global_buffer
      - .offset:         64
        .size:           4
        .value_kind:     by_value
      - .offset:         68
        .size:           12
        .value_kind:     by_value
      - .offset:         80
        .size:           4
        .value_kind:     by_value
      - .offset:         84
        .size:           4
        .value_kind:     by_value
      - .offset:         88
        .size:           4
        .value_kind:     by_value
      - .offset:         92
        .size:           12
        .value_kind:     by_value
      - .offset:         104
        .size:           4
        .value_kind:     by_value
      - .offset:         108
        .size:           4
        .value_kind:     by_value
      - .offset:         112
        .size:           4
        .value_kind:     by_value
      - .offset:         116
        .size:           12
        .value_kind:     by_value
      - .offset:         128
        .size:           4
        .value_kind:     by_value
      - .offset:         132
        .size:           4
        .value_kind:     by_value
      - .offset:         136
        .size:           4
        .value_kind:     by_value
      - .offset:         140
        .size:           4
        .value_kind:     by_value
    .group_segment_fixed_size: 0
    .kernarg_segment_align: 8
    .kernarg_segment_size: 144
    .language:       OpenCL C
    .language_version:
      - 2
      - 0
    .max_flat_workgroup_size: 1024
    .name:           _ZL13mul_mat_vec_fIffLi5ELi256ELb0ELb0EEvPKT_PKfPKi31ggml_cuda_mm_fusion_args_devicePfi15HIP_vector_typeIjLj3EEiiiSA_iiiSA_iiii
    .private_segment_fixed_size: 0
    .sgpr_count:     38
    .sgpr_spill_count: 0
    .symbol:         _ZL13mul_mat_vec_fIffLi5ELi256ELb0ELb0EEvPKT_PKfPKi31ggml_cuda_mm_fusion_args_devicePfi15HIP_vector_typeIjLj3EEiiiSA_iiiSA_iiii.kd
    .uniform_work_group_size: 1
    .uses_dynamic_stack: false
    .vgpr_count:     24
    .vgpr_spill_count: 0
    .wavefront_size: 32
    .workgroup_processor_mode: 1
  - .args:
      - .address_space:  global
        .offset:         0
        .size:           8
        .value_kind:     global_buffer
      - .address_space:  global
        .offset:         8
        .size:           8
        .value_kind:     global_buffer
      - .address_space:  global
        .offset:         16
        .size:           8
        .value_kind:     global_buffer
      - .offset:         24
        .size:           32
        .value_kind:     by_value
      - .address_space:  global
        .offset:         56
        .size:           8
        .value_kind:     global_buffer
      - .offset:         64
        .size:           4
        .value_kind:     by_value
      - .offset:         68
        .size:           12
        .value_kind:     by_value
      - .offset:         80
        .size:           4
        .value_kind:     by_value
      - .offset:         84
        .size:           4
        .value_kind:     by_value
      - .offset:         88
        .size:           4
        .value_kind:     by_value
      - .offset:         92
        .size:           12
        .value_kind:     by_value
      - .offset:         104
        .size:           4
        .value_kind:     by_value
      - .offset:         108
        .size:           4
        .value_kind:     by_value
      - .offset:         112
        .size:           4
        .value_kind:     by_value
      - .offset:         116
        .size:           12
        .value_kind:     by_value
      - .offset:         128
        .size:           4
        .value_kind:     by_value
      - .offset:         132
        .size:           4
        .value_kind:     by_value
      - .offset:         136
        .size:           4
        .value_kind:     by_value
      - .offset:         140
        .size:           4
        .value_kind:     by_value
    .group_segment_fixed_size: 0
    .kernarg_segment_align: 8
    .kernarg_segment_size: 144
    .language:       OpenCL C
    .language_version:
      - 2
      - 0
    .max_flat_workgroup_size: 1024
    .name:           _ZL13mul_mat_vec_fIffLi6ELi32ELb0ELb0EEvPKT_PKfPKi31ggml_cuda_mm_fusion_args_devicePfi15HIP_vector_typeIjLj3EEiiiSA_iiiSA_iiii
    .private_segment_fixed_size: 0
    .sgpr_count:     38
    .sgpr_spill_count: 0
    .symbol:         _ZL13mul_mat_vec_fIffLi6ELi32ELb0ELb0EEvPKT_PKfPKi31ggml_cuda_mm_fusion_args_devicePfi15HIP_vector_typeIjLj3EEiiiSA_iiiSA_iiii.kd
    .uniform_work_group_size: 1
    .uses_dynamic_stack: false
    .vgpr_count:     26
    .vgpr_spill_count: 0
    .wavefront_size: 32
    .workgroup_processor_mode: 1
  - .args:
      - .address_space:  global
        .offset:         0
        .size:           8
        .value_kind:     global_buffer
      - .address_space:  global
        .offset:         8
        .size:           8
        .value_kind:     global_buffer
      - .address_space:  global
        .offset:         16
        .size:           8
        .value_kind:     global_buffer
      - .offset:         24
        .size:           32
        .value_kind:     by_value
      - .address_space:  global
        .offset:         56
        .size:           8
        .value_kind:     global_buffer
      - .offset:         64
        .size:           4
        .value_kind:     by_value
      - .offset:         68
        .size:           12
        .value_kind:     by_value
      - .offset:         80
        .size:           4
        .value_kind:     by_value
      - .offset:         84
        .size:           4
        .value_kind:     by_value
      - .offset:         88
        .size:           4
        .value_kind:     by_value
      - .offset:         92
        .size:           12
        .value_kind:     by_value
      - .offset:         104
        .size:           4
        .value_kind:     by_value
      - .offset:         108
        .size:           4
        .value_kind:     by_value
      - .offset:         112
        .size:           4
        .value_kind:     by_value
      - .offset:         116
        .size:           12
        .value_kind:     by_value
      - .offset:         128
        .size:           4
        .value_kind:     by_value
      - .offset:         132
        .size:           4
        .value_kind:     by_value
      - .offset:         136
        .size:           4
        .value_kind:     by_value
      - .offset:         140
        .size:           4
        .value_kind:     by_value
    .group_segment_fixed_size: 0
    .kernarg_segment_align: 8
    .kernarg_segment_size: 144
    .language:       OpenCL C
    .language_version:
      - 2
      - 0
    .max_flat_workgroup_size: 1024
    .name:           _ZL13mul_mat_vec_fIffLi6ELi64ELb0ELb0EEvPKT_PKfPKi31ggml_cuda_mm_fusion_args_devicePfi15HIP_vector_typeIjLj3EEiiiSA_iiiSA_iiii
    .private_segment_fixed_size: 0
    .sgpr_count:     38
    .sgpr_spill_count: 0
    .symbol:         _ZL13mul_mat_vec_fIffLi6ELi64ELb0ELb0EEvPKT_PKfPKi31ggml_cuda_mm_fusion_args_devicePfi15HIP_vector_typeIjLj3EEiiiSA_iiiSA_iiii.kd
    .uniform_work_group_size: 1
    .uses_dynamic_stack: false
    .vgpr_count:     27
    .vgpr_spill_count: 0
    .wavefront_size: 32
    .workgroup_processor_mode: 1
  - .args:
      - .address_space:  global
        .offset:         0
        .size:           8
        .value_kind:     global_buffer
      - .address_space:  global
        .offset:         8
        .size:           8
        .value_kind:     global_buffer
      - .address_space:  global
        .offset:         16
        .size:           8
        .value_kind:     global_buffer
      - .offset:         24
        .size:           32
        .value_kind:     by_value
      - .address_space:  global
        .offset:         56
        .size:           8
        .value_kind:     global_buffer
      - .offset:         64
        .size:           4
        .value_kind:     by_value
      - .offset:         68
        .size:           12
        .value_kind:     by_value
      - .offset:         80
        .size:           4
        .value_kind:     by_value
      - .offset:         84
        .size:           4
        .value_kind:     by_value
      - .offset:         88
        .size:           4
        .value_kind:     by_value
      - .offset:         92
        .size:           12
        .value_kind:     by_value
      - .offset:         104
        .size:           4
        .value_kind:     by_value
      - .offset:         108
        .size:           4
        .value_kind:     by_value
      - .offset:         112
        .size:           4
        .value_kind:     by_value
      - .offset:         116
        .size:           12
        .value_kind:     by_value
      - .offset:         128
        .size:           4
        .value_kind:     by_value
      - .offset:         132
        .size:           4
        .value_kind:     by_value
      - .offset:         136
        .size:           4
        .value_kind:     by_value
      - .offset:         140
        .size:           4
        .value_kind:     by_value
    .group_segment_fixed_size: 0
    .kernarg_segment_align: 8
    .kernarg_segment_size: 144
    .language:       OpenCL C
    .language_version:
      - 2
      - 0
    .max_flat_workgroup_size: 1024
    .name:           _ZL13mul_mat_vec_fIffLi6ELi96ELb0ELb0EEvPKT_PKfPKi31ggml_cuda_mm_fusion_args_devicePfi15HIP_vector_typeIjLj3EEiiiSA_iiiSA_iiii
    .private_segment_fixed_size: 0
    .sgpr_count:     38
    .sgpr_spill_count: 0
    .symbol:         _ZL13mul_mat_vec_fIffLi6ELi96ELb0ELb0EEvPKT_PKfPKi31ggml_cuda_mm_fusion_args_devicePfi15HIP_vector_typeIjLj3EEiiiSA_iiiSA_iiii.kd
    .uniform_work_group_size: 1
    .uses_dynamic_stack: false
    .vgpr_count:     27
    .vgpr_spill_count: 0
    .wavefront_size: 32
    .workgroup_processor_mode: 1
  - .args:
      - .address_space:  global
        .offset:         0
        .size:           8
        .value_kind:     global_buffer
      - .address_space:  global
        .offset:         8
        .size:           8
        .value_kind:     global_buffer
      - .address_space:  global
        .offset:         16
        .size:           8
        .value_kind:     global_buffer
      - .offset:         24
        .size:           32
        .value_kind:     by_value
      - .address_space:  global
        .offset:         56
        .size:           8
        .value_kind:     global_buffer
      - .offset:         64
        .size:           4
        .value_kind:     by_value
      - .offset:         68
        .size:           12
        .value_kind:     by_value
      - .offset:         80
        .size:           4
        .value_kind:     by_value
      - .offset:         84
        .size:           4
        .value_kind:     by_value
      - .offset:         88
        .size:           4
        .value_kind:     by_value
      - .offset:         92
        .size:           12
        .value_kind:     by_value
      - .offset:         104
        .size:           4
        .value_kind:     by_value
      - .offset:         108
        .size:           4
        .value_kind:     by_value
      - .offset:         112
        .size:           4
        .value_kind:     by_value
      - .offset:         116
        .size:           12
        .value_kind:     by_value
      - .offset:         128
        .size:           4
        .value_kind:     by_value
      - .offset:         132
        .size:           4
        .value_kind:     by_value
      - .offset:         136
        .size:           4
        .value_kind:     by_value
      - .offset:         140
        .size:           4
        .value_kind:     by_value
    .group_segment_fixed_size: 0
    .kernarg_segment_align: 8
    .kernarg_segment_size: 144
    .language:       OpenCL C
    .language_version:
      - 2
      - 0
    .max_flat_workgroup_size: 1024
    .name:           _ZL13mul_mat_vec_fIffLi6ELi128ELb0ELb0EEvPKT_PKfPKi31ggml_cuda_mm_fusion_args_devicePfi15HIP_vector_typeIjLj3EEiiiSA_iiiSA_iiii
    .private_segment_fixed_size: 0
    .sgpr_count:     38
    .sgpr_spill_count: 0
    .symbol:         _ZL13mul_mat_vec_fIffLi6ELi128ELb0ELb0EEvPKT_PKfPKi31ggml_cuda_mm_fusion_args_devicePfi15HIP_vector_typeIjLj3EEiiiSA_iiiSA_iiii.kd
    .uniform_work_group_size: 1
    .uses_dynamic_stack: false
    .vgpr_count:     27
    .vgpr_spill_count: 0
    .wavefront_size: 32
    .workgroup_processor_mode: 1
  - .args:
      - .address_space:  global
        .offset:         0
        .size:           8
        .value_kind:     global_buffer
      - .address_space:  global
        .offset:         8
        .size:           8
        .value_kind:     global_buffer
      - .address_space:  global
        .offset:         16
        .size:           8
        .value_kind:     global_buffer
      - .offset:         24
        .size:           32
        .value_kind:     by_value
      - .address_space:  global
        .offset:         56
        .size:           8
        .value_kind:     global_buffer
      - .offset:         64
        .size:           4
        .value_kind:     by_value
      - .offset:         68
        .size:           12
        .value_kind:     by_value
      - .offset:         80
        .size:           4
        .value_kind:     by_value
      - .offset:         84
        .size:           4
        .value_kind:     by_value
      - .offset:         88
        .size:           4
        .value_kind:     by_value
      - .offset:         92
        .size:           12
        .value_kind:     by_value
      - .offset:         104
        .size:           4
        .value_kind:     by_value
      - .offset:         108
        .size:           4
        .value_kind:     by_value
      - .offset:         112
        .size:           4
        .value_kind:     by_value
      - .offset:         116
        .size:           12
        .value_kind:     by_value
      - .offset:         128
        .size:           4
        .value_kind:     by_value
      - .offset:         132
        .size:           4
        .value_kind:     by_value
      - .offset:         136
        .size:           4
        .value_kind:     by_value
      - .offset:         140
        .size:           4
        .value_kind:     by_value
    .group_segment_fixed_size: 0
    .kernarg_segment_align: 8
    .kernarg_segment_size: 144
    .language:       OpenCL C
    .language_version:
      - 2
      - 0
    .max_flat_workgroup_size: 1024
    .name:           _ZL13mul_mat_vec_fIffLi6ELi160ELb0ELb0EEvPKT_PKfPKi31ggml_cuda_mm_fusion_args_devicePfi15HIP_vector_typeIjLj3EEiiiSA_iiiSA_iiii
    .private_segment_fixed_size: 0
    .sgpr_count:     38
    .sgpr_spill_count: 0
    .symbol:         _ZL13mul_mat_vec_fIffLi6ELi160ELb0ELb0EEvPKT_PKfPKi31ggml_cuda_mm_fusion_args_devicePfi15HIP_vector_typeIjLj3EEiiiSA_iiiSA_iiii.kd
    .uniform_work_group_size: 1
    .uses_dynamic_stack: false
    .vgpr_count:     27
    .vgpr_spill_count: 0
    .wavefront_size: 32
    .workgroup_processor_mode: 1
  - .args:
      - .address_space:  global
        .offset:         0
        .size:           8
        .value_kind:     global_buffer
      - .address_space:  global
        .offset:         8
        .size:           8
        .value_kind:     global_buffer
      - .address_space:  global
        .offset:         16
        .size:           8
        .value_kind:     global_buffer
      - .offset:         24
        .size:           32
        .value_kind:     by_value
      - .address_space:  global
        .offset:         56
        .size:           8
        .value_kind:     global_buffer
      - .offset:         64
        .size:           4
        .value_kind:     by_value
      - .offset:         68
        .size:           12
        .value_kind:     by_value
      - .offset:         80
        .size:           4
        .value_kind:     by_value
      - .offset:         84
        .size:           4
        .value_kind:     by_value
      - .offset:         88
        .size:           4
        .value_kind:     by_value
      - .offset:         92
        .size:           12
        .value_kind:     by_value
      - .offset:         104
        .size:           4
        .value_kind:     by_value
      - .offset:         108
        .size:           4
        .value_kind:     by_value
      - .offset:         112
        .size:           4
        .value_kind:     by_value
      - .offset:         116
        .size:           12
        .value_kind:     by_value
      - .offset:         128
        .size:           4
        .value_kind:     by_value
      - .offset:         132
        .size:           4
        .value_kind:     by_value
      - .offset:         136
        .size:           4
        .value_kind:     by_value
      - .offset:         140
        .size:           4
        .value_kind:     by_value
    .group_segment_fixed_size: 0
    .kernarg_segment_align: 8
    .kernarg_segment_size: 144
    .language:       OpenCL C
    .language_version:
      - 2
      - 0
    .max_flat_workgroup_size: 1024
    .name:           _ZL13mul_mat_vec_fIffLi6ELi192ELb0ELb0EEvPKT_PKfPKi31ggml_cuda_mm_fusion_args_devicePfi15HIP_vector_typeIjLj3EEiiiSA_iiiSA_iiii
    .private_segment_fixed_size: 0
    .sgpr_count:     38
    .sgpr_spill_count: 0
    .symbol:         _ZL13mul_mat_vec_fIffLi6ELi192ELb0ELb0EEvPKT_PKfPKi31ggml_cuda_mm_fusion_args_devicePfi15HIP_vector_typeIjLj3EEiiiSA_iiiSA_iiii.kd
    .uniform_work_group_size: 1
    .uses_dynamic_stack: false
    .vgpr_count:     27
    .vgpr_spill_count: 0
    .wavefront_size: 32
    .workgroup_processor_mode: 1
  - .args:
      - .address_space:  global
        .offset:         0
        .size:           8
        .value_kind:     global_buffer
      - .address_space:  global
        .offset:         8
        .size:           8
        .value_kind:     global_buffer
      - .address_space:  global
        .offset:         16
        .size:           8
        .value_kind:     global_buffer
      - .offset:         24
        .size:           32
        .value_kind:     by_value
      - .address_space:  global
        .offset:         56
        .size:           8
        .value_kind:     global_buffer
      - .offset:         64
        .size:           4
        .value_kind:     by_value
      - .offset:         68
        .size:           12
        .value_kind:     by_value
      - .offset:         80
        .size:           4
        .value_kind:     by_value
      - .offset:         84
        .size:           4
        .value_kind:     by_value
      - .offset:         88
        .size:           4
        .value_kind:     by_value
      - .offset:         92
        .size:           12
        .value_kind:     by_value
      - .offset:         104
        .size:           4
        .value_kind:     by_value
      - .offset:         108
        .size:           4
        .value_kind:     by_value
      - .offset:         112
        .size:           4
        .value_kind:     by_value
      - .offset:         116
        .size:           12
        .value_kind:     by_value
      - .offset:         128
        .size:           4
        .value_kind:     by_value
      - .offset:         132
        .size:           4
        .value_kind:     by_value
      - .offset:         136
        .size:           4
        .value_kind:     by_value
      - .offset:         140
        .size:           4
        .value_kind:     by_value
    .group_segment_fixed_size: 0
    .kernarg_segment_align: 8
    .kernarg_segment_size: 144
    .language:       OpenCL C
    .language_version:
      - 2
      - 0
    .max_flat_workgroup_size: 1024
    .name:           _ZL13mul_mat_vec_fIffLi6ELi224ELb0ELb0EEvPKT_PKfPKi31ggml_cuda_mm_fusion_args_devicePfi15HIP_vector_typeIjLj3EEiiiSA_iiiSA_iiii
    .private_segment_fixed_size: 0
    .sgpr_count:     38
    .sgpr_spill_count: 0
    .symbol:         _ZL13mul_mat_vec_fIffLi6ELi224ELb0ELb0EEvPKT_PKfPKi31ggml_cuda_mm_fusion_args_devicePfi15HIP_vector_typeIjLj3EEiiiSA_iiiSA_iiii.kd
    .uniform_work_group_size: 1
    .uses_dynamic_stack: false
    .vgpr_count:     27
    .vgpr_spill_count: 0
    .wavefront_size: 32
    .workgroup_processor_mode: 1
  - .args:
      - .address_space:  global
        .offset:         0
        .size:           8
        .value_kind:     global_buffer
      - .address_space:  global
        .offset:         8
        .size:           8
        .value_kind:     global_buffer
      - .address_space:  global
        .offset:         16
        .size:           8
        .value_kind:     global_buffer
      - .offset:         24
        .size:           32
        .value_kind:     by_value
      - .address_space:  global
        .offset:         56
        .size:           8
        .value_kind:     global_buffer
      - .offset:         64
        .size:           4
        .value_kind:     by_value
      - .offset:         68
        .size:           12
        .value_kind:     by_value
      - .offset:         80
        .size:           4
        .value_kind:     by_value
      - .offset:         84
        .size:           4
        .value_kind:     by_value
      - .offset:         88
        .size:           4
        .value_kind:     by_value
      - .offset:         92
        .size:           12
        .value_kind:     by_value
      - .offset:         104
        .size:           4
        .value_kind:     by_value
      - .offset:         108
        .size:           4
        .value_kind:     by_value
      - .offset:         112
        .size:           4
        .value_kind:     by_value
      - .offset:         116
        .size:           12
        .value_kind:     by_value
      - .offset:         128
        .size:           4
        .value_kind:     by_value
      - .offset:         132
        .size:           4
        .value_kind:     by_value
      - .offset:         136
        .size:           4
        .value_kind:     by_value
      - .offset:         140
        .size:           4
        .value_kind:     by_value
    .group_segment_fixed_size: 0
    .kernarg_segment_align: 8
    .kernarg_segment_size: 144
    .language:       OpenCL C
    .language_version:
      - 2
      - 0
    .max_flat_workgroup_size: 1024
    .name:           _ZL13mul_mat_vec_fIffLi6ELi256ELb0ELb0EEvPKT_PKfPKi31ggml_cuda_mm_fusion_args_devicePfi15HIP_vector_typeIjLj3EEiiiSA_iiiSA_iiii
    .private_segment_fixed_size: 0
    .sgpr_count:     38
    .sgpr_spill_count: 0
    .symbol:         _ZL13mul_mat_vec_fIffLi6ELi256ELb0ELb0EEvPKT_PKfPKi31ggml_cuda_mm_fusion_args_devicePfi15HIP_vector_typeIjLj3EEiiiSA_iiiSA_iiii.kd
    .uniform_work_group_size: 1
    .uses_dynamic_stack: false
    .vgpr_count:     27
    .vgpr_spill_count: 0
    .wavefront_size: 32
    .workgroup_processor_mode: 1
  - .args:
      - .address_space:  global
        .offset:         0
        .size:           8
        .value_kind:     global_buffer
      - .address_space:  global
        .offset:         8
        .size:           8
        .value_kind:     global_buffer
      - .address_space:  global
        .offset:         16
        .size:           8
        .value_kind:     global_buffer
      - .offset:         24
        .size:           32
        .value_kind:     by_value
      - .address_space:  global
        .offset:         56
        .size:           8
        .value_kind:     global_buffer
      - .offset:         64
        .size:           4
        .value_kind:     by_value
      - .offset:         68
        .size:           12
        .value_kind:     by_value
      - .offset:         80
        .size:           4
        .value_kind:     by_value
      - .offset:         84
        .size:           4
        .value_kind:     by_value
      - .offset:         88
        .size:           4
        .value_kind:     by_value
      - .offset:         92
        .size:           12
        .value_kind:     by_value
      - .offset:         104
        .size:           4
        .value_kind:     by_value
      - .offset:         108
        .size:           4
        .value_kind:     by_value
      - .offset:         112
        .size:           4
        .value_kind:     by_value
      - .offset:         116
        .size:           12
        .value_kind:     by_value
      - .offset:         128
        .size:           4
        .value_kind:     by_value
      - .offset:         132
        .size:           4
        .value_kind:     by_value
      - .offset:         136
        .size:           4
        .value_kind:     by_value
      - .offset:         140
        .size:           4
        .value_kind:     by_value
    .group_segment_fixed_size: 0
    .kernarg_segment_align: 8
    .kernarg_segment_size: 144
    .language:       OpenCL C
    .language_version:
      - 2
      - 0
    .max_flat_workgroup_size: 1024
    .name:           _ZL13mul_mat_vec_fIffLi7ELi32ELb0ELb0EEvPKT_PKfPKi31ggml_cuda_mm_fusion_args_devicePfi15HIP_vector_typeIjLj3EEiiiSA_iiiSA_iiii
    .private_segment_fixed_size: 0
    .sgpr_count:     38
    .sgpr_spill_count: 0
    .symbol:         _ZL13mul_mat_vec_fIffLi7ELi32ELb0ELb0EEvPKT_PKfPKi31ggml_cuda_mm_fusion_args_devicePfi15HIP_vector_typeIjLj3EEiiiSA_iiiSA_iiii.kd
    .uniform_work_group_size: 1
    .uses_dynamic_stack: false
    .vgpr_count:     29
    .vgpr_spill_count: 0
    .wavefront_size: 32
    .workgroup_processor_mode: 1
  - .args:
      - .address_space:  global
        .offset:         0
        .size:           8
        .value_kind:     global_buffer
      - .address_space:  global
        .offset:         8
        .size:           8
        .value_kind:     global_buffer
      - .address_space:  global
        .offset:         16
        .size:           8
        .value_kind:     global_buffer
      - .offset:         24
        .size:           32
        .value_kind:     by_value
      - .address_space:  global
        .offset:         56
        .size:           8
        .value_kind:     global_buffer
      - .offset:         64
        .size:           4
        .value_kind:     by_value
      - .offset:         68
        .size:           12
        .value_kind:     by_value
      - .offset:         80
        .size:           4
        .value_kind:     by_value
      - .offset:         84
        .size:           4
        .value_kind:     by_value
      - .offset:         88
        .size:           4
        .value_kind:     by_value
      - .offset:         92
        .size:           12
        .value_kind:     by_value
      - .offset:         104
        .size:           4
        .value_kind:     by_value
      - .offset:         108
        .size:           4
        .value_kind:     by_value
      - .offset:         112
        .size:           4
        .value_kind:     by_value
      - .offset:         116
        .size:           12
        .value_kind:     by_value
      - .offset:         128
        .size:           4
        .value_kind:     by_value
      - .offset:         132
        .size:           4
        .value_kind:     by_value
      - .offset:         136
        .size:           4
        .value_kind:     by_value
      - .offset:         140
        .size:           4
        .value_kind:     by_value
    .group_segment_fixed_size: 0
    .kernarg_segment_align: 8
    .kernarg_segment_size: 144
    .language:       OpenCL C
    .language_version:
      - 2
      - 0
    .max_flat_workgroup_size: 1024
    .name:           _ZL13mul_mat_vec_fIffLi7ELi64ELb0ELb0EEvPKT_PKfPKi31ggml_cuda_mm_fusion_args_devicePfi15HIP_vector_typeIjLj3EEiiiSA_iiiSA_iiii
    .private_segment_fixed_size: 0
    .sgpr_count:     38
    .sgpr_spill_count: 0
    .symbol:         _ZL13mul_mat_vec_fIffLi7ELi64ELb0ELb0EEvPKT_PKfPKi31ggml_cuda_mm_fusion_args_devicePfi15HIP_vector_typeIjLj3EEiiiSA_iiiSA_iiii.kd
    .uniform_work_group_size: 1
    .uses_dynamic_stack: false
    .vgpr_count:     30
    .vgpr_spill_count: 0
    .wavefront_size: 32
    .workgroup_processor_mode: 1
  - .args:
      - .address_space:  global
        .offset:         0
        .size:           8
        .value_kind:     global_buffer
      - .address_space:  global
        .offset:         8
        .size:           8
        .value_kind:     global_buffer
      - .address_space:  global
        .offset:         16
        .size:           8
        .value_kind:     global_buffer
      - .offset:         24
        .size:           32
        .value_kind:     by_value
      - .address_space:  global
        .offset:         56
        .size:           8
        .value_kind:     global_buffer
      - .offset:         64
        .size:           4
        .value_kind:     by_value
      - .offset:         68
        .size:           12
        .value_kind:     by_value
      - .offset:         80
        .size:           4
        .value_kind:     by_value
      - .offset:         84
        .size:           4
        .value_kind:     by_value
      - .offset:         88
        .size:           4
        .value_kind:     by_value
      - .offset:         92
        .size:           12
        .value_kind:     by_value
      - .offset:         104
        .size:           4
        .value_kind:     by_value
      - .offset:         108
        .size:           4
        .value_kind:     by_value
      - .offset:         112
        .size:           4
        .value_kind:     by_value
      - .offset:         116
        .size:           12
        .value_kind:     by_value
      - .offset:         128
        .size:           4
        .value_kind:     by_value
      - .offset:         132
        .size:           4
        .value_kind:     by_value
      - .offset:         136
        .size:           4
        .value_kind:     by_value
      - .offset:         140
        .size:           4
        .value_kind:     by_value
    .group_segment_fixed_size: 0
    .kernarg_segment_align: 8
    .kernarg_segment_size: 144
    .language:       OpenCL C
    .language_version:
      - 2
      - 0
    .max_flat_workgroup_size: 1024
    .name:           _ZL13mul_mat_vec_fIffLi7ELi96ELb0ELb0EEvPKT_PKfPKi31ggml_cuda_mm_fusion_args_devicePfi15HIP_vector_typeIjLj3EEiiiSA_iiiSA_iiii
    .private_segment_fixed_size: 0
    .sgpr_count:     38
    .sgpr_spill_count: 0
    .symbol:         _ZL13mul_mat_vec_fIffLi7ELi96ELb0ELb0EEvPKT_PKfPKi31ggml_cuda_mm_fusion_args_devicePfi15HIP_vector_typeIjLj3EEiiiSA_iiiSA_iiii.kd
    .uniform_work_group_size: 1
    .uses_dynamic_stack: false
    .vgpr_count:     30
    .vgpr_spill_count: 0
    .wavefront_size: 32
    .workgroup_processor_mode: 1
  - .args:
      - .address_space:  global
        .offset:         0
        .size:           8
        .value_kind:     global_buffer
      - .address_space:  global
        .offset:         8
        .size:           8
        .value_kind:     global_buffer
      - .address_space:  global
        .offset:         16
        .size:           8
        .value_kind:     global_buffer
      - .offset:         24
        .size:           32
        .value_kind:     by_value
      - .address_space:  global
        .offset:         56
        .size:           8
        .value_kind:     global_buffer
      - .offset:         64
        .size:           4
        .value_kind:     by_value
      - .offset:         68
        .size:           12
        .value_kind:     by_value
      - .offset:         80
        .size:           4
        .value_kind:     by_value
      - .offset:         84
        .size:           4
        .value_kind:     by_value
      - .offset:         88
        .size:           4
        .value_kind:     by_value
      - .offset:         92
        .size:           12
        .value_kind:     by_value
      - .offset:         104
        .size:           4
        .value_kind:     by_value
      - .offset:         108
        .size:           4
        .value_kind:     by_value
      - .offset:         112
        .size:           4
        .value_kind:     by_value
      - .offset:         116
        .size:           12
        .value_kind:     by_value
      - .offset:         128
        .size:           4
        .value_kind:     by_value
      - .offset:         132
        .size:           4
        .value_kind:     by_value
      - .offset:         136
        .size:           4
        .value_kind:     by_value
      - .offset:         140
        .size:           4
        .value_kind:     by_value
    .group_segment_fixed_size: 0
    .kernarg_segment_align: 8
    .kernarg_segment_size: 144
    .language:       OpenCL C
    .language_version:
      - 2
      - 0
    .max_flat_workgroup_size: 1024
    .name:           _ZL13mul_mat_vec_fIffLi7ELi128ELb0ELb0EEvPKT_PKfPKi31ggml_cuda_mm_fusion_args_devicePfi15HIP_vector_typeIjLj3EEiiiSA_iiiSA_iiii
    .private_segment_fixed_size: 0
    .sgpr_count:     38
    .sgpr_spill_count: 0
    .symbol:         _ZL13mul_mat_vec_fIffLi7ELi128ELb0ELb0EEvPKT_PKfPKi31ggml_cuda_mm_fusion_args_devicePfi15HIP_vector_typeIjLj3EEiiiSA_iiiSA_iiii.kd
    .uniform_work_group_size: 1
    .uses_dynamic_stack: false
    .vgpr_count:     30
    .vgpr_spill_count: 0
    .wavefront_size: 32
    .workgroup_processor_mode: 1
  - .args:
      - .address_space:  global
        .offset:         0
        .size:           8
        .value_kind:     global_buffer
      - .address_space:  global
        .offset:         8
        .size:           8
        .value_kind:     global_buffer
      - .address_space:  global
        .offset:         16
        .size:           8
        .value_kind:     global_buffer
      - .offset:         24
        .size:           32
        .value_kind:     by_value
      - .address_space:  global
        .offset:         56
        .size:           8
        .value_kind:     global_buffer
      - .offset:         64
        .size:           4
        .value_kind:     by_value
      - .offset:         68
        .size:           12
        .value_kind:     by_value
      - .offset:         80
        .size:           4
        .value_kind:     by_value
      - .offset:         84
        .size:           4
        .value_kind:     by_value
      - .offset:         88
        .size:           4
        .value_kind:     by_value
      - .offset:         92
        .size:           12
        .value_kind:     by_value
      - .offset:         104
        .size:           4
        .value_kind:     by_value
      - .offset:         108
        .size:           4
        .value_kind:     by_value
      - .offset:         112
        .size:           4
        .value_kind:     by_value
      - .offset:         116
        .size:           12
        .value_kind:     by_value
      - .offset:         128
        .size:           4
        .value_kind:     by_value
      - .offset:         132
        .size:           4
        .value_kind:     by_value
      - .offset:         136
        .size:           4
        .value_kind:     by_value
      - .offset:         140
        .size:           4
        .value_kind:     by_value
    .group_segment_fixed_size: 0
    .kernarg_segment_align: 8
    .kernarg_segment_size: 144
    .language:       OpenCL C
    .language_version:
      - 2
      - 0
    .max_flat_workgroup_size: 1024
    .name:           _ZL13mul_mat_vec_fIffLi7ELi160ELb0ELb0EEvPKT_PKfPKi31ggml_cuda_mm_fusion_args_devicePfi15HIP_vector_typeIjLj3EEiiiSA_iiiSA_iiii
    .private_segment_fixed_size: 0
    .sgpr_count:     38
    .sgpr_spill_count: 0
    .symbol:         _ZL13mul_mat_vec_fIffLi7ELi160ELb0ELb0EEvPKT_PKfPKi31ggml_cuda_mm_fusion_args_devicePfi15HIP_vector_typeIjLj3EEiiiSA_iiiSA_iiii.kd
    .uniform_work_group_size: 1
    .uses_dynamic_stack: false
    .vgpr_count:     30
    .vgpr_spill_count: 0
    .wavefront_size: 32
    .workgroup_processor_mode: 1
  - .args:
      - .address_space:  global
        .offset:         0
        .size:           8
        .value_kind:     global_buffer
      - .address_space:  global
        .offset:         8
        .size:           8
        .value_kind:     global_buffer
      - .address_space:  global
        .offset:         16
        .size:           8
        .value_kind:     global_buffer
      - .offset:         24
        .size:           32
        .value_kind:     by_value
      - .address_space:  global
        .offset:         56
        .size:           8
        .value_kind:     global_buffer
      - .offset:         64
        .size:           4
        .value_kind:     by_value
      - .offset:         68
        .size:           12
        .value_kind:     by_value
      - .offset:         80
        .size:           4
        .value_kind:     by_value
      - .offset:         84
        .size:           4
        .value_kind:     by_value
      - .offset:         88
        .size:           4
        .value_kind:     by_value
      - .offset:         92
        .size:           12
        .value_kind:     by_value
      - .offset:         104
        .size:           4
        .value_kind:     by_value
      - .offset:         108
        .size:           4
        .value_kind:     by_value
      - .offset:         112
        .size:           4
        .value_kind:     by_value
      - .offset:         116
        .size:           12
        .value_kind:     by_value
      - .offset:         128
        .size:           4
        .value_kind:     by_value
      - .offset:         132
        .size:           4
        .value_kind:     by_value
      - .offset:         136
        .size:           4
        .value_kind:     by_value
      - .offset:         140
        .size:           4
        .value_kind:     by_value
    .group_segment_fixed_size: 0
    .kernarg_segment_align: 8
    .kernarg_segment_size: 144
    .language:       OpenCL C
    .language_version:
      - 2
      - 0
    .max_flat_workgroup_size: 1024
    .name:           _ZL13mul_mat_vec_fIffLi7ELi192ELb0ELb0EEvPKT_PKfPKi31ggml_cuda_mm_fusion_args_devicePfi15HIP_vector_typeIjLj3EEiiiSA_iiiSA_iiii
    .private_segment_fixed_size: 0
    .sgpr_count:     38
    .sgpr_spill_count: 0
    .symbol:         _ZL13mul_mat_vec_fIffLi7ELi192ELb0ELb0EEvPKT_PKfPKi31ggml_cuda_mm_fusion_args_devicePfi15HIP_vector_typeIjLj3EEiiiSA_iiiSA_iiii.kd
    .uniform_work_group_size: 1
    .uses_dynamic_stack: false
    .vgpr_count:     30
    .vgpr_spill_count: 0
    .wavefront_size: 32
    .workgroup_processor_mode: 1
  - .args:
      - .address_space:  global
        .offset:         0
        .size:           8
        .value_kind:     global_buffer
      - .address_space:  global
        .offset:         8
        .size:           8
        .value_kind:     global_buffer
      - .address_space:  global
        .offset:         16
        .size:           8
        .value_kind:     global_buffer
      - .offset:         24
        .size:           32
        .value_kind:     by_value
      - .address_space:  global
        .offset:         56
        .size:           8
        .value_kind:     global_buffer
      - .offset:         64
        .size:           4
        .value_kind:     by_value
      - .offset:         68
        .size:           12
        .value_kind:     by_value
      - .offset:         80
        .size:           4
        .value_kind:     by_value
      - .offset:         84
        .size:           4
        .value_kind:     by_value
      - .offset:         88
        .size:           4
        .value_kind:     by_value
      - .offset:         92
        .size:           12
        .value_kind:     by_value
      - .offset:         104
        .size:           4
        .value_kind:     by_value
      - .offset:         108
        .size:           4
        .value_kind:     by_value
      - .offset:         112
        .size:           4
        .value_kind:     by_value
      - .offset:         116
        .size:           12
        .value_kind:     by_value
      - .offset:         128
        .size:           4
        .value_kind:     by_value
      - .offset:         132
        .size:           4
        .value_kind:     by_value
      - .offset:         136
        .size:           4
        .value_kind:     by_value
      - .offset:         140
        .size:           4
        .value_kind:     by_value
    .group_segment_fixed_size: 0
    .kernarg_segment_align: 8
    .kernarg_segment_size: 144
    .language:       OpenCL C
    .language_version:
      - 2
      - 0
    .max_flat_workgroup_size: 1024
    .name:           _ZL13mul_mat_vec_fIffLi7ELi224ELb0ELb0EEvPKT_PKfPKi31ggml_cuda_mm_fusion_args_devicePfi15HIP_vector_typeIjLj3EEiiiSA_iiiSA_iiii
    .private_segment_fixed_size: 0
    .sgpr_count:     38
    .sgpr_spill_count: 0
    .symbol:         _ZL13mul_mat_vec_fIffLi7ELi224ELb0ELb0EEvPKT_PKfPKi31ggml_cuda_mm_fusion_args_devicePfi15HIP_vector_typeIjLj3EEiiiSA_iiiSA_iiii.kd
    .uniform_work_group_size: 1
    .uses_dynamic_stack: false
    .vgpr_count:     30
    .vgpr_spill_count: 0
    .wavefront_size: 32
    .workgroup_processor_mode: 1
  - .args:
      - .address_space:  global
        .offset:         0
        .size:           8
        .value_kind:     global_buffer
      - .address_space:  global
        .offset:         8
        .size:           8
        .value_kind:     global_buffer
      - .address_space:  global
        .offset:         16
        .size:           8
        .value_kind:     global_buffer
      - .offset:         24
        .size:           32
        .value_kind:     by_value
      - .address_space:  global
        .offset:         56
        .size:           8
        .value_kind:     global_buffer
      - .offset:         64
        .size:           4
        .value_kind:     by_value
      - .offset:         68
        .size:           12
        .value_kind:     by_value
      - .offset:         80
        .size:           4
        .value_kind:     by_value
      - .offset:         84
        .size:           4
        .value_kind:     by_value
      - .offset:         88
        .size:           4
        .value_kind:     by_value
      - .offset:         92
        .size:           12
        .value_kind:     by_value
      - .offset:         104
        .size:           4
        .value_kind:     by_value
      - .offset:         108
        .size:           4
        .value_kind:     by_value
      - .offset:         112
        .size:           4
        .value_kind:     by_value
      - .offset:         116
        .size:           12
        .value_kind:     by_value
      - .offset:         128
        .size:           4
        .value_kind:     by_value
      - .offset:         132
        .size:           4
        .value_kind:     by_value
      - .offset:         136
        .size:           4
        .value_kind:     by_value
      - .offset:         140
        .size:           4
        .value_kind:     by_value
    .group_segment_fixed_size: 0
    .kernarg_segment_align: 8
    .kernarg_segment_size: 144
    .language:       OpenCL C
    .language_version:
      - 2
      - 0
    .max_flat_workgroup_size: 1024
    .name:           _ZL13mul_mat_vec_fIffLi7ELi256ELb0ELb0EEvPKT_PKfPKi31ggml_cuda_mm_fusion_args_devicePfi15HIP_vector_typeIjLj3EEiiiSA_iiiSA_iiii
    .private_segment_fixed_size: 0
    .sgpr_count:     38
    .sgpr_spill_count: 0
    .symbol:         _ZL13mul_mat_vec_fIffLi7ELi256ELb0ELb0EEvPKT_PKfPKi31ggml_cuda_mm_fusion_args_devicePfi15HIP_vector_typeIjLj3EEiiiSA_iiiSA_iiii.kd
    .uniform_work_group_size: 1
    .uses_dynamic_stack: false
    .vgpr_count:     30
    .vgpr_spill_count: 0
    .wavefront_size: 32
    .workgroup_processor_mode: 1
  - .args:
      - .address_space:  global
        .offset:         0
        .size:           8
        .value_kind:     global_buffer
      - .address_space:  global
        .offset:         8
        .size:           8
        .value_kind:     global_buffer
      - .address_space:  global
        .offset:         16
        .size:           8
        .value_kind:     global_buffer
      - .offset:         24
        .size:           32
        .value_kind:     by_value
      - .address_space:  global
        .offset:         56
        .size:           8
        .value_kind:     global_buffer
      - .offset:         64
        .size:           4
        .value_kind:     by_value
      - .offset:         68
        .size:           12
        .value_kind:     by_value
      - .offset:         80
        .size:           4
        .value_kind:     by_value
      - .offset:         84
        .size:           4
        .value_kind:     by_value
      - .offset:         88
        .size:           4
        .value_kind:     by_value
      - .offset:         92
        .size:           12
        .value_kind:     by_value
      - .offset:         104
        .size:           4
        .value_kind:     by_value
      - .offset:         108
        .size:           4
        .value_kind:     by_value
      - .offset:         112
        .size:           4
        .value_kind:     by_value
      - .offset:         116
        .size:           12
        .value_kind:     by_value
      - .offset:         128
        .size:           4
        .value_kind:     by_value
      - .offset:         132
        .size:           4
        .value_kind:     by_value
      - .offset:         136
        .size:           4
        .value_kind:     by_value
      - .offset:         140
        .size:           4
        .value_kind:     by_value
    .group_segment_fixed_size: 0
    .kernarg_segment_align: 8
    .kernarg_segment_size: 144
    .language:       OpenCL C
    .language_version:
      - 2
      - 0
    .max_flat_workgroup_size: 1024
    .name:           _ZL13mul_mat_vec_fIffLi8ELi32ELb0ELb0EEvPKT_PKfPKi31ggml_cuda_mm_fusion_args_devicePfi15HIP_vector_typeIjLj3EEiiiSA_iiiSA_iiii
    .private_segment_fixed_size: 0
    .sgpr_count:     38
    .sgpr_spill_count: 0
    .symbol:         _ZL13mul_mat_vec_fIffLi8ELi32ELb0ELb0EEvPKT_PKfPKi31ggml_cuda_mm_fusion_args_devicePfi15HIP_vector_typeIjLj3EEiiiSA_iiiSA_iiii.kd
    .uniform_work_group_size: 1
    .uses_dynamic_stack: false
    .vgpr_count:     32
    .vgpr_spill_count: 0
    .wavefront_size: 32
    .workgroup_processor_mode: 1
  - .args:
      - .address_space:  global
        .offset:         0
        .size:           8
        .value_kind:     global_buffer
      - .address_space:  global
        .offset:         8
        .size:           8
        .value_kind:     global_buffer
      - .address_space:  global
        .offset:         16
        .size:           8
        .value_kind:     global_buffer
      - .offset:         24
        .size:           32
        .value_kind:     by_value
      - .address_space:  global
        .offset:         56
        .size:           8
        .value_kind:     global_buffer
      - .offset:         64
        .size:           4
        .value_kind:     by_value
      - .offset:         68
        .size:           12
        .value_kind:     by_value
      - .offset:         80
        .size:           4
        .value_kind:     by_value
      - .offset:         84
        .size:           4
        .value_kind:     by_value
      - .offset:         88
        .size:           4
        .value_kind:     by_value
      - .offset:         92
        .size:           12
        .value_kind:     by_value
      - .offset:         104
        .size:           4
        .value_kind:     by_value
      - .offset:         108
        .size:           4
        .value_kind:     by_value
      - .offset:         112
        .size:           4
        .value_kind:     by_value
      - .offset:         116
        .size:           12
        .value_kind:     by_value
      - .offset:         128
        .size:           4
        .value_kind:     by_value
      - .offset:         132
        .size:           4
        .value_kind:     by_value
      - .offset:         136
        .size:           4
        .value_kind:     by_value
      - .offset:         140
        .size:           4
        .value_kind:     by_value
    .group_segment_fixed_size: 0
    .kernarg_segment_align: 8
    .kernarg_segment_size: 144
    .language:       OpenCL C
    .language_version:
      - 2
      - 0
    .max_flat_workgroup_size: 1024
    .name:           _ZL13mul_mat_vec_fIffLi8ELi64ELb0ELb0EEvPKT_PKfPKi31ggml_cuda_mm_fusion_args_devicePfi15HIP_vector_typeIjLj3EEiiiSA_iiiSA_iiii
    .private_segment_fixed_size: 0
    .sgpr_count:     40
    .sgpr_spill_count: 0
    .symbol:         _ZL13mul_mat_vec_fIffLi8ELi64ELb0ELb0EEvPKT_PKfPKi31ggml_cuda_mm_fusion_args_devicePfi15HIP_vector_typeIjLj3EEiiiSA_iiiSA_iiii.kd
    .uniform_work_group_size: 1
    .uses_dynamic_stack: false
    .vgpr_count:     33
    .vgpr_spill_count: 0
    .wavefront_size: 32
    .workgroup_processor_mode: 1
  - .args:
      - .address_space:  global
        .offset:         0
        .size:           8
        .value_kind:     global_buffer
      - .address_space:  global
        .offset:         8
        .size:           8
        .value_kind:     global_buffer
      - .address_space:  global
        .offset:         16
        .size:           8
        .value_kind:     global_buffer
      - .offset:         24
        .size:           32
        .value_kind:     by_value
      - .address_space:  global
        .offset:         56
        .size:           8
        .value_kind:     global_buffer
      - .offset:         64
        .size:           4
        .value_kind:     by_value
      - .offset:         68
        .size:           12
        .value_kind:     by_value
      - .offset:         80
        .size:           4
        .value_kind:     by_value
      - .offset:         84
        .size:           4
        .value_kind:     by_value
      - .offset:         88
        .size:           4
        .value_kind:     by_value
      - .offset:         92
        .size:           12
        .value_kind:     by_value
      - .offset:         104
        .size:           4
        .value_kind:     by_value
      - .offset:         108
        .size:           4
        .value_kind:     by_value
      - .offset:         112
        .size:           4
        .value_kind:     by_value
      - .offset:         116
        .size:           12
        .value_kind:     by_value
      - .offset:         128
        .size:           4
        .value_kind:     by_value
      - .offset:         132
        .size:           4
        .value_kind:     by_value
      - .offset:         136
        .size:           4
        .value_kind:     by_value
      - .offset:         140
        .size:           4
        .value_kind:     by_value
    .group_segment_fixed_size: 0
    .kernarg_segment_align: 8
    .kernarg_segment_size: 144
    .language:       OpenCL C
    .language_version:
      - 2
      - 0
    .max_flat_workgroup_size: 1024
    .name:           _ZL13mul_mat_vec_fIffLi8ELi96ELb0ELb0EEvPKT_PKfPKi31ggml_cuda_mm_fusion_args_devicePfi15HIP_vector_typeIjLj3EEiiiSA_iiiSA_iiii
    .private_segment_fixed_size: 0
    .sgpr_count:     40
    .sgpr_spill_count: 0
    .symbol:         _ZL13mul_mat_vec_fIffLi8ELi96ELb0ELb0EEvPKT_PKfPKi31ggml_cuda_mm_fusion_args_devicePfi15HIP_vector_typeIjLj3EEiiiSA_iiiSA_iiii.kd
    .uniform_work_group_size: 1
    .uses_dynamic_stack: false
    .vgpr_count:     33
    .vgpr_spill_count: 0
    .wavefront_size: 32
    .workgroup_processor_mode: 1
  - .args:
      - .address_space:  global
        .offset:         0
        .size:           8
        .value_kind:     global_buffer
      - .address_space:  global
        .offset:         8
        .size:           8
        .value_kind:     global_buffer
      - .address_space:  global
        .offset:         16
        .size:           8
        .value_kind:     global_buffer
      - .offset:         24
        .size:           32
        .value_kind:     by_value
      - .address_space:  global
        .offset:         56
        .size:           8
        .value_kind:     global_buffer
      - .offset:         64
        .size:           4
        .value_kind:     by_value
      - .offset:         68
        .size:           12
        .value_kind:     by_value
      - .offset:         80
        .size:           4
        .value_kind:     by_value
      - .offset:         84
        .size:           4
        .value_kind:     by_value
      - .offset:         88
        .size:           4
        .value_kind:     by_value
      - .offset:         92
        .size:           12
        .value_kind:     by_value
      - .offset:         104
        .size:           4
        .value_kind:     by_value
      - .offset:         108
        .size:           4
        .value_kind:     by_value
      - .offset:         112
        .size:           4
        .value_kind:     by_value
      - .offset:         116
        .size:           12
        .value_kind:     by_value
      - .offset:         128
        .size:           4
        .value_kind:     by_value
      - .offset:         132
        .size:           4
        .value_kind:     by_value
      - .offset:         136
        .size:           4
        .value_kind:     by_value
      - .offset:         140
        .size:           4
        .value_kind:     by_value
    .group_segment_fixed_size: 0
    .kernarg_segment_align: 8
    .kernarg_segment_size: 144
    .language:       OpenCL C
    .language_version:
      - 2
      - 0
    .max_flat_workgroup_size: 1024
    .name:           _ZL13mul_mat_vec_fIffLi8ELi128ELb0ELb0EEvPKT_PKfPKi31ggml_cuda_mm_fusion_args_devicePfi15HIP_vector_typeIjLj3EEiiiSA_iiiSA_iiii
    .private_segment_fixed_size: 0
    .sgpr_count:     40
    .sgpr_spill_count: 0
    .symbol:         _ZL13mul_mat_vec_fIffLi8ELi128ELb0ELb0EEvPKT_PKfPKi31ggml_cuda_mm_fusion_args_devicePfi15HIP_vector_typeIjLj3EEiiiSA_iiiSA_iiii.kd
    .uniform_work_group_size: 1
    .uses_dynamic_stack: false
    .vgpr_count:     33
    .vgpr_spill_count: 0
    .wavefront_size: 32
    .workgroup_processor_mode: 1
  - .args:
      - .address_space:  global
        .offset:         0
        .size:           8
        .value_kind:     global_buffer
      - .address_space:  global
        .offset:         8
        .size:           8
        .value_kind:     global_buffer
      - .address_space:  global
        .offset:         16
        .size:           8
        .value_kind:     global_buffer
      - .offset:         24
        .size:           32
        .value_kind:     by_value
      - .address_space:  global
        .offset:         56
        .size:           8
        .value_kind:     global_buffer
      - .offset:         64
        .size:           4
        .value_kind:     by_value
      - .offset:         68
        .size:           12
        .value_kind:     by_value
      - .offset:         80
        .size:           4
        .value_kind:     by_value
      - .offset:         84
        .size:           4
        .value_kind:     by_value
      - .offset:         88
        .size:           4
        .value_kind:     by_value
      - .offset:         92
        .size:           12
        .value_kind:     by_value
      - .offset:         104
        .size:           4
        .value_kind:     by_value
      - .offset:         108
        .size:           4
        .value_kind:     by_value
      - .offset:         112
        .size:           4
        .value_kind:     by_value
      - .offset:         116
        .size:           12
        .value_kind:     by_value
      - .offset:         128
        .size:           4
        .value_kind:     by_value
      - .offset:         132
        .size:           4
        .value_kind:     by_value
      - .offset:         136
        .size:           4
        .value_kind:     by_value
      - .offset:         140
        .size:           4
        .value_kind:     by_value
    .group_segment_fixed_size: 0
    .kernarg_segment_align: 8
    .kernarg_segment_size: 144
    .language:       OpenCL C
    .language_version:
      - 2
      - 0
    .max_flat_workgroup_size: 1024
    .name:           _ZL13mul_mat_vec_fIffLi8ELi160ELb0ELb0EEvPKT_PKfPKi31ggml_cuda_mm_fusion_args_devicePfi15HIP_vector_typeIjLj3EEiiiSA_iiiSA_iiii
    .private_segment_fixed_size: 0
    .sgpr_count:     40
    .sgpr_spill_count: 0
    .symbol:         _ZL13mul_mat_vec_fIffLi8ELi160ELb0ELb0EEvPKT_PKfPKi31ggml_cuda_mm_fusion_args_devicePfi15HIP_vector_typeIjLj3EEiiiSA_iiiSA_iiii.kd
    .uniform_work_group_size: 1
    .uses_dynamic_stack: false
    .vgpr_count:     33
    .vgpr_spill_count: 0
    .wavefront_size: 32
    .workgroup_processor_mode: 1
  - .args:
      - .address_space:  global
        .offset:         0
        .size:           8
        .value_kind:     global_buffer
      - .address_space:  global
        .offset:         8
        .size:           8
        .value_kind:     global_buffer
      - .address_space:  global
        .offset:         16
        .size:           8
        .value_kind:     global_buffer
      - .offset:         24
        .size:           32
        .value_kind:     by_value
      - .address_space:  global
        .offset:         56
        .size:           8
        .value_kind:     global_buffer
      - .offset:         64
        .size:           4
        .value_kind:     by_value
      - .offset:         68
        .size:           12
        .value_kind:     by_value
      - .offset:         80
        .size:           4
        .value_kind:     by_value
      - .offset:         84
        .size:           4
        .value_kind:     by_value
      - .offset:         88
        .size:           4
        .value_kind:     by_value
      - .offset:         92
        .size:           12
        .value_kind:     by_value
      - .offset:         104
        .size:           4
        .value_kind:     by_value
      - .offset:         108
        .size:           4
        .value_kind:     by_value
      - .offset:         112
        .size:           4
        .value_kind:     by_value
      - .offset:         116
        .size:           12
        .value_kind:     by_value
      - .offset:         128
        .size:           4
        .value_kind:     by_value
      - .offset:         132
        .size:           4
        .value_kind:     by_value
      - .offset:         136
        .size:           4
        .value_kind:     by_value
      - .offset:         140
        .size:           4
        .value_kind:     by_value
    .group_segment_fixed_size: 0
    .kernarg_segment_align: 8
    .kernarg_segment_size: 144
    .language:       OpenCL C
    .language_version:
      - 2
      - 0
    .max_flat_workgroup_size: 1024
    .name:           _ZL13mul_mat_vec_fIffLi8ELi192ELb0ELb0EEvPKT_PKfPKi31ggml_cuda_mm_fusion_args_devicePfi15HIP_vector_typeIjLj3EEiiiSA_iiiSA_iiii
    .private_segment_fixed_size: 0
    .sgpr_count:     40
    .sgpr_spill_count: 0
    .symbol:         _ZL13mul_mat_vec_fIffLi8ELi192ELb0ELb0EEvPKT_PKfPKi31ggml_cuda_mm_fusion_args_devicePfi15HIP_vector_typeIjLj3EEiiiSA_iiiSA_iiii.kd
    .uniform_work_group_size: 1
    .uses_dynamic_stack: false
    .vgpr_count:     33
    .vgpr_spill_count: 0
    .wavefront_size: 32
    .workgroup_processor_mode: 1
  - .args:
      - .address_space:  global
        .offset:         0
        .size:           8
        .value_kind:     global_buffer
      - .address_space:  global
        .offset:         8
        .size:           8
        .value_kind:     global_buffer
      - .address_space:  global
        .offset:         16
        .size:           8
        .value_kind:     global_buffer
      - .offset:         24
        .size:           32
        .value_kind:     by_value
      - .address_space:  global
        .offset:         56
        .size:           8
        .value_kind:     global_buffer
      - .offset:         64
        .size:           4
        .value_kind:     by_value
      - .offset:         68
        .size:           12
        .value_kind:     by_value
      - .offset:         80
        .size:           4
        .value_kind:     by_value
      - .offset:         84
        .size:           4
        .value_kind:     by_value
      - .offset:         88
        .size:           4
        .value_kind:     by_value
      - .offset:         92
        .size:           12
        .value_kind:     by_value
      - .offset:         104
        .size:           4
        .value_kind:     by_value
      - .offset:         108
        .size:           4
        .value_kind:     by_value
      - .offset:         112
        .size:           4
        .value_kind:     by_value
      - .offset:         116
        .size:           12
        .value_kind:     by_value
      - .offset:         128
        .size:           4
        .value_kind:     by_value
      - .offset:         132
        .size:           4
        .value_kind:     by_value
      - .offset:         136
        .size:           4
        .value_kind:     by_value
      - .offset:         140
        .size:           4
        .value_kind:     by_value
    .group_segment_fixed_size: 0
    .kernarg_segment_align: 8
    .kernarg_segment_size: 144
    .language:       OpenCL C
    .language_version:
      - 2
      - 0
    .max_flat_workgroup_size: 1024
    .name:           _ZL13mul_mat_vec_fIffLi8ELi224ELb0ELb0EEvPKT_PKfPKi31ggml_cuda_mm_fusion_args_devicePfi15HIP_vector_typeIjLj3EEiiiSA_iiiSA_iiii
    .private_segment_fixed_size: 0
    .sgpr_count:     40
    .sgpr_spill_count: 0
    .symbol:         _ZL13mul_mat_vec_fIffLi8ELi224ELb0ELb0EEvPKT_PKfPKi31ggml_cuda_mm_fusion_args_devicePfi15HIP_vector_typeIjLj3EEiiiSA_iiiSA_iiii.kd
    .uniform_work_group_size: 1
    .uses_dynamic_stack: false
    .vgpr_count:     33
    .vgpr_spill_count: 0
    .wavefront_size: 32
    .workgroup_processor_mode: 1
  - .args:
      - .address_space:  global
        .offset:         0
        .size:           8
        .value_kind:     global_buffer
      - .address_space:  global
        .offset:         8
        .size:           8
        .value_kind:     global_buffer
      - .address_space:  global
        .offset:         16
        .size:           8
        .value_kind:     global_buffer
      - .offset:         24
        .size:           32
        .value_kind:     by_value
      - .address_space:  global
        .offset:         56
        .size:           8
        .value_kind:     global_buffer
      - .offset:         64
        .size:           4
        .value_kind:     by_value
      - .offset:         68
        .size:           12
        .value_kind:     by_value
      - .offset:         80
        .size:           4
        .value_kind:     by_value
      - .offset:         84
        .size:           4
        .value_kind:     by_value
      - .offset:         88
        .size:           4
        .value_kind:     by_value
      - .offset:         92
        .size:           12
        .value_kind:     by_value
      - .offset:         104
        .size:           4
        .value_kind:     by_value
      - .offset:         108
        .size:           4
        .value_kind:     by_value
      - .offset:         112
        .size:           4
        .value_kind:     by_value
      - .offset:         116
        .size:           12
        .value_kind:     by_value
      - .offset:         128
        .size:           4
        .value_kind:     by_value
      - .offset:         132
        .size:           4
        .value_kind:     by_value
      - .offset:         136
        .size:           4
        .value_kind:     by_value
      - .offset:         140
        .size:           4
        .value_kind:     by_value
    .group_segment_fixed_size: 0
    .kernarg_segment_align: 8
    .kernarg_segment_size: 144
    .language:       OpenCL C
    .language_version:
      - 2
      - 0
    .max_flat_workgroup_size: 1024
    .name:           _ZL13mul_mat_vec_fIffLi8ELi256ELb0ELb0EEvPKT_PKfPKi31ggml_cuda_mm_fusion_args_devicePfi15HIP_vector_typeIjLj3EEiiiSA_iiiSA_iiii
    .private_segment_fixed_size: 0
    .sgpr_count:     40
    .sgpr_spill_count: 0
    .symbol:         _ZL13mul_mat_vec_fIffLi8ELi256ELb0ELb0EEvPKT_PKfPKi31ggml_cuda_mm_fusion_args_devicePfi15HIP_vector_typeIjLj3EEiiiSA_iiiSA_iiii.kd
    .uniform_work_group_size: 1
    .uses_dynamic_stack: false
    .vgpr_count:     33
    .vgpr_spill_count: 0
    .wavefront_size: 32
    .workgroup_processor_mode: 1
  - .args:
      - .address_space:  global
        .offset:         0
        .size:           8
        .value_kind:     global_buffer
      - .address_space:  global
        .offset:         8
        .size:           8
        .value_kind:     global_buffer
      - .address_space:  global
        .offset:         16
        .size:           8
        .value_kind:     global_buffer
      - .offset:         24
        .size:           32
        .value_kind:     by_value
      - .address_space:  global
        .offset:         56
        .size:           8
        .value_kind:     global_buffer
      - .offset:         64
        .size:           4
        .value_kind:     by_value
      - .offset:         68
        .size:           12
        .value_kind:     by_value
      - .offset:         80
        .size:           4
        .value_kind:     by_value
      - .offset:         84
        .size:           4
        .value_kind:     by_value
      - .offset:         88
        .size:           4
        .value_kind:     by_value
      - .offset:         92
        .size:           12
        .value_kind:     by_value
      - .offset:         104
        .size:           4
        .value_kind:     by_value
      - .offset:         108
        .size:           4
        .value_kind:     by_value
      - .offset:         112
        .size:           4
        .value_kind:     by_value
      - .offset:         116
        .size:           12
        .value_kind:     by_value
      - .offset:         128
        .size:           4
        .value_kind:     by_value
      - .offset:         132
        .size:           4
        .value_kind:     by_value
      - .offset:         136
        .size:           4
        .value_kind:     by_value
      - .offset:         140
        .size:           4
        .value_kind:     by_value
    .group_segment_fixed_size: 0
    .kernarg_segment_align: 8
    .kernarg_segment_size: 144
    .language:       OpenCL C
    .language_version:
      - 2
      - 0
    .max_flat_workgroup_size: 1024
    .name:           _ZL13mul_mat_vec_fI6__halfS0_Li1ELi32ELb1ELb1EEvPKT_PKfPKi31ggml_cuda_mm_fusion_args_devicePfi15HIP_vector_typeIjLj3EEiiiSB_iiiSB_iiii
    .private_segment_fixed_size: 0
    .sgpr_count:     42
    .sgpr_spill_count: 0
    .symbol:         _ZL13mul_mat_vec_fI6__halfS0_Li1ELi32ELb1ELb1EEvPKT_PKfPKi31ggml_cuda_mm_fusion_args_devicePfi15HIP_vector_typeIjLj3EEiiiSB_iiiSB_iiii.kd
    .uniform_work_group_size: 1
    .uses_dynamic_stack: false
    .vgpr_count:     14
    .vgpr_spill_count: 0
    .wavefront_size: 32
    .workgroup_processor_mode: 1
  - .args:
      - .address_space:  global
        .offset:         0
        .size:           8
        .value_kind:     global_buffer
      - .address_space:  global
        .offset:         8
        .size:           8
        .value_kind:     global_buffer
      - .address_space:  global
        .offset:         16
        .size:           8
        .value_kind:     global_buffer
      - .offset:         24
        .size:           32
        .value_kind:     by_value
      - .address_space:  global
        .offset:         56
        .size:           8
        .value_kind:     global_buffer
      - .offset:         64
        .size:           4
        .value_kind:     by_value
      - .offset:         68
        .size:           12
        .value_kind:     by_value
      - .offset:         80
        .size:           4
        .value_kind:     by_value
      - .offset:         84
        .size:           4
        .value_kind:     by_value
      - .offset:         88
        .size:           4
        .value_kind:     by_value
      - .offset:         92
        .size:           12
        .value_kind:     by_value
      - .offset:         104
        .size:           4
        .value_kind:     by_value
      - .offset:         108
        .size:           4
        .value_kind:     by_value
      - .offset:         112
        .size:           4
        .value_kind:     by_value
      - .offset:         116
        .size:           12
        .value_kind:     by_value
      - .offset:         128
        .size:           4
        .value_kind:     by_value
      - .offset:         132
        .size:           4
        .value_kind:     by_value
      - .offset:         136
        .size:           4
        .value_kind:     by_value
      - .offset:         140
        .size:           4
        .value_kind:     by_value
    .group_segment_fixed_size: 0
    .kernarg_segment_align: 8
    .kernarg_segment_size: 144
    .language:       OpenCL C
    .language_version:
      - 2
      - 0
    .max_flat_workgroup_size: 1024
    .name:           _ZL13mul_mat_vec_fI6__halfS0_Li1ELi32ELb0ELb1EEvPKT_PKfPKi31ggml_cuda_mm_fusion_args_devicePfi15HIP_vector_typeIjLj3EEiiiSB_iiiSB_iiii
    .private_segment_fixed_size: 0
    .sgpr_count:     26
    .sgpr_spill_count: 0
    .symbol:         _ZL13mul_mat_vec_fI6__halfS0_Li1ELi32ELb0ELb1EEvPKT_PKfPKi31ggml_cuda_mm_fusion_args_devicePfi15HIP_vector_typeIjLj3EEiiiSB_iiiSB_iiii.kd
    .uniform_work_group_size: 1
    .uses_dynamic_stack: false
    .vgpr_count:     10
    .vgpr_spill_count: 0
    .wavefront_size: 32
    .workgroup_processor_mode: 1
  - .args:
      - .address_space:  global
        .offset:         0
        .size:           8
        .value_kind:     global_buffer
      - .address_space:  global
        .offset:         8
        .size:           8
        .value_kind:     global_buffer
      - .address_space:  global
        .offset:         16
        .size:           8
        .value_kind:     global_buffer
      - .offset:         24
        .size:           32
        .value_kind:     by_value
      - .address_space:  global
        .offset:         56
        .size:           8
        .value_kind:     global_buffer
      - .offset:         64
        .size:           4
        .value_kind:     by_value
      - .offset:         68
        .size:           12
        .value_kind:     by_value
      - .offset:         80
        .size:           4
        .value_kind:     by_value
      - .offset:         84
        .size:           4
        .value_kind:     by_value
      - .offset:         88
        .size:           4
        .value_kind:     by_value
      - .offset:         92
        .size:           12
        .value_kind:     by_value
      - .offset:         104
        .size:           4
        .value_kind:     by_value
      - .offset:         108
        .size:           4
        .value_kind:     by_value
      - .offset:         112
        .size:           4
        .value_kind:     by_value
      - .offset:         116
        .size:           12
        .value_kind:     by_value
      - .offset:         128
        .size:           4
        .value_kind:     by_value
      - .offset:         132
        .size:           4
        .value_kind:     by_value
      - .offset:         136
        .size:           4
        .value_kind:     by_value
      - .offset:         140
        .size:           4
        .value_kind:     by_value
    .group_segment_fixed_size: 0
    .kernarg_segment_align: 8
    .kernarg_segment_size: 144
    .language:       OpenCL C
    .language_version:
      - 2
      - 0
    .max_flat_workgroup_size: 1024
    .name:           _ZL13mul_mat_vec_fI6__halfS0_Li1ELi64ELb1ELb1EEvPKT_PKfPKi31ggml_cuda_mm_fusion_args_devicePfi15HIP_vector_typeIjLj3EEiiiSB_iiiSB_iiii
    .private_segment_fixed_size: 0
    .sgpr_count:     42
    .sgpr_spill_count: 0
    .symbol:         _ZL13mul_mat_vec_fI6__halfS0_Li1ELi64ELb1ELb1EEvPKT_PKfPKi31ggml_cuda_mm_fusion_args_devicePfi15HIP_vector_typeIjLj3EEiiiSB_iiiSB_iiii.kd
    .uniform_work_group_size: 1
    .uses_dynamic_stack: false
    .vgpr_count:     15
    .vgpr_spill_count: 0
    .wavefront_size: 32
    .workgroup_processor_mode: 1
  - .args:
      - .address_space:  global
        .offset:         0
        .size:           8
        .value_kind:     global_buffer
      - .address_space:  global
        .offset:         8
        .size:           8
        .value_kind:     global_buffer
      - .address_space:  global
        .offset:         16
        .size:           8
        .value_kind:     global_buffer
      - .offset:         24
        .size:           32
        .value_kind:     by_value
      - .address_space:  global
        .offset:         56
        .size:           8
        .value_kind:     global_buffer
      - .offset:         64
        .size:           4
        .value_kind:     by_value
      - .offset:         68
        .size:           12
        .value_kind:     by_value
      - .offset:         80
        .size:           4
        .value_kind:     by_value
      - .offset:         84
        .size:           4
        .value_kind:     by_value
      - .offset:         88
        .size:           4
        .value_kind:     by_value
      - .offset:         92
        .size:           12
        .value_kind:     by_value
      - .offset:         104
        .size:           4
        .value_kind:     by_value
      - .offset:         108
        .size:           4
        .value_kind:     by_value
      - .offset:         112
        .size:           4
        .value_kind:     by_value
      - .offset:         116
        .size:           12
        .value_kind:     by_value
      - .offset:         128
        .size:           4
        .value_kind:     by_value
      - .offset:         132
        .size:           4
        .value_kind:     by_value
      - .offset:         136
        .size:           4
        .value_kind:     by_value
      - .offset:         140
        .size:           4
        .value_kind:     by_value
    .group_segment_fixed_size: 0
    .kernarg_segment_align: 8
    .kernarg_segment_size: 144
    .language:       OpenCL C
    .language_version:
      - 2
      - 0
    .max_flat_workgroup_size: 1024
    .name:           _ZL13mul_mat_vec_fI6__halfS0_Li1ELi64ELb0ELb1EEvPKT_PKfPKi31ggml_cuda_mm_fusion_args_devicePfi15HIP_vector_typeIjLj3EEiiiSB_iiiSB_iiii
    .private_segment_fixed_size: 0
    .sgpr_count:     30
    .sgpr_spill_count: 0
    .symbol:         _ZL13mul_mat_vec_fI6__halfS0_Li1ELi64ELb0ELb1EEvPKT_PKfPKi31ggml_cuda_mm_fusion_args_devicePfi15HIP_vector_typeIjLj3EEiiiSB_iiiSB_iiii.kd
    .uniform_work_group_size: 1
    .uses_dynamic_stack: false
    .vgpr_count:     11
    .vgpr_spill_count: 0
    .wavefront_size: 32
    .workgroup_processor_mode: 1
  - .args:
      - .address_space:  global
        .offset:         0
        .size:           8
        .value_kind:     global_buffer
      - .address_space:  global
        .offset:         8
        .size:           8
        .value_kind:     global_buffer
      - .address_space:  global
        .offset:         16
        .size:           8
        .value_kind:     global_buffer
      - .offset:         24
        .size:           32
        .value_kind:     by_value
      - .address_space:  global
        .offset:         56
        .size:           8
        .value_kind:     global_buffer
      - .offset:         64
        .size:           4
        .value_kind:     by_value
      - .offset:         68
        .size:           12
        .value_kind:     by_value
      - .offset:         80
        .size:           4
        .value_kind:     by_value
      - .offset:         84
        .size:           4
        .value_kind:     by_value
      - .offset:         88
        .size:           4
        .value_kind:     by_value
      - .offset:         92
        .size:           12
        .value_kind:     by_value
      - .offset:         104
        .size:           4
        .value_kind:     by_value
      - .offset:         108
        .size:           4
        .value_kind:     by_value
      - .offset:         112
        .size:           4
        .value_kind:     by_value
      - .offset:         116
        .size:           12
        .value_kind:     by_value
      - .offset:         128
        .size:           4
        .value_kind:     by_value
      - .offset:         132
        .size:           4
        .value_kind:     by_value
      - .offset:         136
        .size:           4
        .value_kind:     by_value
      - .offset:         140
        .size:           4
        .value_kind:     by_value
    .group_segment_fixed_size: 0
    .kernarg_segment_align: 8
    .kernarg_segment_size: 144
    .language:       OpenCL C
    .language_version:
      - 2
      - 0
    .max_flat_workgroup_size: 1024
    .name:           _ZL13mul_mat_vec_fI6__halfS0_Li1ELi96ELb1ELb1EEvPKT_PKfPKi31ggml_cuda_mm_fusion_args_devicePfi15HIP_vector_typeIjLj3EEiiiSB_iiiSB_iiii
    .private_segment_fixed_size: 0
    .sgpr_count:     42
    .sgpr_spill_count: 0
    .symbol:         _ZL13mul_mat_vec_fI6__halfS0_Li1ELi96ELb1ELb1EEvPKT_PKfPKi31ggml_cuda_mm_fusion_args_devicePfi15HIP_vector_typeIjLj3EEiiiSB_iiiSB_iiii.kd
    .uniform_work_group_size: 1
    .uses_dynamic_stack: false
    .vgpr_count:     15
    .vgpr_spill_count: 0
    .wavefront_size: 32
    .workgroup_processor_mode: 1
  - .args:
      - .address_space:  global
        .offset:         0
        .size:           8
        .value_kind:     global_buffer
      - .address_space:  global
        .offset:         8
        .size:           8
        .value_kind:     global_buffer
      - .address_space:  global
        .offset:         16
        .size:           8
        .value_kind:     global_buffer
      - .offset:         24
        .size:           32
        .value_kind:     by_value
      - .address_space:  global
        .offset:         56
        .size:           8
        .value_kind:     global_buffer
      - .offset:         64
        .size:           4
        .value_kind:     by_value
      - .offset:         68
        .size:           12
        .value_kind:     by_value
      - .offset:         80
        .size:           4
        .value_kind:     by_value
      - .offset:         84
        .size:           4
        .value_kind:     by_value
      - .offset:         88
        .size:           4
        .value_kind:     by_value
      - .offset:         92
        .size:           12
        .value_kind:     by_value
      - .offset:         104
        .size:           4
        .value_kind:     by_value
      - .offset:         108
        .size:           4
        .value_kind:     by_value
      - .offset:         112
        .size:           4
        .value_kind:     by_value
      - .offset:         116
        .size:           12
        .value_kind:     by_value
      - .offset:         128
        .size:           4
        .value_kind:     by_value
      - .offset:         132
        .size:           4
        .value_kind:     by_value
      - .offset:         136
        .size:           4
        .value_kind:     by_value
      - .offset:         140
        .size:           4
        .value_kind:     by_value
    .group_segment_fixed_size: 0
    .kernarg_segment_align: 8
    .kernarg_segment_size: 144
    .language:       OpenCL C
    .language_version:
      - 2
      - 0
    .max_flat_workgroup_size: 1024
    .name:           _ZL13mul_mat_vec_fI6__halfS0_Li1ELi96ELb0ELb1EEvPKT_PKfPKi31ggml_cuda_mm_fusion_args_devicePfi15HIP_vector_typeIjLj3EEiiiSB_iiiSB_iiii
    .private_segment_fixed_size: 0
    .sgpr_count:     30
    .sgpr_spill_count: 0
    .symbol:         _ZL13mul_mat_vec_fI6__halfS0_Li1ELi96ELb0ELb1EEvPKT_PKfPKi31ggml_cuda_mm_fusion_args_devicePfi15HIP_vector_typeIjLj3EEiiiSB_iiiSB_iiii.kd
    .uniform_work_group_size: 1
    .uses_dynamic_stack: false
    .vgpr_count:     11
    .vgpr_spill_count: 0
    .wavefront_size: 32
    .workgroup_processor_mode: 1
  - .args:
      - .address_space:  global
        .offset:         0
        .size:           8
        .value_kind:     global_buffer
      - .address_space:  global
        .offset:         8
        .size:           8
        .value_kind:     global_buffer
      - .address_space:  global
        .offset:         16
        .size:           8
        .value_kind:     global_buffer
      - .offset:         24
        .size:           32
        .value_kind:     by_value
      - .address_space:  global
        .offset:         56
        .size:           8
        .value_kind:     global_buffer
      - .offset:         64
        .size:           4
        .value_kind:     by_value
      - .offset:         68
        .size:           12
        .value_kind:     by_value
      - .offset:         80
        .size:           4
        .value_kind:     by_value
      - .offset:         84
        .size:           4
        .value_kind:     by_value
      - .offset:         88
        .size:           4
        .value_kind:     by_value
      - .offset:         92
        .size:           12
        .value_kind:     by_value
      - .offset:         104
        .size:           4
        .value_kind:     by_value
      - .offset:         108
        .size:           4
        .value_kind:     by_value
      - .offset:         112
        .size:           4
        .value_kind:     by_value
      - .offset:         116
        .size:           12
        .value_kind:     by_value
      - .offset:         128
        .size:           4
        .value_kind:     by_value
      - .offset:         132
        .size:           4
        .value_kind:     by_value
      - .offset:         136
        .size:           4
        .value_kind:     by_value
      - .offset:         140
        .size:           4
        .value_kind:     by_value
    .group_segment_fixed_size: 0
    .kernarg_segment_align: 8
    .kernarg_segment_size: 144
    .language:       OpenCL C
    .language_version:
      - 2
      - 0
    .max_flat_workgroup_size: 1024
    .name:           _ZL13mul_mat_vec_fI6__halfS0_Li1ELi128ELb1ELb1EEvPKT_PKfPKi31ggml_cuda_mm_fusion_args_devicePfi15HIP_vector_typeIjLj3EEiiiSB_iiiSB_iiii
    .private_segment_fixed_size: 0
    .sgpr_count:     42
    .sgpr_spill_count: 0
    .symbol:         _ZL13mul_mat_vec_fI6__halfS0_Li1ELi128ELb1ELb1EEvPKT_PKfPKi31ggml_cuda_mm_fusion_args_devicePfi15HIP_vector_typeIjLj3EEiiiSB_iiiSB_iiii.kd
    .uniform_work_group_size: 1
    .uses_dynamic_stack: false
    .vgpr_count:     15
    .vgpr_spill_count: 0
    .wavefront_size: 32
    .workgroup_processor_mode: 1
  - .args:
      - .address_space:  global
        .offset:         0
        .size:           8
        .value_kind:     global_buffer
      - .address_space:  global
        .offset:         8
        .size:           8
        .value_kind:     global_buffer
      - .address_space:  global
        .offset:         16
        .size:           8
        .value_kind:     global_buffer
      - .offset:         24
        .size:           32
        .value_kind:     by_value
      - .address_space:  global
        .offset:         56
        .size:           8
        .value_kind:     global_buffer
      - .offset:         64
        .size:           4
        .value_kind:     by_value
      - .offset:         68
        .size:           12
        .value_kind:     by_value
      - .offset:         80
        .size:           4
        .value_kind:     by_value
      - .offset:         84
        .size:           4
        .value_kind:     by_value
      - .offset:         88
        .size:           4
        .value_kind:     by_value
      - .offset:         92
        .size:           12
        .value_kind:     by_value
      - .offset:         104
        .size:           4
        .value_kind:     by_value
      - .offset:         108
        .size:           4
        .value_kind:     by_value
      - .offset:         112
        .size:           4
        .value_kind:     by_value
      - .offset:         116
        .size:           12
        .value_kind:     by_value
      - .offset:         128
        .size:           4
        .value_kind:     by_value
      - .offset:         132
        .size:           4
        .value_kind:     by_value
      - .offset:         136
        .size:           4
        .value_kind:     by_value
      - .offset:         140
        .size:           4
        .value_kind:     by_value
    .group_segment_fixed_size: 0
    .kernarg_segment_align: 8
    .kernarg_segment_size: 144
    .language:       OpenCL C
    .language_version:
      - 2
      - 0
    .max_flat_workgroup_size: 1024
    .name:           _ZL13mul_mat_vec_fI6__halfS0_Li1ELi128ELb0ELb1EEvPKT_PKfPKi31ggml_cuda_mm_fusion_args_devicePfi15HIP_vector_typeIjLj3EEiiiSB_iiiSB_iiii
    .private_segment_fixed_size: 0
    .sgpr_count:     30
    .sgpr_spill_count: 0
    .symbol:         _ZL13mul_mat_vec_fI6__halfS0_Li1ELi128ELb0ELb1EEvPKT_PKfPKi31ggml_cuda_mm_fusion_args_devicePfi15HIP_vector_typeIjLj3EEiiiSB_iiiSB_iiii.kd
    .uniform_work_group_size: 1
    .uses_dynamic_stack: false
    .vgpr_count:     11
    .vgpr_spill_count: 0
    .wavefront_size: 32
    .workgroup_processor_mode: 1
  - .args:
      - .address_space:  global
        .offset:         0
        .size:           8
        .value_kind:     global_buffer
      - .address_space:  global
        .offset:         8
        .size:           8
        .value_kind:     global_buffer
      - .address_space:  global
        .offset:         16
        .size:           8
        .value_kind:     global_buffer
      - .offset:         24
        .size:           32
        .value_kind:     by_value
      - .address_space:  global
        .offset:         56
        .size:           8
        .value_kind:     global_buffer
      - .offset:         64
        .size:           4
        .value_kind:     by_value
      - .offset:         68
        .size:           12
        .value_kind:     by_value
      - .offset:         80
        .size:           4
        .value_kind:     by_value
      - .offset:         84
        .size:           4
        .value_kind:     by_value
      - .offset:         88
        .size:           4
        .value_kind:     by_value
      - .offset:         92
        .size:           12
        .value_kind:     by_value
      - .offset:         104
        .size:           4
        .value_kind:     by_value
      - .offset:         108
        .size:           4
        .value_kind:     by_value
      - .offset:         112
        .size:           4
        .value_kind:     by_value
      - .offset:         116
        .size:           12
        .value_kind:     by_value
      - .offset:         128
        .size:           4
        .value_kind:     by_value
      - .offset:         132
        .size:           4
        .value_kind:     by_value
      - .offset:         136
        .size:           4
        .value_kind:     by_value
      - .offset:         140
        .size:           4
        .value_kind:     by_value
    .group_segment_fixed_size: 0
    .kernarg_segment_align: 8
    .kernarg_segment_size: 144
    .language:       OpenCL C
    .language_version:
      - 2
      - 0
    .max_flat_workgroup_size: 1024
    .name:           _ZL13mul_mat_vec_fI6__halfS0_Li1ELi160ELb1ELb1EEvPKT_PKfPKi31ggml_cuda_mm_fusion_args_devicePfi15HIP_vector_typeIjLj3EEiiiSB_iiiSB_iiii
    .private_segment_fixed_size: 0
    .sgpr_count:     42
    .sgpr_spill_count: 0
    .symbol:         _ZL13mul_mat_vec_fI6__halfS0_Li1ELi160ELb1ELb1EEvPKT_PKfPKi31ggml_cuda_mm_fusion_args_devicePfi15HIP_vector_typeIjLj3EEiiiSB_iiiSB_iiii.kd
    .uniform_work_group_size: 1
    .uses_dynamic_stack: false
    .vgpr_count:     15
    .vgpr_spill_count: 0
    .wavefront_size: 32
    .workgroup_processor_mode: 1
  - .args:
      - .address_space:  global
        .offset:         0
        .size:           8
        .value_kind:     global_buffer
      - .address_space:  global
        .offset:         8
        .size:           8
        .value_kind:     global_buffer
      - .address_space:  global
        .offset:         16
        .size:           8
        .value_kind:     global_buffer
      - .offset:         24
        .size:           32
        .value_kind:     by_value
      - .address_space:  global
        .offset:         56
        .size:           8
        .value_kind:     global_buffer
      - .offset:         64
        .size:           4
        .value_kind:     by_value
      - .offset:         68
        .size:           12
        .value_kind:     by_value
      - .offset:         80
        .size:           4
        .value_kind:     by_value
      - .offset:         84
        .size:           4
        .value_kind:     by_value
      - .offset:         88
        .size:           4
        .value_kind:     by_value
      - .offset:         92
        .size:           12
        .value_kind:     by_value
      - .offset:         104
        .size:           4
        .value_kind:     by_value
      - .offset:         108
        .size:           4
        .value_kind:     by_value
      - .offset:         112
        .size:           4
        .value_kind:     by_value
      - .offset:         116
        .size:           12
        .value_kind:     by_value
      - .offset:         128
        .size:           4
        .value_kind:     by_value
      - .offset:         132
        .size:           4
        .value_kind:     by_value
      - .offset:         136
        .size:           4
        .value_kind:     by_value
      - .offset:         140
        .size:           4
        .value_kind:     by_value
    .group_segment_fixed_size: 0
    .kernarg_segment_align: 8
    .kernarg_segment_size: 144
    .language:       OpenCL C
    .language_version:
      - 2
      - 0
    .max_flat_workgroup_size: 1024
    .name:           _ZL13mul_mat_vec_fI6__halfS0_Li1ELi160ELb0ELb1EEvPKT_PKfPKi31ggml_cuda_mm_fusion_args_devicePfi15HIP_vector_typeIjLj3EEiiiSB_iiiSB_iiii
    .private_segment_fixed_size: 0
    .sgpr_count:     30
    .sgpr_spill_count: 0
    .symbol:         _ZL13mul_mat_vec_fI6__halfS0_Li1ELi160ELb0ELb1EEvPKT_PKfPKi31ggml_cuda_mm_fusion_args_devicePfi15HIP_vector_typeIjLj3EEiiiSB_iiiSB_iiii.kd
    .uniform_work_group_size: 1
    .uses_dynamic_stack: false
    .vgpr_count:     11
    .vgpr_spill_count: 0
    .wavefront_size: 32
    .workgroup_processor_mode: 1
  - .args:
      - .address_space:  global
        .offset:         0
        .size:           8
        .value_kind:     global_buffer
      - .address_space:  global
        .offset:         8
        .size:           8
        .value_kind:     global_buffer
      - .address_space:  global
        .offset:         16
        .size:           8
        .value_kind:     global_buffer
      - .offset:         24
        .size:           32
        .value_kind:     by_value
      - .address_space:  global
        .offset:         56
        .size:           8
        .value_kind:     global_buffer
      - .offset:         64
        .size:           4
        .value_kind:     by_value
      - .offset:         68
        .size:           12
        .value_kind:     by_value
      - .offset:         80
        .size:           4
        .value_kind:     by_value
      - .offset:         84
        .size:           4
        .value_kind:     by_value
      - .offset:         88
        .size:           4
        .value_kind:     by_value
      - .offset:         92
        .size:           12
        .value_kind:     by_value
      - .offset:         104
        .size:           4
        .value_kind:     by_value
      - .offset:         108
        .size:           4
        .value_kind:     by_value
      - .offset:         112
        .size:           4
        .value_kind:     by_value
      - .offset:         116
        .size:           12
        .value_kind:     by_value
      - .offset:         128
        .size:           4
        .value_kind:     by_value
      - .offset:         132
        .size:           4
        .value_kind:     by_value
      - .offset:         136
        .size:           4
        .value_kind:     by_value
      - .offset:         140
        .size:           4
        .value_kind:     by_value
    .group_segment_fixed_size: 0
    .kernarg_segment_align: 8
    .kernarg_segment_size: 144
    .language:       OpenCL C
    .language_version:
      - 2
      - 0
    .max_flat_workgroup_size: 1024
    .name:           _ZL13mul_mat_vec_fI6__halfS0_Li1ELi192ELb1ELb1EEvPKT_PKfPKi31ggml_cuda_mm_fusion_args_devicePfi15HIP_vector_typeIjLj3EEiiiSB_iiiSB_iiii
    .private_segment_fixed_size: 0
    .sgpr_count:     42
    .sgpr_spill_count: 0
    .symbol:         _ZL13mul_mat_vec_fI6__halfS0_Li1ELi192ELb1ELb1EEvPKT_PKfPKi31ggml_cuda_mm_fusion_args_devicePfi15HIP_vector_typeIjLj3EEiiiSB_iiiSB_iiii.kd
    .uniform_work_group_size: 1
    .uses_dynamic_stack: false
    .vgpr_count:     15
    .vgpr_spill_count: 0
    .wavefront_size: 32
    .workgroup_processor_mode: 1
  - .args:
      - .address_space:  global
        .offset:         0
        .size:           8
        .value_kind:     global_buffer
      - .address_space:  global
        .offset:         8
        .size:           8
        .value_kind:     global_buffer
      - .address_space:  global
        .offset:         16
        .size:           8
        .value_kind:     global_buffer
      - .offset:         24
        .size:           32
        .value_kind:     by_value
      - .address_space:  global
        .offset:         56
        .size:           8
        .value_kind:     global_buffer
      - .offset:         64
        .size:           4
        .value_kind:     by_value
      - .offset:         68
        .size:           12
        .value_kind:     by_value
      - .offset:         80
        .size:           4
        .value_kind:     by_value
      - .offset:         84
        .size:           4
        .value_kind:     by_value
      - .offset:         88
        .size:           4
        .value_kind:     by_value
      - .offset:         92
        .size:           12
        .value_kind:     by_value
      - .offset:         104
        .size:           4
        .value_kind:     by_value
      - .offset:         108
        .size:           4
        .value_kind:     by_value
      - .offset:         112
        .size:           4
        .value_kind:     by_value
      - .offset:         116
        .size:           12
        .value_kind:     by_value
      - .offset:         128
        .size:           4
        .value_kind:     by_value
      - .offset:         132
        .size:           4
        .value_kind:     by_value
      - .offset:         136
        .size:           4
        .value_kind:     by_value
      - .offset:         140
        .size:           4
        .value_kind:     by_value
    .group_segment_fixed_size: 0
    .kernarg_segment_align: 8
    .kernarg_segment_size: 144
    .language:       OpenCL C
    .language_version:
      - 2
      - 0
    .max_flat_workgroup_size: 1024
    .name:           _ZL13mul_mat_vec_fI6__halfS0_Li1ELi192ELb0ELb1EEvPKT_PKfPKi31ggml_cuda_mm_fusion_args_devicePfi15HIP_vector_typeIjLj3EEiiiSB_iiiSB_iiii
    .private_segment_fixed_size: 0
    .sgpr_count:     30
    .sgpr_spill_count: 0
    .symbol:         _ZL13mul_mat_vec_fI6__halfS0_Li1ELi192ELb0ELb1EEvPKT_PKfPKi31ggml_cuda_mm_fusion_args_devicePfi15HIP_vector_typeIjLj3EEiiiSB_iiiSB_iiii.kd
    .uniform_work_group_size: 1
    .uses_dynamic_stack: false
    .vgpr_count:     11
    .vgpr_spill_count: 0
    .wavefront_size: 32
    .workgroup_processor_mode: 1
  - .args:
      - .address_space:  global
        .offset:         0
        .size:           8
        .value_kind:     global_buffer
      - .address_space:  global
        .offset:         8
        .size:           8
        .value_kind:     global_buffer
      - .address_space:  global
        .offset:         16
        .size:           8
        .value_kind:     global_buffer
      - .offset:         24
        .size:           32
        .value_kind:     by_value
      - .address_space:  global
        .offset:         56
        .size:           8
        .value_kind:     global_buffer
      - .offset:         64
        .size:           4
        .value_kind:     by_value
      - .offset:         68
        .size:           12
        .value_kind:     by_value
      - .offset:         80
        .size:           4
        .value_kind:     by_value
      - .offset:         84
        .size:           4
        .value_kind:     by_value
      - .offset:         88
        .size:           4
        .value_kind:     by_value
      - .offset:         92
        .size:           12
        .value_kind:     by_value
      - .offset:         104
        .size:           4
        .value_kind:     by_value
      - .offset:         108
        .size:           4
        .value_kind:     by_value
      - .offset:         112
        .size:           4
        .value_kind:     by_value
      - .offset:         116
        .size:           12
        .value_kind:     by_value
      - .offset:         128
        .size:           4
        .value_kind:     by_value
      - .offset:         132
        .size:           4
        .value_kind:     by_value
      - .offset:         136
        .size:           4
        .value_kind:     by_value
      - .offset:         140
        .size:           4
        .value_kind:     by_value
    .group_segment_fixed_size: 0
    .kernarg_segment_align: 8
    .kernarg_segment_size: 144
    .language:       OpenCL C
    .language_version:
      - 2
      - 0
    .max_flat_workgroup_size: 1024
    .name:           _ZL13mul_mat_vec_fI6__halfS0_Li1ELi224ELb1ELb1EEvPKT_PKfPKi31ggml_cuda_mm_fusion_args_devicePfi15HIP_vector_typeIjLj3EEiiiSB_iiiSB_iiii
    .private_segment_fixed_size: 0
    .sgpr_count:     42
    .sgpr_spill_count: 0
    .symbol:         _ZL13mul_mat_vec_fI6__halfS0_Li1ELi224ELb1ELb1EEvPKT_PKfPKi31ggml_cuda_mm_fusion_args_devicePfi15HIP_vector_typeIjLj3EEiiiSB_iiiSB_iiii.kd
    .uniform_work_group_size: 1
    .uses_dynamic_stack: false
    .vgpr_count:     15
    .vgpr_spill_count: 0
    .wavefront_size: 32
    .workgroup_processor_mode: 1
  - .args:
      - .address_space:  global
        .offset:         0
        .size:           8
        .value_kind:     global_buffer
      - .address_space:  global
        .offset:         8
        .size:           8
        .value_kind:     global_buffer
      - .address_space:  global
        .offset:         16
        .size:           8
        .value_kind:     global_buffer
      - .offset:         24
        .size:           32
        .value_kind:     by_value
      - .address_space:  global
        .offset:         56
        .size:           8
        .value_kind:     global_buffer
      - .offset:         64
        .size:           4
        .value_kind:     by_value
      - .offset:         68
        .size:           12
        .value_kind:     by_value
      - .offset:         80
        .size:           4
        .value_kind:     by_value
      - .offset:         84
        .size:           4
        .value_kind:     by_value
      - .offset:         88
        .size:           4
        .value_kind:     by_value
      - .offset:         92
        .size:           12
        .value_kind:     by_value
      - .offset:         104
        .size:           4
        .value_kind:     by_value
      - .offset:         108
        .size:           4
        .value_kind:     by_value
      - .offset:         112
        .size:           4
        .value_kind:     by_value
      - .offset:         116
        .size:           12
        .value_kind:     by_value
      - .offset:         128
        .size:           4
        .value_kind:     by_value
      - .offset:         132
        .size:           4
        .value_kind:     by_value
      - .offset:         136
        .size:           4
        .value_kind:     by_value
      - .offset:         140
        .size:           4
        .value_kind:     by_value
    .group_segment_fixed_size: 0
    .kernarg_segment_align: 8
    .kernarg_segment_size: 144
    .language:       OpenCL C
    .language_version:
      - 2
      - 0
    .max_flat_workgroup_size: 1024
    .name:           _ZL13mul_mat_vec_fI6__halfS0_Li1ELi224ELb0ELb1EEvPKT_PKfPKi31ggml_cuda_mm_fusion_args_devicePfi15HIP_vector_typeIjLj3EEiiiSB_iiiSB_iiii
    .private_segment_fixed_size: 0
    .sgpr_count:     30
    .sgpr_spill_count: 0
    .symbol:         _ZL13mul_mat_vec_fI6__halfS0_Li1ELi224ELb0ELb1EEvPKT_PKfPKi31ggml_cuda_mm_fusion_args_devicePfi15HIP_vector_typeIjLj3EEiiiSB_iiiSB_iiii.kd
    .uniform_work_group_size: 1
    .uses_dynamic_stack: false
    .vgpr_count:     11
    .vgpr_spill_count: 0
    .wavefront_size: 32
    .workgroup_processor_mode: 1
  - .args:
      - .address_space:  global
        .offset:         0
        .size:           8
        .value_kind:     global_buffer
      - .address_space:  global
        .offset:         8
        .size:           8
        .value_kind:     global_buffer
      - .address_space:  global
        .offset:         16
        .size:           8
        .value_kind:     global_buffer
      - .offset:         24
        .size:           32
        .value_kind:     by_value
      - .address_space:  global
        .offset:         56
        .size:           8
        .value_kind:     global_buffer
      - .offset:         64
        .size:           4
        .value_kind:     by_value
      - .offset:         68
        .size:           12
        .value_kind:     by_value
      - .offset:         80
        .size:           4
        .value_kind:     by_value
      - .offset:         84
        .size:           4
        .value_kind:     by_value
      - .offset:         88
        .size:           4
        .value_kind:     by_value
      - .offset:         92
        .size:           12
        .value_kind:     by_value
      - .offset:         104
        .size:           4
        .value_kind:     by_value
      - .offset:         108
        .size:           4
        .value_kind:     by_value
      - .offset:         112
        .size:           4
        .value_kind:     by_value
      - .offset:         116
        .size:           12
        .value_kind:     by_value
      - .offset:         128
        .size:           4
        .value_kind:     by_value
      - .offset:         132
        .size:           4
        .value_kind:     by_value
      - .offset:         136
        .size:           4
        .value_kind:     by_value
      - .offset:         140
        .size:           4
        .value_kind:     by_value
    .group_segment_fixed_size: 0
    .kernarg_segment_align: 8
    .kernarg_segment_size: 144
    .language:       OpenCL C
    .language_version:
      - 2
      - 0
    .max_flat_workgroup_size: 1024
    .name:           _ZL13mul_mat_vec_fI6__halfS0_Li1ELi256ELb1ELb1EEvPKT_PKfPKi31ggml_cuda_mm_fusion_args_devicePfi15HIP_vector_typeIjLj3EEiiiSB_iiiSB_iiii
    .private_segment_fixed_size: 0
    .sgpr_count:     42
    .sgpr_spill_count: 0
    .symbol:         _ZL13mul_mat_vec_fI6__halfS0_Li1ELi256ELb1ELb1EEvPKT_PKfPKi31ggml_cuda_mm_fusion_args_devicePfi15HIP_vector_typeIjLj3EEiiiSB_iiiSB_iiii.kd
    .uniform_work_group_size: 1
    .uses_dynamic_stack: false
    .vgpr_count:     15
    .vgpr_spill_count: 0
    .wavefront_size: 32
    .workgroup_processor_mode: 1
  - .args:
      - .address_space:  global
        .offset:         0
        .size:           8
        .value_kind:     global_buffer
      - .address_space:  global
        .offset:         8
        .size:           8
        .value_kind:     global_buffer
      - .address_space:  global
        .offset:         16
        .size:           8
        .value_kind:     global_buffer
      - .offset:         24
        .size:           32
        .value_kind:     by_value
      - .address_space:  global
        .offset:         56
        .size:           8
        .value_kind:     global_buffer
      - .offset:         64
        .size:           4
        .value_kind:     by_value
      - .offset:         68
        .size:           12
        .value_kind:     by_value
      - .offset:         80
        .size:           4
        .value_kind:     by_value
      - .offset:         84
        .size:           4
        .value_kind:     by_value
      - .offset:         88
        .size:           4
        .value_kind:     by_value
      - .offset:         92
        .size:           12
        .value_kind:     by_value
      - .offset:         104
        .size:           4
        .value_kind:     by_value
      - .offset:         108
        .size:           4
        .value_kind:     by_value
      - .offset:         112
        .size:           4
        .value_kind:     by_value
      - .offset:         116
        .size:           12
        .value_kind:     by_value
      - .offset:         128
        .size:           4
        .value_kind:     by_value
      - .offset:         132
        .size:           4
        .value_kind:     by_value
      - .offset:         136
        .size:           4
        .value_kind:     by_value
      - .offset:         140
        .size:           4
        .value_kind:     by_value
    .group_segment_fixed_size: 0
    .kernarg_segment_align: 8
    .kernarg_segment_size: 144
    .language:       OpenCL C
    .language_version:
      - 2
      - 0
    .max_flat_workgroup_size: 1024
    .name:           _ZL13mul_mat_vec_fI6__halfS0_Li1ELi256ELb0ELb1EEvPKT_PKfPKi31ggml_cuda_mm_fusion_args_devicePfi15HIP_vector_typeIjLj3EEiiiSB_iiiSB_iiii
    .private_segment_fixed_size: 0
    .sgpr_count:     30
    .sgpr_spill_count: 0
    .symbol:         _ZL13mul_mat_vec_fI6__halfS0_Li1ELi256ELb0ELb1EEvPKT_PKfPKi31ggml_cuda_mm_fusion_args_devicePfi15HIP_vector_typeIjLj3EEiiiSB_iiiSB_iiii.kd
    .uniform_work_group_size: 1
    .uses_dynamic_stack: false
    .vgpr_count:     11
    .vgpr_spill_count: 0
    .wavefront_size: 32
    .workgroup_processor_mode: 1
  - .args:
      - .address_space:  global
        .offset:         0
        .size:           8
        .value_kind:     global_buffer
      - .address_space:  global
        .offset:         8
        .size:           8
        .value_kind:     global_buffer
      - .address_space:  global
        .offset:         16
        .size:           8
        .value_kind:     global_buffer
      - .offset:         24
        .size:           32
        .value_kind:     by_value
      - .address_space:  global
        .offset:         56
        .size:           8
        .value_kind:     global_buffer
      - .offset:         64
        .size:           4
        .value_kind:     by_value
      - .offset:         68
        .size:           12
        .value_kind:     by_value
      - .offset:         80
        .size:           4
        .value_kind:     by_value
      - .offset:         84
        .size:           4
        .value_kind:     by_value
      - .offset:         88
        .size:           4
        .value_kind:     by_value
      - .offset:         92
        .size:           12
        .value_kind:     by_value
      - .offset:         104
        .size:           4
        .value_kind:     by_value
      - .offset:         108
        .size:           4
        .value_kind:     by_value
      - .offset:         112
        .size:           4
        .value_kind:     by_value
      - .offset:         116
        .size:           12
        .value_kind:     by_value
      - .offset:         128
        .size:           4
        .value_kind:     by_value
      - .offset:         132
        .size:           4
        .value_kind:     by_value
      - .offset:         136
        .size:           4
        .value_kind:     by_value
      - .offset:         140
        .size:           4
        .value_kind:     by_value
    .group_segment_fixed_size: 0
    .kernarg_segment_align: 8
    .kernarg_segment_size: 144
    .language:       OpenCL C
    .language_version:
      - 2
      - 0
    .max_flat_workgroup_size: 1024
    .name:           _ZL13mul_mat_vec_fI6__halfS0_Li1ELi32ELb1ELb0EEvPKT_PKfPKi31ggml_cuda_mm_fusion_args_devicePfi15HIP_vector_typeIjLj3EEiiiSB_iiiSB_iiii
    .private_segment_fixed_size: 0
    .sgpr_count:     42
    .sgpr_spill_count: 0
    .symbol:         _ZL13mul_mat_vec_fI6__halfS0_Li1ELi32ELb1ELb0EEvPKT_PKfPKi31ggml_cuda_mm_fusion_args_devicePfi15HIP_vector_typeIjLj3EEiiiSB_iiiSB_iiii.kd
    .uniform_work_group_size: 1
    .uses_dynamic_stack: false
    .vgpr_count:     14
    .vgpr_spill_count: 0
    .wavefront_size: 32
    .workgroup_processor_mode: 1
  - .args:
      - .address_space:  global
        .offset:         0
        .size:           8
        .value_kind:     global_buffer
      - .address_space:  global
        .offset:         8
        .size:           8
        .value_kind:     global_buffer
      - .address_space:  global
        .offset:         16
        .size:           8
        .value_kind:     global_buffer
      - .offset:         24
        .size:           32
        .value_kind:     by_value
      - .address_space:  global
        .offset:         56
        .size:           8
        .value_kind:     global_buffer
      - .offset:         64
        .size:           4
        .value_kind:     by_value
      - .offset:         68
        .size:           12
        .value_kind:     by_value
      - .offset:         80
        .size:           4
        .value_kind:     by_value
      - .offset:         84
        .size:           4
        .value_kind:     by_value
      - .offset:         88
        .size:           4
        .value_kind:     by_value
      - .offset:         92
        .size:           12
        .value_kind:     by_value
      - .offset:         104
        .size:           4
        .value_kind:     by_value
      - .offset:         108
        .size:           4
        .value_kind:     by_value
      - .offset:         112
        .size:           4
        .value_kind:     by_value
      - .offset:         116
        .size:           12
        .value_kind:     by_value
      - .offset:         128
        .size:           4
        .value_kind:     by_value
      - .offset:         132
        .size:           4
        .value_kind:     by_value
      - .offset:         136
        .size:           4
        .value_kind:     by_value
      - .offset:         140
        .size:           4
        .value_kind:     by_value
    .group_segment_fixed_size: 0
    .kernarg_segment_align: 8
    .kernarg_segment_size: 144
    .language:       OpenCL C
    .language_version:
      - 2
      - 0
    .max_flat_workgroup_size: 1024
    .name:           _ZL13mul_mat_vec_fI6__halfS0_Li1ELi32ELb0ELb0EEvPKT_PKfPKi31ggml_cuda_mm_fusion_args_devicePfi15HIP_vector_typeIjLj3EEiiiSB_iiiSB_iiii
    .private_segment_fixed_size: 0
    .sgpr_count:     28
    .sgpr_spill_count: 0
    .symbol:         _ZL13mul_mat_vec_fI6__halfS0_Li1ELi32ELb0ELb0EEvPKT_PKfPKi31ggml_cuda_mm_fusion_args_devicePfi15HIP_vector_typeIjLj3EEiiiSB_iiiSB_iiii.kd
    .uniform_work_group_size: 1
    .uses_dynamic_stack: false
    .vgpr_count:     10
    .vgpr_spill_count: 0
    .wavefront_size: 32
    .workgroup_processor_mode: 1
  - .args:
      - .address_space:  global
        .offset:         0
        .size:           8
        .value_kind:     global_buffer
      - .address_space:  global
        .offset:         8
        .size:           8
        .value_kind:     global_buffer
      - .address_space:  global
        .offset:         16
        .size:           8
        .value_kind:     global_buffer
      - .offset:         24
        .size:           32
        .value_kind:     by_value
      - .address_space:  global
        .offset:         56
        .size:           8
        .value_kind:     global_buffer
      - .offset:         64
        .size:           4
        .value_kind:     by_value
      - .offset:         68
        .size:           12
        .value_kind:     by_value
      - .offset:         80
        .size:           4
        .value_kind:     by_value
      - .offset:         84
        .size:           4
        .value_kind:     by_value
      - .offset:         88
        .size:           4
        .value_kind:     by_value
      - .offset:         92
        .size:           12
        .value_kind:     by_value
      - .offset:         104
        .size:           4
        .value_kind:     by_value
      - .offset:         108
        .size:           4
        .value_kind:     by_value
      - .offset:         112
        .size:           4
        .value_kind:     by_value
      - .offset:         116
        .size:           12
        .value_kind:     by_value
      - .offset:         128
        .size:           4
        .value_kind:     by_value
      - .offset:         132
        .size:           4
        .value_kind:     by_value
      - .offset:         136
        .size:           4
        .value_kind:     by_value
      - .offset:         140
        .size:           4
        .value_kind:     by_value
    .group_segment_fixed_size: 0
    .kernarg_segment_align: 8
    .kernarg_segment_size: 144
    .language:       OpenCL C
    .language_version:
      - 2
      - 0
    .max_flat_workgroup_size: 1024
    .name:           _ZL13mul_mat_vec_fI6__halfS0_Li1ELi64ELb1ELb0EEvPKT_PKfPKi31ggml_cuda_mm_fusion_args_devicePfi15HIP_vector_typeIjLj3EEiiiSB_iiiSB_iiii
    .private_segment_fixed_size: 0
    .sgpr_count:     42
    .sgpr_spill_count: 0
    .symbol:         _ZL13mul_mat_vec_fI6__halfS0_Li1ELi64ELb1ELb0EEvPKT_PKfPKi31ggml_cuda_mm_fusion_args_devicePfi15HIP_vector_typeIjLj3EEiiiSB_iiiSB_iiii.kd
    .uniform_work_group_size: 1
    .uses_dynamic_stack: false
    .vgpr_count:     15
    .vgpr_spill_count: 0
    .wavefront_size: 32
    .workgroup_processor_mode: 1
  - .args:
      - .address_space:  global
        .offset:         0
        .size:           8
        .value_kind:     global_buffer
      - .address_space:  global
        .offset:         8
        .size:           8
        .value_kind:     global_buffer
      - .address_space:  global
        .offset:         16
        .size:           8
        .value_kind:     global_buffer
      - .offset:         24
        .size:           32
        .value_kind:     by_value
      - .address_space:  global
        .offset:         56
        .size:           8
        .value_kind:     global_buffer
      - .offset:         64
        .size:           4
        .value_kind:     by_value
      - .offset:         68
        .size:           12
        .value_kind:     by_value
      - .offset:         80
        .size:           4
        .value_kind:     by_value
      - .offset:         84
        .size:           4
        .value_kind:     by_value
      - .offset:         88
        .size:           4
        .value_kind:     by_value
      - .offset:         92
        .size:           12
        .value_kind:     by_value
      - .offset:         104
        .size:           4
        .value_kind:     by_value
      - .offset:         108
        .size:           4
        .value_kind:     by_value
      - .offset:         112
        .size:           4
        .value_kind:     by_value
      - .offset:         116
        .size:           12
        .value_kind:     by_value
      - .offset:         128
        .size:           4
        .value_kind:     by_value
      - .offset:         132
        .size:           4
        .value_kind:     by_value
      - .offset:         136
        .size:           4
        .value_kind:     by_value
      - .offset:         140
        .size:           4
        .value_kind:     by_value
    .group_segment_fixed_size: 0
    .kernarg_segment_align: 8
    .kernarg_segment_size: 144
    .language:       OpenCL C
    .language_version:
      - 2
      - 0
    .max_flat_workgroup_size: 1024
    .name:           _ZL13mul_mat_vec_fI6__halfS0_Li1ELi64ELb0ELb0EEvPKT_PKfPKi31ggml_cuda_mm_fusion_args_devicePfi15HIP_vector_typeIjLj3EEiiiSB_iiiSB_iiii
    .private_segment_fixed_size: 0
    .sgpr_count:     30
    .sgpr_spill_count: 0
    .symbol:         _ZL13mul_mat_vec_fI6__halfS0_Li1ELi64ELb0ELb0EEvPKT_PKfPKi31ggml_cuda_mm_fusion_args_devicePfi15HIP_vector_typeIjLj3EEiiiSB_iiiSB_iiii.kd
    .uniform_work_group_size: 1
    .uses_dynamic_stack: false
    .vgpr_count:     11
    .vgpr_spill_count: 0
    .wavefront_size: 32
    .workgroup_processor_mode: 1
  - .args:
      - .address_space:  global
        .offset:         0
        .size:           8
        .value_kind:     global_buffer
      - .address_space:  global
        .offset:         8
        .size:           8
        .value_kind:     global_buffer
      - .address_space:  global
        .offset:         16
        .size:           8
        .value_kind:     global_buffer
      - .offset:         24
        .size:           32
        .value_kind:     by_value
      - .address_space:  global
        .offset:         56
        .size:           8
        .value_kind:     global_buffer
      - .offset:         64
        .size:           4
        .value_kind:     by_value
      - .offset:         68
        .size:           12
        .value_kind:     by_value
      - .offset:         80
        .size:           4
        .value_kind:     by_value
      - .offset:         84
        .size:           4
        .value_kind:     by_value
      - .offset:         88
        .size:           4
        .value_kind:     by_value
      - .offset:         92
        .size:           12
        .value_kind:     by_value
      - .offset:         104
        .size:           4
        .value_kind:     by_value
      - .offset:         108
        .size:           4
        .value_kind:     by_value
      - .offset:         112
        .size:           4
        .value_kind:     by_value
      - .offset:         116
        .size:           12
        .value_kind:     by_value
      - .offset:         128
        .size:           4
        .value_kind:     by_value
      - .offset:         132
        .size:           4
        .value_kind:     by_value
      - .offset:         136
        .size:           4
        .value_kind:     by_value
      - .offset:         140
        .size:           4
        .value_kind:     by_value
    .group_segment_fixed_size: 0
    .kernarg_segment_align: 8
    .kernarg_segment_size: 144
    .language:       OpenCL C
    .language_version:
      - 2
      - 0
    .max_flat_workgroup_size: 1024
    .name:           _ZL13mul_mat_vec_fI6__halfS0_Li1ELi96ELb1ELb0EEvPKT_PKfPKi31ggml_cuda_mm_fusion_args_devicePfi15HIP_vector_typeIjLj3EEiiiSB_iiiSB_iiii
    .private_segment_fixed_size: 0
    .sgpr_count:     42
    .sgpr_spill_count: 0
    .symbol:         _ZL13mul_mat_vec_fI6__halfS0_Li1ELi96ELb1ELb0EEvPKT_PKfPKi31ggml_cuda_mm_fusion_args_devicePfi15HIP_vector_typeIjLj3EEiiiSB_iiiSB_iiii.kd
    .uniform_work_group_size: 1
    .uses_dynamic_stack: false
    .vgpr_count:     15
    .vgpr_spill_count: 0
    .wavefront_size: 32
    .workgroup_processor_mode: 1
  - .args:
      - .address_space:  global
        .offset:         0
        .size:           8
        .value_kind:     global_buffer
      - .address_space:  global
        .offset:         8
        .size:           8
        .value_kind:     global_buffer
      - .address_space:  global
        .offset:         16
        .size:           8
        .value_kind:     global_buffer
      - .offset:         24
        .size:           32
        .value_kind:     by_value
      - .address_space:  global
        .offset:         56
        .size:           8
        .value_kind:     global_buffer
      - .offset:         64
        .size:           4
        .value_kind:     by_value
      - .offset:         68
        .size:           12
        .value_kind:     by_value
      - .offset:         80
        .size:           4
        .value_kind:     by_value
      - .offset:         84
        .size:           4
        .value_kind:     by_value
      - .offset:         88
        .size:           4
        .value_kind:     by_value
      - .offset:         92
        .size:           12
        .value_kind:     by_value
      - .offset:         104
        .size:           4
        .value_kind:     by_value
      - .offset:         108
        .size:           4
        .value_kind:     by_value
      - .offset:         112
        .size:           4
        .value_kind:     by_value
      - .offset:         116
        .size:           12
        .value_kind:     by_value
      - .offset:         128
        .size:           4
        .value_kind:     by_value
      - .offset:         132
        .size:           4
        .value_kind:     by_value
      - .offset:         136
        .size:           4
        .value_kind:     by_value
      - .offset:         140
        .size:           4
        .value_kind:     by_value
    .group_segment_fixed_size: 0
    .kernarg_segment_align: 8
    .kernarg_segment_size: 144
    .language:       OpenCL C
    .language_version:
      - 2
      - 0
    .max_flat_workgroup_size: 1024
    .name:           _ZL13mul_mat_vec_fI6__halfS0_Li1ELi96ELb0ELb0EEvPKT_PKfPKi31ggml_cuda_mm_fusion_args_devicePfi15HIP_vector_typeIjLj3EEiiiSB_iiiSB_iiii
    .private_segment_fixed_size: 0
    .sgpr_count:     30
    .sgpr_spill_count: 0
    .symbol:         _ZL13mul_mat_vec_fI6__halfS0_Li1ELi96ELb0ELb0EEvPKT_PKfPKi31ggml_cuda_mm_fusion_args_devicePfi15HIP_vector_typeIjLj3EEiiiSB_iiiSB_iiii.kd
    .uniform_work_group_size: 1
    .uses_dynamic_stack: false
    .vgpr_count:     11
    .vgpr_spill_count: 0
    .wavefront_size: 32
    .workgroup_processor_mode: 1
  - .args:
      - .address_space:  global
        .offset:         0
        .size:           8
        .value_kind:     global_buffer
      - .address_space:  global
        .offset:         8
        .size:           8
        .value_kind:     global_buffer
      - .address_space:  global
        .offset:         16
        .size:           8
        .value_kind:     global_buffer
      - .offset:         24
        .size:           32
        .value_kind:     by_value
      - .address_space:  global
        .offset:         56
        .size:           8
        .value_kind:     global_buffer
      - .offset:         64
        .size:           4
        .value_kind:     by_value
      - .offset:         68
        .size:           12
        .value_kind:     by_value
      - .offset:         80
        .size:           4
        .value_kind:     by_value
      - .offset:         84
        .size:           4
        .value_kind:     by_value
      - .offset:         88
        .size:           4
        .value_kind:     by_value
      - .offset:         92
        .size:           12
        .value_kind:     by_value
      - .offset:         104
        .size:           4
        .value_kind:     by_value
      - .offset:         108
        .size:           4
        .value_kind:     by_value
      - .offset:         112
        .size:           4
        .value_kind:     by_value
      - .offset:         116
        .size:           12
        .value_kind:     by_value
      - .offset:         128
        .size:           4
        .value_kind:     by_value
      - .offset:         132
        .size:           4
        .value_kind:     by_value
      - .offset:         136
        .size:           4
        .value_kind:     by_value
      - .offset:         140
        .size:           4
        .value_kind:     by_value
    .group_segment_fixed_size: 0
    .kernarg_segment_align: 8
    .kernarg_segment_size: 144
    .language:       OpenCL C
    .language_version:
      - 2
      - 0
    .max_flat_workgroup_size: 1024
    .name:           _ZL13mul_mat_vec_fI6__halfS0_Li1ELi128ELb1ELb0EEvPKT_PKfPKi31ggml_cuda_mm_fusion_args_devicePfi15HIP_vector_typeIjLj3EEiiiSB_iiiSB_iiii
    .private_segment_fixed_size: 0
    .sgpr_count:     42
    .sgpr_spill_count: 0
    .symbol:         _ZL13mul_mat_vec_fI6__halfS0_Li1ELi128ELb1ELb0EEvPKT_PKfPKi31ggml_cuda_mm_fusion_args_devicePfi15HIP_vector_typeIjLj3EEiiiSB_iiiSB_iiii.kd
    .uniform_work_group_size: 1
    .uses_dynamic_stack: false
    .vgpr_count:     15
    .vgpr_spill_count: 0
    .wavefront_size: 32
    .workgroup_processor_mode: 1
  - .args:
      - .address_space:  global
        .offset:         0
        .size:           8
        .value_kind:     global_buffer
      - .address_space:  global
        .offset:         8
        .size:           8
        .value_kind:     global_buffer
      - .address_space:  global
        .offset:         16
        .size:           8
        .value_kind:     global_buffer
      - .offset:         24
        .size:           32
        .value_kind:     by_value
      - .address_space:  global
        .offset:         56
        .size:           8
        .value_kind:     global_buffer
      - .offset:         64
        .size:           4
        .value_kind:     by_value
      - .offset:         68
        .size:           12
        .value_kind:     by_value
      - .offset:         80
        .size:           4
        .value_kind:     by_value
      - .offset:         84
        .size:           4
        .value_kind:     by_value
      - .offset:         88
        .size:           4
        .value_kind:     by_value
      - .offset:         92
        .size:           12
        .value_kind:     by_value
      - .offset:         104
        .size:           4
        .value_kind:     by_value
      - .offset:         108
        .size:           4
        .value_kind:     by_value
      - .offset:         112
        .size:           4
        .value_kind:     by_value
      - .offset:         116
        .size:           12
        .value_kind:     by_value
      - .offset:         128
        .size:           4
        .value_kind:     by_value
      - .offset:         132
        .size:           4
        .value_kind:     by_value
      - .offset:         136
        .size:           4
        .value_kind:     by_value
      - .offset:         140
        .size:           4
        .value_kind:     by_value
    .group_segment_fixed_size: 0
    .kernarg_segment_align: 8
    .kernarg_segment_size: 144
    .language:       OpenCL C
    .language_version:
      - 2
      - 0
    .max_flat_workgroup_size: 1024
    .name:           _ZL13mul_mat_vec_fI6__halfS0_Li1ELi128ELb0ELb0EEvPKT_PKfPKi31ggml_cuda_mm_fusion_args_devicePfi15HIP_vector_typeIjLj3EEiiiSB_iiiSB_iiii
    .private_segment_fixed_size: 0
    .sgpr_count:     30
    .sgpr_spill_count: 0
    .symbol:         _ZL13mul_mat_vec_fI6__halfS0_Li1ELi128ELb0ELb0EEvPKT_PKfPKi31ggml_cuda_mm_fusion_args_devicePfi15HIP_vector_typeIjLj3EEiiiSB_iiiSB_iiii.kd
    .uniform_work_group_size: 1
    .uses_dynamic_stack: false
    .vgpr_count:     11
    .vgpr_spill_count: 0
    .wavefront_size: 32
    .workgroup_processor_mode: 1
  - .args:
      - .address_space:  global
        .offset:         0
        .size:           8
        .value_kind:     global_buffer
      - .address_space:  global
        .offset:         8
        .size:           8
        .value_kind:     global_buffer
      - .address_space:  global
        .offset:         16
        .size:           8
        .value_kind:     global_buffer
      - .offset:         24
        .size:           32
        .value_kind:     by_value
      - .address_space:  global
        .offset:         56
        .size:           8
        .value_kind:     global_buffer
      - .offset:         64
        .size:           4
        .value_kind:     by_value
      - .offset:         68
        .size:           12
        .value_kind:     by_value
      - .offset:         80
        .size:           4
        .value_kind:     by_value
      - .offset:         84
        .size:           4
        .value_kind:     by_value
      - .offset:         88
        .size:           4
        .value_kind:     by_value
      - .offset:         92
        .size:           12
        .value_kind:     by_value
      - .offset:         104
        .size:           4
        .value_kind:     by_value
      - .offset:         108
        .size:           4
        .value_kind:     by_value
      - .offset:         112
        .size:           4
        .value_kind:     by_value
      - .offset:         116
        .size:           12
        .value_kind:     by_value
      - .offset:         128
        .size:           4
        .value_kind:     by_value
      - .offset:         132
        .size:           4
        .value_kind:     by_value
      - .offset:         136
        .size:           4
        .value_kind:     by_value
      - .offset:         140
        .size:           4
        .value_kind:     by_value
    .group_segment_fixed_size: 0
    .kernarg_segment_align: 8
    .kernarg_segment_size: 144
    .language:       OpenCL C
    .language_version:
      - 2
      - 0
    .max_flat_workgroup_size: 1024
    .name:           _ZL13mul_mat_vec_fI6__halfS0_Li1ELi160ELb1ELb0EEvPKT_PKfPKi31ggml_cuda_mm_fusion_args_devicePfi15HIP_vector_typeIjLj3EEiiiSB_iiiSB_iiii
    .private_segment_fixed_size: 0
    .sgpr_count:     42
    .sgpr_spill_count: 0
    .symbol:         _ZL13mul_mat_vec_fI6__halfS0_Li1ELi160ELb1ELb0EEvPKT_PKfPKi31ggml_cuda_mm_fusion_args_devicePfi15HIP_vector_typeIjLj3EEiiiSB_iiiSB_iiii.kd
    .uniform_work_group_size: 1
    .uses_dynamic_stack: false
    .vgpr_count:     15
    .vgpr_spill_count: 0
    .wavefront_size: 32
    .workgroup_processor_mode: 1
  - .args:
      - .address_space:  global
        .offset:         0
        .size:           8
        .value_kind:     global_buffer
      - .address_space:  global
        .offset:         8
        .size:           8
        .value_kind:     global_buffer
      - .address_space:  global
        .offset:         16
        .size:           8
        .value_kind:     global_buffer
      - .offset:         24
        .size:           32
        .value_kind:     by_value
      - .address_space:  global
        .offset:         56
        .size:           8
        .value_kind:     global_buffer
      - .offset:         64
        .size:           4
        .value_kind:     by_value
      - .offset:         68
        .size:           12
        .value_kind:     by_value
      - .offset:         80
        .size:           4
        .value_kind:     by_value
      - .offset:         84
        .size:           4
        .value_kind:     by_value
      - .offset:         88
        .size:           4
        .value_kind:     by_value
      - .offset:         92
        .size:           12
        .value_kind:     by_value
      - .offset:         104
        .size:           4
        .value_kind:     by_value
      - .offset:         108
        .size:           4
        .value_kind:     by_value
      - .offset:         112
        .size:           4
        .value_kind:     by_value
      - .offset:         116
        .size:           12
        .value_kind:     by_value
      - .offset:         128
        .size:           4
        .value_kind:     by_value
      - .offset:         132
        .size:           4
        .value_kind:     by_value
      - .offset:         136
        .size:           4
        .value_kind:     by_value
      - .offset:         140
        .size:           4
        .value_kind:     by_value
    .group_segment_fixed_size: 0
    .kernarg_segment_align: 8
    .kernarg_segment_size: 144
    .language:       OpenCL C
    .language_version:
      - 2
      - 0
    .max_flat_workgroup_size: 1024
    .name:           _ZL13mul_mat_vec_fI6__halfS0_Li1ELi160ELb0ELb0EEvPKT_PKfPKi31ggml_cuda_mm_fusion_args_devicePfi15HIP_vector_typeIjLj3EEiiiSB_iiiSB_iiii
    .private_segment_fixed_size: 0
    .sgpr_count:     30
    .sgpr_spill_count: 0
    .symbol:         _ZL13mul_mat_vec_fI6__halfS0_Li1ELi160ELb0ELb0EEvPKT_PKfPKi31ggml_cuda_mm_fusion_args_devicePfi15HIP_vector_typeIjLj3EEiiiSB_iiiSB_iiii.kd
    .uniform_work_group_size: 1
    .uses_dynamic_stack: false
    .vgpr_count:     11
    .vgpr_spill_count: 0
    .wavefront_size: 32
    .workgroup_processor_mode: 1
  - .args:
      - .address_space:  global
        .offset:         0
        .size:           8
        .value_kind:     global_buffer
      - .address_space:  global
        .offset:         8
        .size:           8
        .value_kind:     global_buffer
      - .address_space:  global
        .offset:         16
        .size:           8
        .value_kind:     global_buffer
      - .offset:         24
        .size:           32
        .value_kind:     by_value
      - .address_space:  global
        .offset:         56
        .size:           8
        .value_kind:     global_buffer
      - .offset:         64
        .size:           4
        .value_kind:     by_value
      - .offset:         68
        .size:           12
        .value_kind:     by_value
      - .offset:         80
        .size:           4
        .value_kind:     by_value
      - .offset:         84
        .size:           4
        .value_kind:     by_value
      - .offset:         88
        .size:           4
        .value_kind:     by_value
      - .offset:         92
        .size:           12
        .value_kind:     by_value
      - .offset:         104
        .size:           4
        .value_kind:     by_value
      - .offset:         108
        .size:           4
        .value_kind:     by_value
      - .offset:         112
        .size:           4
        .value_kind:     by_value
      - .offset:         116
        .size:           12
        .value_kind:     by_value
      - .offset:         128
        .size:           4
        .value_kind:     by_value
      - .offset:         132
        .size:           4
        .value_kind:     by_value
      - .offset:         136
        .size:           4
        .value_kind:     by_value
      - .offset:         140
        .size:           4
        .value_kind:     by_value
    .group_segment_fixed_size: 0
    .kernarg_segment_align: 8
    .kernarg_segment_size: 144
    .language:       OpenCL C
    .language_version:
      - 2
      - 0
    .max_flat_workgroup_size: 1024
    .name:           _ZL13mul_mat_vec_fI6__halfS0_Li1ELi192ELb1ELb0EEvPKT_PKfPKi31ggml_cuda_mm_fusion_args_devicePfi15HIP_vector_typeIjLj3EEiiiSB_iiiSB_iiii
    .private_segment_fixed_size: 0
    .sgpr_count:     42
    .sgpr_spill_count: 0
    .symbol:         _ZL13mul_mat_vec_fI6__halfS0_Li1ELi192ELb1ELb0EEvPKT_PKfPKi31ggml_cuda_mm_fusion_args_devicePfi15HIP_vector_typeIjLj3EEiiiSB_iiiSB_iiii.kd
    .uniform_work_group_size: 1
    .uses_dynamic_stack: false
    .vgpr_count:     15
    .vgpr_spill_count: 0
    .wavefront_size: 32
    .workgroup_processor_mode: 1
  - .args:
      - .address_space:  global
        .offset:         0
        .size:           8
        .value_kind:     global_buffer
      - .address_space:  global
        .offset:         8
        .size:           8
        .value_kind:     global_buffer
      - .address_space:  global
        .offset:         16
        .size:           8
        .value_kind:     global_buffer
      - .offset:         24
        .size:           32
        .value_kind:     by_value
      - .address_space:  global
        .offset:         56
        .size:           8
        .value_kind:     global_buffer
      - .offset:         64
        .size:           4
        .value_kind:     by_value
      - .offset:         68
        .size:           12
        .value_kind:     by_value
      - .offset:         80
        .size:           4
        .value_kind:     by_value
      - .offset:         84
        .size:           4
        .value_kind:     by_value
      - .offset:         88
        .size:           4
        .value_kind:     by_value
      - .offset:         92
        .size:           12
        .value_kind:     by_value
      - .offset:         104
        .size:           4
        .value_kind:     by_value
      - .offset:         108
        .size:           4
        .value_kind:     by_value
      - .offset:         112
        .size:           4
        .value_kind:     by_value
      - .offset:         116
        .size:           12
        .value_kind:     by_value
      - .offset:         128
        .size:           4
        .value_kind:     by_value
      - .offset:         132
        .size:           4
        .value_kind:     by_value
      - .offset:         136
        .size:           4
        .value_kind:     by_value
      - .offset:         140
        .size:           4
        .value_kind:     by_value
    .group_segment_fixed_size: 0
    .kernarg_segment_align: 8
    .kernarg_segment_size: 144
    .language:       OpenCL C
    .language_version:
      - 2
      - 0
    .max_flat_workgroup_size: 1024
    .name:           _ZL13mul_mat_vec_fI6__halfS0_Li1ELi192ELb0ELb0EEvPKT_PKfPKi31ggml_cuda_mm_fusion_args_devicePfi15HIP_vector_typeIjLj3EEiiiSB_iiiSB_iiii
    .private_segment_fixed_size: 0
    .sgpr_count:     30
    .sgpr_spill_count: 0
    .symbol:         _ZL13mul_mat_vec_fI6__halfS0_Li1ELi192ELb0ELb0EEvPKT_PKfPKi31ggml_cuda_mm_fusion_args_devicePfi15HIP_vector_typeIjLj3EEiiiSB_iiiSB_iiii.kd
    .uniform_work_group_size: 1
    .uses_dynamic_stack: false
    .vgpr_count:     11
    .vgpr_spill_count: 0
    .wavefront_size: 32
    .workgroup_processor_mode: 1
  - .args:
      - .address_space:  global
        .offset:         0
        .size:           8
        .value_kind:     global_buffer
      - .address_space:  global
        .offset:         8
        .size:           8
        .value_kind:     global_buffer
      - .address_space:  global
        .offset:         16
        .size:           8
        .value_kind:     global_buffer
      - .offset:         24
        .size:           32
        .value_kind:     by_value
      - .address_space:  global
        .offset:         56
        .size:           8
        .value_kind:     global_buffer
      - .offset:         64
        .size:           4
        .value_kind:     by_value
      - .offset:         68
        .size:           12
        .value_kind:     by_value
      - .offset:         80
        .size:           4
        .value_kind:     by_value
      - .offset:         84
        .size:           4
        .value_kind:     by_value
      - .offset:         88
        .size:           4
        .value_kind:     by_value
      - .offset:         92
        .size:           12
        .value_kind:     by_value
      - .offset:         104
        .size:           4
        .value_kind:     by_value
      - .offset:         108
        .size:           4
        .value_kind:     by_value
      - .offset:         112
        .size:           4
        .value_kind:     by_value
      - .offset:         116
        .size:           12
        .value_kind:     by_value
      - .offset:         128
        .size:           4
        .value_kind:     by_value
      - .offset:         132
        .size:           4
        .value_kind:     by_value
      - .offset:         136
        .size:           4
        .value_kind:     by_value
      - .offset:         140
        .size:           4
        .value_kind:     by_value
    .group_segment_fixed_size: 0
    .kernarg_segment_align: 8
    .kernarg_segment_size: 144
    .language:       OpenCL C
    .language_version:
      - 2
      - 0
    .max_flat_workgroup_size: 1024
    .name:           _ZL13mul_mat_vec_fI6__halfS0_Li1ELi224ELb1ELb0EEvPKT_PKfPKi31ggml_cuda_mm_fusion_args_devicePfi15HIP_vector_typeIjLj3EEiiiSB_iiiSB_iiii
    .private_segment_fixed_size: 0
    .sgpr_count:     42
    .sgpr_spill_count: 0
    .symbol:         _ZL13mul_mat_vec_fI6__halfS0_Li1ELi224ELb1ELb0EEvPKT_PKfPKi31ggml_cuda_mm_fusion_args_devicePfi15HIP_vector_typeIjLj3EEiiiSB_iiiSB_iiii.kd
    .uniform_work_group_size: 1
    .uses_dynamic_stack: false
    .vgpr_count:     15
    .vgpr_spill_count: 0
    .wavefront_size: 32
    .workgroup_processor_mode: 1
  - .args:
      - .address_space:  global
        .offset:         0
        .size:           8
        .value_kind:     global_buffer
      - .address_space:  global
        .offset:         8
        .size:           8
        .value_kind:     global_buffer
      - .address_space:  global
        .offset:         16
        .size:           8
        .value_kind:     global_buffer
      - .offset:         24
        .size:           32
        .value_kind:     by_value
      - .address_space:  global
        .offset:         56
        .size:           8
        .value_kind:     global_buffer
      - .offset:         64
        .size:           4
        .value_kind:     by_value
      - .offset:         68
        .size:           12
        .value_kind:     by_value
      - .offset:         80
        .size:           4
        .value_kind:     by_value
      - .offset:         84
        .size:           4
        .value_kind:     by_value
      - .offset:         88
        .size:           4
        .value_kind:     by_value
      - .offset:         92
        .size:           12
        .value_kind:     by_value
      - .offset:         104
        .size:           4
        .value_kind:     by_value
      - .offset:         108
        .size:           4
        .value_kind:     by_value
      - .offset:         112
        .size:           4
        .value_kind:     by_value
      - .offset:         116
        .size:           12
        .value_kind:     by_value
      - .offset:         128
        .size:           4
        .value_kind:     by_value
      - .offset:         132
        .size:           4
        .value_kind:     by_value
      - .offset:         136
        .size:           4
        .value_kind:     by_value
      - .offset:         140
        .size:           4
        .value_kind:     by_value
    .group_segment_fixed_size: 0
    .kernarg_segment_align: 8
    .kernarg_segment_size: 144
    .language:       OpenCL C
    .language_version:
      - 2
      - 0
    .max_flat_workgroup_size: 1024
    .name:           _ZL13mul_mat_vec_fI6__halfS0_Li1ELi224ELb0ELb0EEvPKT_PKfPKi31ggml_cuda_mm_fusion_args_devicePfi15HIP_vector_typeIjLj3EEiiiSB_iiiSB_iiii
    .private_segment_fixed_size: 0
    .sgpr_count:     30
    .sgpr_spill_count: 0
    .symbol:         _ZL13mul_mat_vec_fI6__halfS0_Li1ELi224ELb0ELb0EEvPKT_PKfPKi31ggml_cuda_mm_fusion_args_devicePfi15HIP_vector_typeIjLj3EEiiiSB_iiiSB_iiii.kd
    .uniform_work_group_size: 1
    .uses_dynamic_stack: false
    .vgpr_count:     11
    .vgpr_spill_count: 0
    .wavefront_size: 32
    .workgroup_processor_mode: 1
  - .args:
      - .address_space:  global
        .offset:         0
        .size:           8
        .value_kind:     global_buffer
      - .address_space:  global
        .offset:         8
        .size:           8
        .value_kind:     global_buffer
      - .address_space:  global
        .offset:         16
        .size:           8
        .value_kind:     global_buffer
      - .offset:         24
        .size:           32
        .value_kind:     by_value
      - .address_space:  global
        .offset:         56
        .size:           8
        .value_kind:     global_buffer
      - .offset:         64
        .size:           4
        .value_kind:     by_value
      - .offset:         68
        .size:           12
        .value_kind:     by_value
      - .offset:         80
        .size:           4
        .value_kind:     by_value
      - .offset:         84
        .size:           4
        .value_kind:     by_value
      - .offset:         88
        .size:           4
        .value_kind:     by_value
      - .offset:         92
        .size:           12
        .value_kind:     by_value
      - .offset:         104
        .size:           4
        .value_kind:     by_value
      - .offset:         108
        .size:           4
        .value_kind:     by_value
      - .offset:         112
        .size:           4
        .value_kind:     by_value
      - .offset:         116
        .size:           12
        .value_kind:     by_value
      - .offset:         128
        .size:           4
        .value_kind:     by_value
      - .offset:         132
        .size:           4
        .value_kind:     by_value
      - .offset:         136
        .size:           4
        .value_kind:     by_value
      - .offset:         140
        .size:           4
        .value_kind:     by_value
    .group_segment_fixed_size: 0
    .kernarg_segment_align: 8
    .kernarg_segment_size: 144
    .language:       OpenCL C
    .language_version:
      - 2
      - 0
    .max_flat_workgroup_size: 1024
    .name:           _ZL13mul_mat_vec_fI6__halfS0_Li1ELi256ELb1ELb0EEvPKT_PKfPKi31ggml_cuda_mm_fusion_args_devicePfi15HIP_vector_typeIjLj3EEiiiSB_iiiSB_iiii
    .private_segment_fixed_size: 0
    .sgpr_count:     42
    .sgpr_spill_count: 0
    .symbol:         _ZL13mul_mat_vec_fI6__halfS0_Li1ELi256ELb1ELb0EEvPKT_PKfPKi31ggml_cuda_mm_fusion_args_devicePfi15HIP_vector_typeIjLj3EEiiiSB_iiiSB_iiii.kd
    .uniform_work_group_size: 1
    .uses_dynamic_stack: false
    .vgpr_count:     15
    .vgpr_spill_count: 0
    .wavefront_size: 32
    .workgroup_processor_mode: 1
  - .args:
      - .address_space:  global
        .offset:         0
        .size:           8
        .value_kind:     global_buffer
      - .address_space:  global
        .offset:         8
        .size:           8
        .value_kind:     global_buffer
      - .address_space:  global
        .offset:         16
        .size:           8
        .value_kind:     global_buffer
      - .offset:         24
        .size:           32
        .value_kind:     by_value
      - .address_space:  global
        .offset:         56
        .size:           8
        .value_kind:     global_buffer
      - .offset:         64
        .size:           4
        .value_kind:     by_value
      - .offset:         68
        .size:           12
        .value_kind:     by_value
      - .offset:         80
        .size:           4
        .value_kind:     by_value
      - .offset:         84
        .size:           4
        .value_kind:     by_value
      - .offset:         88
        .size:           4
        .value_kind:     by_value
      - .offset:         92
        .size:           12
        .value_kind:     by_value
      - .offset:         104
        .size:           4
        .value_kind:     by_value
      - .offset:         108
        .size:           4
        .value_kind:     by_value
      - .offset:         112
        .size:           4
        .value_kind:     by_value
      - .offset:         116
        .size:           12
        .value_kind:     by_value
      - .offset:         128
        .size:           4
        .value_kind:     by_value
      - .offset:         132
        .size:           4
        .value_kind:     by_value
      - .offset:         136
        .size:           4
        .value_kind:     by_value
      - .offset:         140
        .size:           4
        .value_kind:     by_value
    .group_segment_fixed_size: 0
    .kernarg_segment_align: 8
    .kernarg_segment_size: 144
    .language:       OpenCL C
    .language_version:
      - 2
      - 0
    .max_flat_workgroup_size: 1024
    .name:           _ZL13mul_mat_vec_fI6__halfS0_Li1ELi256ELb0ELb0EEvPKT_PKfPKi31ggml_cuda_mm_fusion_args_devicePfi15HIP_vector_typeIjLj3EEiiiSB_iiiSB_iiii
    .private_segment_fixed_size: 0
    .sgpr_count:     30
    .sgpr_spill_count: 0
    .symbol:         _ZL13mul_mat_vec_fI6__halfS0_Li1ELi256ELb0ELb0EEvPKT_PKfPKi31ggml_cuda_mm_fusion_args_devicePfi15HIP_vector_typeIjLj3EEiiiSB_iiiSB_iiii.kd
    .uniform_work_group_size: 1
    .uses_dynamic_stack: false
    .vgpr_count:     11
    .vgpr_spill_count: 0
    .wavefront_size: 32
    .workgroup_processor_mode: 1
  - .args:
      - .address_space:  global
        .offset:         0
        .size:           8
        .value_kind:     global_buffer
      - .address_space:  global
        .offset:         8
        .size:           8
        .value_kind:     global_buffer
      - .address_space:  global
        .offset:         16
        .size:           8
        .value_kind:     global_buffer
      - .offset:         24
        .size:           32
        .value_kind:     by_value
      - .address_space:  global
        .offset:         56
        .size:           8
        .value_kind:     global_buffer
      - .offset:         64
        .size:           4
        .value_kind:     by_value
      - .offset:         68
        .size:           12
        .value_kind:     by_value
      - .offset:         80
        .size:           4
        .value_kind:     by_value
      - .offset:         84
        .size:           4
        .value_kind:     by_value
      - .offset:         88
        .size:           4
        .value_kind:     by_value
      - .offset:         92
        .size:           12
        .value_kind:     by_value
      - .offset:         104
        .size:           4
        .value_kind:     by_value
      - .offset:         108
        .size:           4
        .value_kind:     by_value
      - .offset:         112
        .size:           4
        .value_kind:     by_value
      - .offset:         116
        .size:           12
        .value_kind:     by_value
      - .offset:         128
        .size:           4
        .value_kind:     by_value
      - .offset:         132
        .size:           4
        .value_kind:     by_value
      - .offset:         136
        .size:           4
        .value_kind:     by_value
      - .offset:         140
        .size:           4
        .value_kind:     by_value
    .group_segment_fixed_size: 0
    .kernarg_segment_align: 8
    .kernarg_segment_size: 144
    .language:       OpenCL C
    .language_version:
      - 2
      - 0
    .max_flat_workgroup_size: 1024
    .name:           _ZL13mul_mat_vec_fI6__halfS0_Li2ELi32ELb0ELb0EEvPKT_PKfPKi31ggml_cuda_mm_fusion_args_devicePfi15HIP_vector_typeIjLj3EEiiiSB_iiiSB_iiii
    .private_segment_fixed_size: 0
    .sgpr_count:     30
    .sgpr_spill_count: 0
    .symbol:         _ZL13mul_mat_vec_fI6__halfS0_Li2ELi32ELb0ELb0EEvPKT_PKfPKi31ggml_cuda_mm_fusion_args_devicePfi15HIP_vector_typeIjLj3EEiiiSB_iiiSB_iiii.kd
    .uniform_work_group_size: 1
    .uses_dynamic_stack: false
    .vgpr_count:     13
    .vgpr_spill_count: 0
    .wavefront_size: 32
    .workgroup_processor_mode: 1
  - .args:
      - .address_space:  global
        .offset:         0
        .size:           8
        .value_kind:     global_buffer
      - .address_space:  global
        .offset:         8
        .size:           8
        .value_kind:     global_buffer
      - .address_space:  global
        .offset:         16
        .size:           8
        .value_kind:     global_buffer
      - .offset:         24
        .size:           32
        .value_kind:     by_value
      - .address_space:  global
        .offset:         56
        .size:           8
        .value_kind:     global_buffer
      - .offset:         64
        .size:           4
        .value_kind:     by_value
      - .offset:         68
        .size:           12
        .value_kind:     by_value
      - .offset:         80
        .size:           4
        .value_kind:     by_value
      - .offset:         84
        .size:           4
        .value_kind:     by_value
      - .offset:         88
        .size:           4
        .value_kind:     by_value
      - .offset:         92
        .size:           12
        .value_kind:     by_value
      - .offset:         104
        .size:           4
        .value_kind:     by_value
      - .offset:         108
        .size:           4
        .value_kind:     by_value
      - .offset:         112
        .size:           4
        .value_kind:     by_value
      - .offset:         116
        .size:           12
        .value_kind:     by_value
      - .offset:         128
        .size:           4
        .value_kind:     by_value
      - .offset:         132
        .size:           4
        .value_kind:     by_value
      - .offset:         136
        .size:           4
        .value_kind:     by_value
      - .offset:         140
        .size:           4
        .value_kind:     by_value
    .group_segment_fixed_size: 0
    .kernarg_segment_align: 8
    .kernarg_segment_size: 144
    .language:       OpenCL C
    .language_version:
      - 2
      - 0
    .max_flat_workgroup_size: 1024
    .name:           _ZL13mul_mat_vec_fI6__halfS0_Li2ELi64ELb0ELb0EEvPKT_PKfPKi31ggml_cuda_mm_fusion_args_devicePfi15HIP_vector_typeIjLj3EEiiiSB_iiiSB_iiii
    .private_segment_fixed_size: 0
    .sgpr_count:     34
    .sgpr_spill_count: 0
    .symbol:         _ZL13mul_mat_vec_fI6__halfS0_Li2ELi64ELb0ELb0EEvPKT_PKfPKi31ggml_cuda_mm_fusion_args_devicePfi15HIP_vector_typeIjLj3EEiiiSB_iiiSB_iiii.kd
    .uniform_work_group_size: 1
    .uses_dynamic_stack: false
    .vgpr_count:     14
    .vgpr_spill_count: 0
    .wavefront_size: 32
    .workgroup_processor_mode: 1
  - .args:
      - .address_space:  global
        .offset:         0
        .size:           8
        .value_kind:     global_buffer
      - .address_space:  global
        .offset:         8
        .size:           8
        .value_kind:     global_buffer
      - .address_space:  global
        .offset:         16
        .size:           8
        .value_kind:     global_buffer
      - .offset:         24
        .size:           32
        .value_kind:     by_value
      - .address_space:  global
        .offset:         56
        .size:           8
        .value_kind:     global_buffer
      - .offset:         64
        .size:           4
        .value_kind:     by_value
      - .offset:         68
        .size:           12
        .value_kind:     by_value
      - .offset:         80
        .size:           4
        .value_kind:     by_value
      - .offset:         84
        .size:           4
        .value_kind:     by_value
      - .offset:         88
        .size:           4
        .value_kind:     by_value
      - .offset:         92
        .size:           12
        .value_kind:     by_value
      - .offset:         104
        .size:           4
        .value_kind:     by_value
      - .offset:         108
        .size:           4
        .value_kind:     by_value
      - .offset:         112
        .size:           4
        .value_kind:     by_value
      - .offset:         116
        .size:           12
        .value_kind:     by_value
      - .offset:         128
        .size:           4
        .value_kind:     by_value
      - .offset:         132
        .size:           4
        .value_kind:     by_value
      - .offset:         136
        .size:           4
        .value_kind:     by_value
      - .offset:         140
        .size:           4
        .value_kind:     by_value
    .group_segment_fixed_size: 0
    .kernarg_segment_align: 8
    .kernarg_segment_size: 144
    .language:       OpenCL C
    .language_version:
      - 2
      - 0
    .max_flat_workgroup_size: 1024
    .name:           _ZL13mul_mat_vec_fI6__halfS0_Li2ELi96ELb0ELb0EEvPKT_PKfPKi31ggml_cuda_mm_fusion_args_devicePfi15HIP_vector_typeIjLj3EEiiiSB_iiiSB_iiii
    .private_segment_fixed_size: 0
    .sgpr_count:     34
    .sgpr_spill_count: 0
    .symbol:         _ZL13mul_mat_vec_fI6__halfS0_Li2ELi96ELb0ELb0EEvPKT_PKfPKi31ggml_cuda_mm_fusion_args_devicePfi15HIP_vector_typeIjLj3EEiiiSB_iiiSB_iiii.kd
    .uniform_work_group_size: 1
    .uses_dynamic_stack: false
    .vgpr_count:     14
    .vgpr_spill_count: 0
    .wavefront_size: 32
    .workgroup_processor_mode: 1
  - .args:
      - .address_space:  global
        .offset:         0
        .size:           8
        .value_kind:     global_buffer
      - .address_space:  global
        .offset:         8
        .size:           8
        .value_kind:     global_buffer
      - .address_space:  global
        .offset:         16
        .size:           8
        .value_kind:     global_buffer
      - .offset:         24
        .size:           32
        .value_kind:     by_value
      - .address_space:  global
        .offset:         56
        .size:           8
        .value_kind:     global_buffer
      - .offset:         64
        .size:           4
        .value_kind:     by_value
      - .offset:         68
        .size:           12
        .value_kind:     by_value
      - .offset:         80
        .size:           4
        .value_kind:     by_value
      - .offset:         84
        .size:           4
        .value_kind:     by_value
      - .offset:         88
        .size:           4
        .value_kind:     by_value
      - .offset:         92
        .size:           12
        .value_kind:     by_value
      - .offset:         104
        .size:           4
        .value_kind:     by_value
      - .offset:         108
        .size:           4
        .value_kind:     by_value
      - .offset:         112
        .size:           4
        .value_kind:     by_value
      - .offset:         116
        .size:           12
        .value_kind:     by_value
      - .offset:         128
        .size:           4
        .value_kind:     by_value
      - .offset:         132
        .size:           4
        .value_kind:     by_value
      - .offset:         136
        .size:           4
        .value_kind:     by_value
      - .offset:         140
        .size:           4
        .value_kind:     by_value
    .group_segment_fixed_size: 0
    .kernarg_segment_align: 8
    .kernarg_segment_size: 144
    .language:       OpenCL C
    .language_version:
      - 2
      - 0
    .max_flat_workgroup_size: 1024
    .name:           _ZL13mul_mat_vec_fI6__halfS0_Li2ELi128ELb0ELb0EEvPKT_PKfPKi31ggml_cuda_mm_fusion_args_devicePfi15HIP_vector_typeIjLj3EEiiiSB_iiiSB_iiii
    .private_segment_fixed_size: 0
    .sgpr_count:     34
    .sgpr_spill_count: 0
    .symbol:         _ZL13mul_mat_vec_fI6__halfS0_Li2ELi128ELb0ELb0EEvPKT_PKfPKi31ggml_cuda_mm_fusion_args_devicePfi15HIP_vector_typeIjLj3EEiiiSB_iiiSB_iiii.kd
    .uniform_work_group_size: 1
    .uses_dynamic_stack: false
    .vgpr_count:     14
    .vgpr_spill_count: 0
    .wavefront_size: 32
    .workgroup_processor_mode: 1
  - .args:
      - .address_space:  global
        .offset:         0
        .size:           8
        .value_kind:     global_buffer
      - .address_space:  global
        .offset:         8
        .size:           8
        .value_kind:     global_buffer
      - .address_space:  global
        .offset:         16
        .size:           8
        .value_kind:     global_buffer
      - .offset:         24
        .size:           32
        .value_kind:     by_value
      - .address_space:  global
        .offset:         56
        .size:           8
        .value_kind:     global_buffer
      - .offset:         64
        .size:           4
        .value_kind:     by_value
      - .offset:         68
        .size:           12
        .value_kind:     by_value
      - .offset:         80
        .size:           4
        .value_kind:     by_value
      - .offset:         84
        .size:           4
        .value_kind:     by_value
      - .offset:         88
        .size:           4
        .value_kind:     by_value
      - .offset:         92
        .size:           12
        .value_kind:     by_value
      - .offset:         104
        .size:           4
        .value_kind:     by_value
      - .offset:         108
        .size:           4
        .value_kind:     by_value
      - .offset:         112
        .size:           4
        .value_kind:     by_value
      - .offset:         116
        .size:           12
        .value_kind:     by_value
      - .offset:         128
        .size:           4
        .value_kind:     by_value
      - .offset:         132
        .size:           4
        .value_kind:     by_value
      - .offset:         136
        .size:           4
        .value_kind:     by_value
      - .offset:         140
        .size:           4
        .value_kind:     by_value
    .group_segment_fixed_size: 0
    .kernarg_segment_align: 8
    .kernarg_segment_size: 144
    .language:       OpenCL C
    .language_version:
      - 2
      - 0
    .max_flat_workgroup_size: 1024
    .name:           _ZL13mul_mat_vec_fI6__halfS0_Li2ELi160ELb0ELb0EEvPKT_PKfPKi31ggml_cuda_mm_fusion_args_devicePfi15HIP_vector_typeIjLj3EEiiiSB_iiiSB_iiii
    .private_segment_fixed_size: 0
    .sgpr_count:     34
    .sgpr_spill_count: 0
    .symbol:         _ZL13mul_mat_vec_fI6__halfS0_Li2ELi160ELb0ELb0EEvPKT_PKfPKi31ggml_cuda_mm_fusion_args_devicePfi15HIP_vector_typeIjLj3EEiiiSB_iiiSB_iiii.kd
    .uniform_work_group_size: 1
    .uses_dynamic_stack: false
    .vgpr_count:     14
    .vgpr_spill_count: 0
    .wavefront_size: 32
    .workgroup_processor_mode: 1
  - .args:
      - .address_space:  global
        .offset:         0
        .size:           8
        .value_kind:     global_buffer
      - .address_space:  global
        .offset:         8
        .size:           8
        .value_kind:     global_buffer
      - .address_space:  global
        .offset:         16
        .size:           8
        .value_kind:     global_buffer
      - .offset:         24
        .size:           32
        .value_kind:     by_value
      - .address_space:  global
        .offset:         56
        .size:           8
        .value_kind:     global_buffer
      - .offset:         64
        .size:           4
        .value_kind:     by_value
      - .offset:         68
        .size:           12
        .value_kind:     by_value
      - .offset:         80
        .size:           4
        .value_kind:     by_value
      - .offset:         84
        .size:           4
        .value_kind:     by_value
      - .offset:         88
        .size:           4
        .value_kind:     by_value
      - .offset:         92
        .size:           12
        .value_kind:     by_value
      - .offset:         104
        .size:           4
        .value_kind:     by_value
      - .offset:         108
        .size:           4
        .value_kind:     by_value
      - .offset:         112
        .size:           4
        .value_kind:     by_value
      - .offset:         116
        .size:           12
        .value_kind:     by_value
      - .offset:         128
        .size:           4
        .value_kind:     by_value
      - .offset:         132
        .size:           4
        .value_kind:     by_value
      - .offset:         136
        .size:           4
        .value_kind:     by_value
      - .offset:         140
        .size:           4
        .value_kind:     by_value
    .group_segment_fixed_size: 0
    .kernarg_segment_align: 8
    .kernarg_segment_size: 144
    .language:       OpenCL C
    .language_version:
      - 2
      - 0
    .max_flat_workgroup_size: 1024
    .name:           _ZL13mul_mat_vec_fI6__halfS0_Li2ELi192ELb0ELb0EEvPKT_PKfPKi31ggml_cuda_mm_fusion_args_devicePfi15HIP_vector_typeIjLj3EEiiiSB_iiiSB_iiii
    .private_segment_fixed_size: 0
    .sgpr_count:     34
    .sgpr_spill_count: 0
    .symbol:         _ZL13mul_mat_vec_fI6__halfS0_Li2ELi192ELb0ELb0EEvPKT_PKfPKi31ggml_cuda_mm_fusion_args_devicePfi15HIP_vector_typeIjLj3EEiiiSB_iiiSB_iiii.kd
    .uniform_work_group_size: 1
    .uses_dynamic_stack: false
    .vgpr_count:     14
    .vgpr_spill_count: 0
    .wavefront_size: 32
    .workgroup_processor_mode: 1
  - .args:
      - .address_space:  global
        .offset:         0
        .size:           8
        .value_kind:     global_buffer
      - .address_space:  global
        .offset:         8
        .size:           8
        .value_kind:     global_buffer
      - .address_space:  global
        .offset:         16
        .size:           8
        .value_kind:     global_buffer
      - .offset:         24
        .size:           32
        .value_kind:     by_value
      - .address_space:  global
        .offset:         56
        .size:           8
        .value_kind:     global_buffer
      - .offset:         64
        .size:           4
        .value_kind:     by_value
      - .offset:         68
        .size:           12
        .value_kind:     by_value
      - .offset:         80
        .size:           4
        .value_kind:     by_value
      - .offset:         84
        .size:           4
        .value_kind:     by_value
      - .offset:         88
        .size:           4
        .value_kind:     by_value
      - .offset:         92
        .size:           12
        .value_kind:     by_value
      - .offset:         104
        .size:           4
        .value_kind:     by_value
      - .offset:         108
        .size:           4
        .value_kind:     by_value
      - .offset:         112
        .size:           4
        .value_kind:     by_value
      - .offset:         116
        .size:           12
        .value_kind:     by_value
      - .offset:         128
        .size:           4
        .value_kind:     by_value
      - .offset:         132
        .size:           4
        .value_kind:     by_value
      - .offset:         136
        .size:           4
        .value_kind:     by_value
      - .offset:         140
        .size:           4
        .value_kind:     by_value
    .group_segment_fixed_size: 0
    .kernarg_segment_align: 8
    .kernarg_segment_size: 144
    .language:       OpenCL C
    .language_version:
      - 2
      - 0
    .max_flat_workgroup_size: 1024
    .name:           _ZL13mul_mat_vec_fI6__halfS0_Li2ELi224ELb0ELb0EEvPKT_PKfPKi31ggml_cuda_mm_fusion_args_devicePfi15HIP_vector_typeIjLj3EEiiiSB_iiiSB_iiii
    .private_segment_fixed_size: 0
    .sgpr_count:     34
    .sgpr_spill_count: 0
    .symbol:         _ZL13mul_mat_vec_fI6__halfS0_Li2ELi224ELb0ELb0EEvPKT_PKfPKi31ggml_cuda_mm_fusion_args_devicePfi15HIP_vector_typeIjLj3EEiiiSB_iiiSB_iiii.kd
    .uniform_work_group_size: 1
    .uses_dynamic_stack: false
    .vgpr_count:     14
    .vgpr_spill_count: 0
    .wavefront_size: 32
    .workgroup_processor_mode: 1
  - .args:
      - .address_space:  global
        .offset:         0
        .size:           8
        .value_kind:     global_buffer
      - .address_space:  global
        .offset:         8
        .size:           8
        .value_kind:     global_buffer
      - .address_space:  global
        .offset:         16
        .size:           8
        .value_kind:     global_buffer
      - .offset:         24
        .size:           32
        .value_kind:     by_value
      - .address_space:  global
        .offset:         56
        .size:           8
        .value_kind:     global_buffer
      - .offset:         64
        .size:           4
        .value_kind:     by_value
      - .offset:         68
        .size:           12
        .value_kind:     by_value
      - .offset:         80
        .size:           4
        .value_kind:     by_value
      - .offset:         84
        .size:           4
        .value_kind:     by_value
      - .offset:         88
        .size:           4
        .value_kind:     by_value
      - .offset:         92
        .size:           12
        .value_kind:     by_value
      - .offset:         104
        .size:           4
        .value_kind:     by_value
      - .offset:         108
        .size:           4
        .value_kind:     by_value
      - .offset:         112
        .size:           4
        .value_kind:     by_value
      - .offset:         116
        .size:           12
        .value_kind:     by_value
      - .offset:         128
        .size:           4
        .value_kind:     by_value
      - .offset:         132
        .size:           4
        .value_kind:     by_value
      - .offset:         136
        .size:           4
        .value_kind:     by_value
      - .offset:         140
        .size:           4
        .value_kind:     by_value
    .group_segment_fixed_size: 0
    .kernarg_segment_align: 8
    .kernarg_segment_size: 144
    .language:       OpenCL C
    .language_version:
      - 2
      - 0
    .max_flat_workgroup_size: 1024
    .name:           _ZL13mul_mat_vec_fI6__halfS0_Li2ELi256ELb0ELb0EEvPKT_PKfPKi31ggml_cuda_mm_fusion_args_devicePfi15HIP_vector_typeIjLj3EEiiiSB_iiiSB_iiii
    .private_segment_fixed_size: 0
    .sgpr_count:     34
    .sgpr_spill_count: 0
    .symbol:         _ZL13mul_mat_vec_fI6__halfS0_Li2ELi256ELb0ELb0EEvPKT_PKfPKi31ggml_cuda_mm_fusion_args_devicePfi15HIP_vector_typeIjLj3EEiiiSB_iiiSB_iiii.kd
    .uniform_work_group_size: 1
    .uses_dynamic_stack: false
    .vgpr_count:     14
    .vgpr_spill_count: 0
    .wavefront_size: 32
    .workgroup_processor_mode: 1
  - .args:
      - .address_space:  global
        .offset:         0
        .size:           8
        .value_kind:     global_buffer
      - .address_space:  global
        .offset:         8
        .size:           8
        .value_kind:     global_buffer
      - .address_space:  global
        .offset:         16
        .size:           8
        .value_kind:     global_buffer
      - .offset:         24
        .size:           32
        .value_kind:     by_value
      - .address_space:  global
        .offset:         56
        .size:           8
        .value_kind:     global_buffer
      - .offset:         64
        .size:           4
        .value_kind:     by_value
      - .offset:         68
        .size:           12
        .value_kind:     by_value
      - .offset:         80
        .size:           4
        .value_kind:     by_value
      - .offset:         84
        .size:           4
        .value_kind:     by_value
      - .offset:         88
        .size:           4
        .value_kind:     by_value
      - .offset:         92
        .size:           12
        .value_kind:     by_value
      - .offset:         104
        .size:           4
        .value_kind:     by_value
      - .offset:         108
        .size:           4
        .value_kind:     by_value
      - .offset:         112
        .size:           4
        .value_kind:     by_value
      - .offset:         116
        .size:           12
        .value_kind:     by_value
      - .offset:         128
        .size:           4
        .value_kind:     by_value
      - .offset:         132
        .size:           4
        .value_kind:     by_value
      - .offset:         136
        .size:           4
        .value_kind:     by_value
      - .offset:         140
        .size:           4
        .value_kind:     by_value
    .group_segment_fixed_size: 0
    .kernarg_segment_align: 8
    .kernarg_segment_size: 144
    .language:       OpenCL C
    .language_version:
      - 2
      - 0
    .max_flat_workgroup_size: 1024
    .name:           _ZL13mul_mat_vec_fI6__halfS0_Li3ELi32ELb0ELb0EEvPKT_PKfPKi31ggml_cuda_mm_fusion_args_devicePfi15HIP_vector_typeIjLj3EEiiiSB_iiiSB_iiii
    .private_segment_fixed_size: 0
    .sgpr_count:     34
    .sgpr_spill_count: 0
    .symbol:         _ZL13mul_mat_vec_fI6__halfS0_Li3ELi32ELb0ELb0EEvPKT_PKfPKi31ggml_cuda_mm_fusion_args_devicePfi15HIP_vector_typeIjLj3EEiiiSB_iiiSB_iiii.kd
    .uniform_work_group_size: 1
    .uses_dynamic_stack: false
    .vgpr_count:     16
    .vgpr_spill_count: 0
    .wavefront_size: 32
    .workgroup_processor_mode: 1
  - .args:
      - .address_space:  global
        .offset:         0
        .size:           8
        .value_kind:     global_buffer
      - .address_space:  global
        .offset:         8
        .size:           8
        .value_kind:     global_buffer
      - .address_space:  global
        .offset:         16
        .size:           8
        .value_kind:     global_buffer
      - .offset:         24
        .size:           32
        .value_kind:     by_value
      - .address_space:  global
        .offset:         56
        .size:           8
        .value_kind:     global_buffer
      - .offset:         64
        .size:           4
        .value_kind:     by_value
      - .offset:         68
        .size:           12
        .value_kind:     by_value
      - .offset:         80
        .size:           4
        .value_kind:     by_value
      - .offset:         84
        .size:           4
        .value_kind:     by_value
      - .offset:         88
        .size:           4
        .value_kind:     by_value
      - .offset:         92
        .size:           12
        .value_kind:     by_value
      - .offset:         104
        .size:           4
        .value_kind:     by_value
      - .offset:         108
        .size:           4
        .value_kind:     by_value
      - .offset:         112
        .size:           4
        .value_kind:     by_value
      - .offset:         116
        .size:           12
        .value_kind:     by_value
      - .offset:         128
        .size:           4
        .value_kind:     by_value
      - .offset:         132
        .size:           4
        .value_kind:     by_value
      - .offset:         136
        .size:           4
        .value_kind:     by_value
      - .offset:         140
        .size:           4
        .value_kind:     by_value
    .group_segment_fixed_size: 0
    .kernarg_segment_align: 8
    .kernarg_segment_size: 144
    .language:       OpenCL C
    .language_version:
      - 2
      - 0
    .max_flat_workgroup_size: 1024
    .name:           _ZL13mul_mat_vec_fI6__halfS0_Li3ELi64ELb0ELb0EEvPKT_PKfPKi31ggml_cuda_mm_fusion_args_devicePfi15HIP_vector_typeIjLj3EEiiiSB_iiiSB_iiii
    .private_segment_fixed_size: 0
    .sgpr_count:     38
    .sgpr_spill_count: 0
    .symbol:         _ZL13mul_mat_vec_fI6__halfS0_Li3ELi64ELb0ELb0EEvPKT_PKfPKi31ggml_cuda_mm_fusion_args_devicePfi15HIP_vector_typeIjLj3EEiiiSB_iiiSB_iiii.kd
    .uniform_work_group_size: 1
    .uses_dynamic_stack: false
    .vgpr_count:     17
    .vgpr_spill_count: 0
    .wavefront_size: 32
    .workgroup_processor_mode: 1
  - .args:
      - .address_space:  global
        .offset:         0
        .size:           8
        .value_kind:     global_buffer
      - .address_space:  global
        .offset:         8
        .size:           8
        .value_kind:     global_buffer
      - .address_space:  global
        .offset:         16
        .size:           8
        .value_kind:     global_buffer
      - .offset:         24
        .size:           32
        .value_kind:     by_value
      - .address_space:  global
        .offset:         56
        .size:           8
        .value_kind:     global_buffer
      - .offset:         64
        .size:           4
        .value_kind:     by_value
      - .offset:         68
        .size:           12
        .value_kind:     by_value
      - .offset:         80
        .size:           4
        .value_kind:     by_value
      - .offset:         84
        .size:           4
        .value_kind:     by_value
      - .offset:         88
        .size:           4
        .value_kind:     by_value
      - .offset:         92
        .size:           12
        .value_kind:     by_value
      - .offset:         104
        .size:           4
        .value_kind:     by_value
      - .offset:         108
        .size:           4
        .value_kind:     by_value
      - .offset:         112
        .size:           4
        .value_kind:     by_value
      - .offset:         116
        .size:           12
        .value_kind:     by_value
      - .offset:         128
        .size:           4
        .value_kind:     by_value
      - .offset:         132
        .size:           4
        .value_kind:     by_value
      - .offset:         136
        .size:           4
        .value_kind:     by_value
      - .offset:         140
        .size:           4
        .value_kind:     by_value
    .group_segment_fixed_size: 0
    .kernarg_segment_align: 8
    .kernarg_segment_size: 144
    .language:       OpenCL C
    .language_version:
      - 2
      - 0
    .max_flat_workgroup_size: 1024
    .name:           _ZL13mul_mat_vec_fI6__halfS0_Li3ELi96ELb0ELb0EEvPKT_PKfPKi31ggml_cuda_mm_fusion_args_devicePfi15HIP_vector_typeIjLj3EEiiiSB_iiiSB_iiii
    .private_segment_fixed_size: 0
    .sgpr_count:     38
    .sgpr_spill_count: 0
    .symbol:         _ZL13mul_mat_vec_fI6__halfS0_Li3ELi96ELb0ELb0EEvPKT_PKfPKi31ggml_cuda_mm_fusion_args_devicePfi15HIP_vector_typeIjLj3EEiiiSB_iiiSB_iiii.kd
    .uniform_work_group_size: 1
    .uses_dynamic_stack: false
    .vgpr_count:     17
    .vgpr_spill_count: 0
    .wavefront_size: 32
    .workgroup_processor_mode: 1
  - .args:
      - .address_space:  global
        .offset:         0
        .size:           8
        .value_kind:     global_buffer
      - .address_space:  global
        .offset:         8
        .size:           8
        .value_kind:     global_buffer
      - .address_space:  global
        .offset:         16
        .size:           8
        .value_kind:     global_buffer
      - .offset:         24
        .size:           32
        .value_kind:     by_value
      - .address_space:  global
        .offset:         56
        .size:           8
        .value_kind:     global_buffer
      - .offset:         64
        .size:           4
        .value_kind:     by_value
      - .offset:         68
        .size:           12
        .value_kind:     by_value
      - .offset:         80
        .size:           4
        .value_kind:     by_value
      - .offset:         84
        .size:           4
        .value_kind:     by_value
      - .offset:         88
        .size:           4
        .value_kind:     by_value
      - .offset:         92
        .size:           12
        .value_kind:     by_value
      - .offset:         104
        .size:           4
        .value_kind:     by_value
      - .offset:         108
        .size:           4
        .value_kind:     by_value
      - .offset:         112
        .size:           4
        .value_kind:     by_value
      - .offset:         116
        .size:           12
        .value_kind:     by_value
      - .offset:         128
        .size:           4
        .value_kind:     by_value
      - .offset:         132
        .size:           4
        .value_kind:     by_value
      - .offset:         136
        .size:           4
        .value_kind:     by_value
      - .offset:         140
        .size:           4
        .value_kind:     by_value
    .group_segment_fixed_size: 0
    .kernarg_segment_align: 8
    .kernarg_segment_size: 144
    .language:       OpenCL C
    .language_version:
      - 2
      - 0
    .max_flat_workgroup_size: 1024
    .name:           _ZL13mul_mat_vec_fI6__halfS0_Li3ELi128ELb0ELb0EEvPKT_PKfPKi31ggml_cuda_mm_fusion_args_devicePfi15HIP_vector_typeIjLj3EEiiiSB_iiiSB_iiii
    .private_segment_fixed_size: 0
    .sgpr_count:     38
    .sgpr_spill_count: 0
    .symbol:         _ZL13mul_mat_vec_fI6__halfS0_Li3ELi128ELb0ELb0EEvPKT_PKfPKi31ggml_cuda_mm_fusion_args_devicePfi15HIP_vector_typeIjLj3EEiiiSB_iiiSB_iiii.kd
    .uniform_work_group_size: 1
    .uses_dynamic_stack: false
    .vgpr_count:     17
    .vgpr_spill_count: 0
    .wavefront_size: 32
    .workgroup_processor_mode: 1
  - .args:
      - .address_space:  global
        .offset:         0
        .size:           8
        .value_kind:     global_buffer
      - .address_space:  global
        .offset:         8
        .size:           8
        .value_kind:     global_buffer
      - .address_space:  global
        .offset:         16
        .size:           8
        .value_kind:     global_buffer
      - .offset:         24
        .size:           32
        .value_kind:     by_value
      - .address_space:  global
        .offset:         56
        .size:           8
        .value_kind:     global_buffer
      - .offset:         64
        .size:           4
        .value_kind:     by_value
      - .offset:         68
        .size:           12
        .value_kind:     by_value
      - .offset:         80
        .size:           4
        .value_kind:     by_value
      - .offset:         84
        .size:           4
        .value_kind:     by_value
      - .offset:         88
        .size:           4
        .value_kind:     by_value
      - .offset:         92
        .size:           12
        .value_kind:     by_value
      - .offset:         104
        .size:           4
        .value_kind:     by_value
      - .offset:         108
        .size:           4
        .value_kind:     by_value
      - .offset:         112
        .size:           4
        .value_kind:     by_value
      - .offset:         116
        .size:           12
        .value_kind:     by_value
      - .offset:         128
        .size:           4
        .value_kind:     by_value
      - .offset:         132
        .size:           4
        .value_kind:     by_value
      - .offset:         136
        .size:           4
        .value_kind:     by_value
      - .offset:         140
        .size:           4
        .value_kind:     by_value
    .group_segment_fixed_size: 0
    .kernarg_segment_align: 8
    .kernarg_segment_size: 144
    .language:       OpenCL C
    .language_version:
      - 2
      - 0
    .max_flat_workgroup_size: 1024
    .name:           _ZL13mul_mat_vec_fI6__halfS0_Li3ELi160ELb0ELb0EEvPKT_PKfPKi31ggml_cuda_mm_fusion_args_devicePfi15HIP_vector_typeIjLj3EEiiiSB_iiiSB_iiii
    .private_segment_fixed_size: 0
    .sgpr_count:     38
    .sgpr_spill_count: 0
    .symbol:         _ZL13mul_mat_vec_fI6__halfS0_Li3ELi160ELb0ELb0EEvPKT_PKfPKi31ggml_cuda_mm_fusion_args_devicePfi15HIP_vector_typeIjLj3EEiiiSB_iiiSB_iiii.kd
    .uniform_work_group_size: 1
    .uses_dynamic_stack: false
    .vgpr_count:     17
    .vgpr_spill_count: 0
    .wavefront_size: 32
    .workgroup_processor_mode: 1
  - .args:
      - .address_space:  global
        .offset:         0
        .size:           8
        .value_kind:     global_buffer
      - .address_space:  global
        .offset:         8
        .size:           8
        .value_kind:     global_buffer
      - .address_space:  global
        .offset:         16
        .size:           8
        .value_kind:     global_buffer
      - .offset:         24
        .size:           32
        .value_kind:     by_value
      - .address_space:  global
        .offset:         56
        .size:           8
        .value_kind:     global_buffer
      - .offset:         64
        .size:           4
        .value_kind:     by_value
      - .offset:         68
        .size:           12
        .value_kind:     by_value
      - .offset:         80
        .size:           4
        .value_kind:     by_value
      - .offset:         84
        .size:           4
        .value_kind:     by_value
      - .offset:         88
        .size:           4
        .value_kind:     by_value
      - .offset:         92
        .size:           12
        .value_kind:     by_value
      - .offset:         104
        .size:           4
        .value_kind:     by_value
      - .offset:         108
        .size:           4
        .value_kind:     by_value
      - .offset:         112
        .size:           4
        .value_kind:     by_value
      - .offset:         116
        .size:           12
        .value_kind:     by_value
      - .offset:         128
        .size:           4
        .value_kind:     by_value
      - .offset:         132
        .size:           4
        .value_kind:     by_value
      - .offset:         136
        .size:           4
        .value_kind:     by_value
      - .offset:         140
        .size:           4
        .value_kind:     by_value
    .group_segment_fixed_size: 0
    .kernarg_segment_align: 8
    .kernarg_segment_size: 144
    .language:       OpenCL C
    .language_version:
      - 2
      - 0
    .max_flat_workgroup_size: 1024
    .name:           _ZL13mul_mat_vec_fI6__halfS0_Li3ELi192ELb0ELb0EEvPKT_PKfPKi31ggml_cuda_mm_fusion_args_devicePfi15HIP_vector_typeIjLj3EEiiiSB_iiiSB_iiii
    .private_segment_fixed_size: 0
    .sgpr_count:     38
    .sgpr_spill_count: 0
    .symbol:         _ZL13mul_mat_vec_fI6__halfS0_Li3ELi192ELb0ELb0EEvPKT_PKfPKi31ggml_cuda_mm_fusion_args_devicePfi15HIP_vector_typeIjLj3EEiiiSB_iiiSB_iiii.kd
    .uniform_work_group_size: 1
    .uses_dynamic_stack: false
    .vgpr_count:     17
    .vgpr_spill_count: 0
    .wavefront_size: 32
    .workgroup_processor_mode: 1
  - .args:
      - .address_space:  global
        .offset:         0
        .size:           8
        .value_kind:     global_buffer
      - .address_space:  global
        .offset:         8
        .size:           8
        .value_kind:     global_buffer
      - .address_space:  global
        .offset:         16
        .size:           8
        .value_kind:     global_buffer
      - .offset:         24
        .size:           32
        .value_kind:     by_value
      - .address_space:  global
        .offset:         56
        .size:           8
        .value_kind:     global_buffer
      - .offset:         64
        .size:           4
        .value_kind:     by_value
      - .offset:         68
        .size:           12
        .value_kind:     by_value
      - .offset:         80
        .size:           4
        .value_kind:     by_value
      - .offset:         84
        .size:           4
        .value_kind:     by_value
      - .offset:         88
        .size:           4
        .value_kind:     by_value
      - .offset:         92
        .size:           12
        .value_kind:     by_value
      - .offset:         104
        .size:           4
        .value_kind:     by_value
      - .offset:         108
        .size:           4
        .value_kind:     by_value
      - .offset:         112
        .size:           4
        .value_kind:     by_value
      - .offset:         116
        .size:           12
        .value_kind:     by_value
      - .offset:         128
        .size:           4
        .value_kind:     by_value
      - .offset:         132
        .size:           4
        .value_kind:     by_value
      - .offset:         136
        .size:           4
        .value_kind:     by_value
      - .offset:         140
        .size:           4
        .value_kind:     by_value
    .group_segment_fixed_size: 0
    .kernarg_segment_align: 8
    .kernarg_segment_size: 144
    .language:       OpenCL C
    .language_version:
      - 2
      - 0
    .max_flat_workgroup_size: 1024
    .name:           _ZL13mul_mat_vec_fI6__halfS0_Li3ELi224ELb0ELb0EEvPKT_PKfPKi31ggml_cuda_mm_fusion_args_devicePfi15HIP_vector_typeIjLj3EEiiiSB_iiiSB_iiii
    .private_segment_fixed_size: 0
    .sgpr_count:     38
    .sgpr_spill_count: 0
    .symbol:         _ZL13mul_mat_vec_fI6__halfS0_Li3ELi224ELb0ELb0EEvPKT_PKfPKi31ggml_cuda_mm_fusion_args_devicePfi15HIP_vector_typeIjLj3EEiiiSB_iiiSB_iiii.kd
    .uniform_work_group_size: 1
    .uses_dynamic_stack: false
    .vgpr_count:     17
    .vgpr_spill_count: 0
    .wavefront_size: 32
    .workgroup_processor_mode: 1
  - .args:
      - .address_space:  global
        .offset:         0
        .size:           8
        .value_kind:     global_buffer
      - .address_space:  global
        .offset:         8
        .size:           8
        .value_kind:     global_buffer
      - .address_space:  global
        .offset:         16
        .size:           8
        .value_kind:     global_buffer
      - .offset:         24
        .size:           32
        .value_kind:     by_value
      - .address_space:  global
        .offset:         56
        .size:           8
        .value_kind:     global_buffer
      - .offset:         64
        .size:           4
        .value_kind:     by_value
      - .offset:         68
        .size:           12
        .value_kind:     by_value
      - .offset:         80
        .size:           4
        .value_kind:     by_value
      - .offset:         84
        .size:           4
        .value_kind:     by_value
      - .offset:         88
        .size:           4
        .value_kind:     by_value
      - .offset:         92
        .size:           12
        .value_kind:     by_value
      - .offset:         104
        .size:           4
        .value_kind:     by_value
      - .offset:         108
        .size:           4
        .value_kind:     by_value
      - .offset:         112
        .size:           4
        .value_kind:     by_value
      - .offset:         116
        .size:           12
        .value_kind:     by_value
      - .offset:         128
        .size:           4
        .value_kind:     by_value
      - .offset:         132
        .size:           4
        .value_kind:     by_value
      - .offset:         136
        .size:           4
        .value_kind:     by_value
      - .offset:         140
        .size:           4
        .value_kind:     by_value
    .group_segment_fixed_size: 0
    .kernarg_segment_align: 8
    .kernarg_segment_size: 144
    .language:       OpenCL C
    .language_version:
      - 2
      - 0
    .max_flat_workgroup_size: 1024
    .name:           _ZL13mul_mat_vec_fI6__halfS0_Li3ELi256ELb0ELb0EEvPKT_PKfPKi31ggml_cuda_mm_fusion_args_devicePfi15HIP_vector_typeIjLj3EEiiiSB_iiiSB_iiii
    .private_segment_fixed_size: 0
    .sgpr_count:     38
    .sgpr_spill_count: 0
    .symbol:         _ZL13mul_mat_vec_fI6__halfS0_Li3ELi256ELb0ELb0EEvPKT_PKfPKi31ggml_cuda_mm_fusion_args_devicePfi15HIP_vector_typeIjLj3EEiiiSB_iiiSB_iiii.kd
    .uniform_work_group_size: 1
    .uses_dynamic_stack: false
    .vgpr_count:     17
    .vgpr_spill_count: 0
    .wavefront_size: 32
    .workgroup_processor_mode: 1
  - .args:
      - .address_space:  global
        .offset:         0
        .size:           8
        .value_kind:     global_buffer
      - .address_space:  global
        .offset:         8
        .size:           8
        .value_kind:     global_buffer
      - .address_space:  global
        .offset:         16
        .size:           8
        .value_kind:     global_buffer
      - .offset:         24
        .size:           32
        .value_kind:     by_value
      - .address_space:  global
        .offset:         56
        .size:           8
        .value_kind:     global_buffer
      - .offset:         64
        .size:           4
        .value_kind:     by_value
      - .offset:         68
        .size:           12
        .value_kind:     by_value
      - .offset:         80
        .size:           4
        .value_kind:     by_value
      - .offset:         84
        .size:           4
        .value_kind:     by_value
      - .offset:         88
        .size:           4
        .value_kind:     by_value
      - .offset:         92
        .size:           12
        .value_kind:     by_value
      - .offset:         104
        .size:           4
        .value_kind:     by_value
      - .offset:         108
        .size:           4
        .value_kind:     by_value
      - .offset:         112
        .size:           4
        .value_kind:     by_value
      - .offset:         116
        .size:           12
        .value_kind:     by_value
      - .offset:         128
        .size:           4
        .value_kind:     by_value
      - .offset:         132
        .size:           4
        .value_kind:     by_value
      - .offset:         136
        .size:           4
        .value_kind:     by_value
      - .offset:         140
        .size:           4
        .value_kind:     by_value
    .group_segment_fixed_size: 0
    .kernarg_segment_align: 8
    .kernarg_segment_size: 144
    .language:       OpenCL C
    .language_version:
      - 2
      - 0
    .max_flat_workgroup_size: 1024
    .name:           _ZL13mul_mat_vec_fI6__halfS0_Li4ELi32ELb0ELb0EEvPKT_PKfPKi31ggml_cuda_mm_fusion_args_devicePfi15HIP_vector_typeIjLj3EEiiiSB_iiiSB_iiii
    .private_segment_fixed_size: 0
    .sgpr_count:     34
    .sgpr_spill_count: 0
    .symbol:         _ZL13mul_mat_vec_fI6__halfS0_Li4ELi32ELb0ELb0EEvPKT_PKfPKi31ggml_cuda_mm_fusion_args_devicePfi15HIP_vector_typeIjLj3EEiiiSB_iiiSB_iiii.kd
    .uniform_work_group_size: 1
    .uses_dynamic_stack: false
    .vgpr_count:     19
    .vgpr_spill_count: 0
    .wavefront_size: 32
    .workgroup_processor_mode: 1
  - .args:
      - .address_space:  global
        .offset:         0
        .size:           8
        .value_kind:     global_buffer
      - .address_space:  global
        .offset:         8
        .size:           8
        .value_kind:     global_buffer
      - .address_space:  global
        .offset:         16
        .size:           8
        .value_kind:     global_buffer
      - .offset:         24
        .size:           32
        .value_kind:     by_value
      - .address_space:  global
        .offset:         56
        .size:           8
        .value_kind:     global_buffer
      - .offset:         64
        .size:           4
        .value_kind:     by_value
      - .offset:         68
        .size:           12
        .value_kind:     by_value
      - .offset:         80
        .size:           4
        .value_kind:     by_value
      - .offset:         84
        .size:           4
        .value_kind:     by_value
      - .offset:         88
        .size:           4
        .value_kind:     by_value
      - .offset:         92
        .size:           12
        .value_kind:     by_value
      - .offset:         104
        .size:           4
        .value_kind:     by_value
      - .offset:         108
        .size:           4
        .value_kind:     by_value
      - .offset:         112
        .size:           4
        .value_kind:     by_value
      - .offset:         116
        .size:           12
        .value_kind:     by_value
      - .offset:         128
        .size:           4
        .value_kind:     by_value
      - .offset:         132
        .size:           4
        .value_kind:     by_value
      - .offset:         136
        .size:           4
        .value_kind:     by_value
      - .offset:         140
        .size:           4
        .value_kind:     by_value
    .group_segment_fixed_size: 0
    .kernarg_segment_align: 8
    .kernarg_segment_size: 144
    .language:       OpenCL C
    .language_version:
      - 2
      - 0
    .max_flat_workgroup_size: 1024
    .name:           _ZL13mul_mat_vec_fI6__halfS0_Li4ELi64ELb0ELb0EEvPKT_PKfPKi31ggml_cuda_mm_fusion_args_devicePfi15HIP_vector_typeIjLj3EEiiiSB_iiiSB_iiii
    .private_segment_fixed_size: 0
    .sgpr_count:     38
    .sgpr_spill_count: 0
    .symbol:         _ZL13mul_mat_vec_fI6__halfS0_Li4ELi64ELb0ELb0EEvPKT_PKfPKi31ggml_cuda_mm_fusion_args_devicePfi15HIP_vector_typeIjLj3EEiiiSB_iiiSB_iiii.kd
    .uniform_work_group_size: 1
    .uses_dynamic_stack: false
    .vgpr_count:     20
    .vgpr_spill_count: 0
    .wavefront_size: 32
    .workgroup_processor_mode: 1
  - .args:
      - .address_space:  global
        .offset:         0
        .size:           8
        .value_kind:     global_buffer
      - .address_space:  global
        .offset:         8
        .size:           8
        .value_kind:     global_buffer
      - .address_space:  global
        .offset:         16
        .size:           8
        .value_kind:     global_buffer
      - .offset:         24
        .size:           32
        .value_kind:     by_value
      - .address_space:  global
        .offset:         56
        .size:           8
        .value_kind:     global_buffer
      - .offset:         64
        .size:           4
        .value_kind:     by_value
      - .offset:         68
        .size:           12
        .value_kind:     by_value
      - .offset:         80
        .size:           4
        .value_kind:     by_value
      - .offset:         84
        .size:           4
        .value_kind:     by_value
      - .offset:         88
        .size:           4
        .value_kind:     by_value
      - .offset:         92
        .size:           12
        .value_kind:     by_value
      - .offset:         104
        .size:           4
        .value_kind:     by_value
      - .offset:         108
        .size:           4
        .value_kind:     by_value
      - .offset:         112
        .size:           4
        .value_kind:     by_value
      - .offset:         116
        .size:           12
        .value_kind:     by_value
      - .offset:         128
        .size:           4
        .value_kind:     by_value
      - .offset:         132
        .size:           4
        .value_kind:     by_value
      - .offset:         136
        .size:           4
        .value_kind:     by_value
      - .offset:         140
        .size:           4
        .value_kind:     by_value
    .group_segment_fixed_size: 0
    .kernarg_segment_align: 8
    .kernarg_segment_size: 144
    .language:       OpenCL C
    .language_version:
      - 2
      - 0
    .max_flat_workgroup_size: 1024
    .name:           _ZL13mul_mat_vec_fI6__halfS0_Li4ELi96ELb0ELb0EEvPKT_PKfPKi31ggml_cuda_mm_fusion_args_devicePfi15HIP_vector_typeIjLj3EEiiiSB_iiiSB_iiii
    .private_segment_fixed_size: 0
    .sgpr_count:     38
    .sgpr_spill_count: 0
    .symbol:         _ZL13mul_mat_vec_fI6__halfS0_Li4ELi96ELb0ELb0EEvPKT_PKfPKi31ggml_cuda_mm_fusion_args_devicePfi15HIP_vector_typeIjLj3EEiiiSB_iiiSB_iiii.kd
    .uniform_work_group_size: 1
    .uses_dynamic_stack: false
    .vgpr_count:     20
    .vgpr_spill_count: 0
    .wavefront_size: 32
    .workgroup_processor_mode: 1
  - .args:
      - .address_space:  global
        .offset:         0
        .size:           8
        .value_kind:     global_buffer
      - .address_space:  global
        .offset:         8
        .size:           8
        .value_kind:     global_buffer
      - .address_space:  global
        .offset:         16
        .size:           8
        .value_kind:     global_buffer
      - .offset:         24
        .size:           32
        .value_kind:     by_value
      - .address_space:  global
        .offset:         56
        .size:           8
        .value_kind:     global_buffer
      - .offset:         64
        .size:           4
        .value_kind:     by_value
      - .offset:         68
        .size:           12
        .value_kind:     by_value
      - .offset:         80
        .size:           4
        .value_kind:     by_value
      - .offset:         84
        .size:           4
        .value_kind:     by_value
      - .offset:         88
        .size:           4
        .value_kind:     by_value
      - .offset:         92
        .size:           12
        .value_kind:     by_value
      - .offset:         104
        .size:           4
        .value_kind:     by_value
      - .offset:         108
        .size:           4
        .value_kind:     by_value
      - .offset:         112
        .size:           4
        .value_kind:     by_value
      - .offset:         116
        .size:           12
        .value_kind:     by_value
      - .offset:         128
        .size:           4
        .value_kind:     by_value
      - .offset:         132
        .size:           4
        .value_kind:     by_value
      - .offset:         136
        .size:           4
        .value_kind:     by_value
      - .offset:         140
        .size:           4
        .value_kind:     by_value
    .group_segment_fixed_size: 0
    .kernarg_segment_align: 8
    .kernarg_segment_size: 144
    .language:       OpenCL C
    .language_version:
      - 2
      - 0
    .max_flat_workgroup_size: 1024
    .name:           _ZL13mul_mat_vec_fI6__halfS0_Li4ELi128ELb0ELb0EEvPKT_PKfPKi31ggml_cuda_mm_fusion_args_devicePfi15HIP_vector_typeIjLj3EEiiiSB_iiiSB_iiii
    .private_segment_fixed_size: 0
    .sgpr_count:     38
    .sgpr_spill_count: 0
    .symbol:         _ZL13mul_mat_vec_fI6__halfS0_Li4ELi128ELb0ELb0EEvPKT_PKfPKi31ggml_cuda_mm_fusion_args_devicePfi15HIP_vector_typeIjLj3EEiiiSB_iiiSB_iiii.kd
    .uniform_work_group_size: 1
    .uses_dynamic_stack: false
    .vgpr_count:     20
    .vgpr_spill_count: 0
    .wavefront_size: 32
    .workgroup_processor_mode: 1
  - .args:
      - .address_space:  global
        .offset:         0
        .size:           8
        .value_kind:     global_buffer
      - .address_space:  global
        .offset:         8
        .size:           8
        .value_kind:     global_buffer
      - .address_space:  global
        .offset:         16
        .size:           8
        .value_kind:     global_buffer
      - .offset:         24
        .size:           32
        .value_kind:     by_value
      - .address_space:  global
        .offset:         56
        .size:           8
        .value_kind:     global_buffer
      - .offset:         64
        .size:           4
        .value_kind:     by_value
      - .offset:         68
        .size:           12
        .value_kind:     by_value
      - .offset:         80
        .size:           4
        .value_kind:     by_value
      - .offset:         84
        .size:           4
        .value_kind:     by_value
      - .offset:         88
        .size:           4
        .value_kind:     by_value
      - .offset:         92
        .size:           12
        .value_kind:     by_value
      - .offset:         104
        .size:           4
        .value_kind:     by_value
      - .offset:         108
        .size:           4
        .value_kind:     by_value
      - .offset:         112
        .size:           4
        .value_kind:     by_value
      - .offset:         116
        .size:           12
        .value_kind:     by_value
      - .offset:         128
        .size:           4
        .value_kind:     by_value
      - .offset:         132
        .size:           4
        .value_kind:     by_value
      - .offset:         136
        .size:           4
        .value_kind:     by_value
      - .offset:         140
        .size:           4
        .value_kind:     by_value
    .group_segment_fixed_size: 0
    .kernarg_segment_align: 8
    .kernarg_segment_size: 144
    .language:       OpenCL C
    .language_version:
      - 2
      - 0
    .max_flat_workgroup_size: 1024
    .name:           _ZL13mul_mat_vec_fI6__halfS0_Li4ELi160ELb0ELb0EEvPKT_PKfPKi31ggml_cuda_mm_fusion_args_devicePfi15HIP_vector_typeIjLj3EEiiiSB_iiiSB_iiii
    .private_segment_fixed_size: 0
    .sgpr_count:     38
    .sgpr_spill_count: 0
    .symbol:         _ZL13mul_mat_vec_fI6__halfS0_Li4ELi160ELb0ELb0EEvPKT_PKfPKi31ggml_cuda_mm_fusion_args_devicePfi15HIP_vector_typeIjLj3EEiiiSB_iiiSB_iiii.kd
    .uniform_work_group_size: 1
    .uses_dynamic_stack: false
    .vgpr_count:     20
    .vgpr_spill_count: 0
    .wavefront_size: 32
    .workgroup_processor_mode: 1
  - .args:
      - .address_space:  global
        .offset:         0
        .size:           8
        .value_kind:     global_buffer
      - .address_space:  global
        .offset:         8
        .size:           8
        .value_kind:     global_buffer
      - .address_space:  global
        .offset:         16
        .size:           8
        .value_kind:     global_buffer
      - .offset:         24
        .size:           32
        .value_kind:     by_value
      - .address_space:  global
        .offset:         56
        .size:           8
        .value_kind:     global_buffer
      - .offset:         64
        .size:           4
        .value_kind:     by_value
      - .offset:         68
        .size:           12
        .value_kind:     by_value
      - .offset:         80
        .size:           4
        .value_kind:     by_value
      - .offset:         84
        .size:           4
        .value_kind:     by_value
      - .offset:         88
        .size:           4
        .value_kind:     by_value
      - .offset:         92
        .size:           12
        .value_kind:     by_value
      - .offset:         104
        .size:           4
        .value_kind:     by_value
      - .offset:         108
        .size:           4
        .value_kind:     by_value
      - .offset:         112
        .size:           4
        .value_kind:     by_value
      - .offset:         116
        .size:           12
        .value_kind:     by_value
      - .offset:         128
        .size:           4
        .value_kind:     by_value
      - .offset:         132
        .size:           4
        .value_kind:     by_value
      - .offset:         136
        .size:           4
        .value_kind:     by_value
      - .offset:         140
        .size:           4
        .value_kind:     by_value
    .group_segment_fixed_size: 0
    .kernarg_segment_align: 8
    .kernarg_segment_size: 144
    .language:       OpenCL C
    .language_version:
      - 2
      - 0
    .max_flat_workgroup_size: 1024
    .name:           _ZL13mul_mat_vec_fI6__halfS0_Li4ELi192ELb0ELb0EEvPKT_PKfPKi31ggml_cuda_mm_fusion_args_devicePfi15HIP_vector_typeIjLj3EEiiiSB_iiiSB_iiii
    .private_segment_fixed_size: 0
    .sgpr_count:     38
    .sgpr_spill_count: 0
    .symbol:         _ZL13mul_mat_vec_fI6__halfS0_Li4ELi192ELb0ELb0EEvPKT_PKfPKi31ggml_cuda_mm_fusion_args_devicePfi15HIP_vector_typeIjLj3EEiiiSB_iiiSB_iiii.kd
    .uniform_work_group_size: 1
    .uses_dynamic_stack: false
    .vgpr_count:     20
    .vgpr_spill_count: 0
    .wavefront_size: 32
    .workgroup_processor_mode: 1
  - .args:
      - .address_space:  global
        .offset:         0
        .size:           8
        .value_kind:     global_buffer
      - .address_space:  global
        .offset:         8
        .size:           8
        .value_kind:     global_buffer
      - .address_space:  global
        .offset:         16
        .size:           8
        .value_kind:     global_buffer
      - .offset:         24
        .size:           32
        .value_kind:     by_value
      - .address_space:  global
        .offset:         56
        .size:           8
        .value_kind:     global_buffer
      - .offset:         64
        .size:           4
        .value_kind:     by_value
      - .offset:         68
        .size:           12
        .value_kind:     by_value
      - .offset:         80
        .size:           4
        .value_kind:     by_value
      - .offset:         84
        .size:           4
        .value_kind:     by_value
      - .offset:         88
        .size:           4
        .value_kind:     by_value
      - .offset:         92
        .size:           12
        .value_kind:     by_value
      - .offset:         104
        .size:           4
        .value_kind:     by_value
      - .offset:         108
        .size:           4
        .value_kind:     by_value
      - .offset:         112
        .size:           4
        .value_kind:     by_value
      - .offset:         116
        .size:           12
        .value_kind:     by_value
      - .offset:         128
        .size:           4
        .value_kind:     by_value
      - .offset:         132
        .size:           4
        .value_kind:     by_value
      - .offset:         136
        .size:           4
        .value_kind:     by_value
      - .offset:         140
        .size:           4
        .value_kind:     by_value
    .group_segment_fixed_size: 0
    .kernarg_segment_align: 8
    .kernarg_segment_size: 144
    .language:       OpenCL C
    .language_version:
      - 2
      - 0
    .max_flat_workgroup_size: 1024
    .name:           _ZL13mul_mat_vec_fI6__halfS0_Li4ELi224ELb0ELb0EEvPKT_PKfPKi31ggml_cuda_mm_fusion_args_devicePfi15HIP_vector_typeIjLj3EEiiiSB_iiiSB_iiii
    .private_segment_fixed_size: 0
    .sgpr_count:     38
    .sgpr_spill_count: 0
    .symbol:         _ZL13mul_mat_vec_fI6__halfS0_Li4ELi224ELb0ELb0EEvPKT_PKfPKi31ggml_cuda_mm_fusion_args_devicePfi15HIP_vector_typeIjLj3EEiiiSB_iiiSB_iiii.kd
    .uniform_work_group_size: 1
    .uses_dynamic_stack: false
    .vgpr_count:     20
    .vgpr_spill_count: 0
    .wavefront_size: 32
    .workgroup_processor_mode: 1
  - .args:
      - .address_space:  global
        .offset:         0
        .size:           8
        .value_kind:     global_buffer
      - .address_space:  global
        .offset:         8
        .size:           8
        .value_kind:     global_buffer
      - .address_space:  global
        .offset:         16
        .size:           8
        .value_kind:     global_buffer
      - .offset:         24
        .size:           32
        .value_kind:     by_value
      - .address_space:  global
        .offset:         56
        .size:           8
        .value_kind:     global_buffer
      - .offset:         64
        .size:           4
        .value_kind:     by_value
      - .offset:         68
        .size:           12
        .value_kind:     by_value
      - .offset:         80
        .size:           4
        .value_kind:     by_value
      - .offset:         84
        .size:           4
        .value_kind:     by_value
      - .offset:         88
        .size:           4
        .value_kind:     by_value
      - .offset:         92
        .size:           12
        .value_kind:     by_value
      - .offset:         104
        .size:           4
        .value_kind:     by_value
      - .offset:         108
        .size:           4
        .value_kind:     by_value
      - .offset:         112
        .size:           4
        .value_kind:     by_value
      - .offset:         116
        .size:           12
        .value_kind:     by_value
      - .offset:         128
        .size:           4
        .value_kind:     by_value
      - .offset:         132
        .size:           4
        .value_kind:     by_value
      - .offset:         136
        .size:           4
        .value_kind:     by_value
      - .offset:         140
        .size:           4
        .value_kind:     by_value
    .group_segment_fixed_size: 0
    .kernarg_segment_align: 8
    .kernarg_segment_size: 144
    .language:       OpenCL C
    .language_version:
      - 2
      - 0
    .max_flat_workgroup_size: 1024
    .name:           _ZL13mul_mat_vec_fI6__halfS0_Li4ELi256ELb0ELb0EEvPKT_PKfPKi31ggml_cuda_mm_fusion_args_devicePfi15HIP_vector_typeIjLj3EEiiiSB_iiiSB_iiii
    .private_segment_fixed_size: 0
    .sgpr_count:     38
    .sgpr_spill_count: 0
    .symbol:         _ZL13mul_mat_vec_fI6__halfS0_Li4ELi256ELb0ELb0EEvPKT_PKfPKi31ggml_cuda_mm_fusion_args_devicePfi15HIP_vector_typeIjLj3EEiiiSB_iiiSB_iiii.kd
    .uniform_work_group_size: 1
    .uses_dynamic_stack: false
    .vgpr_count:     20
    .vgpr_spill_count: 0
    .wavefront_size: 32
    .workgroup_processor_mode: 1
  - .args:
      - .address_space:  global
        .offset:         0
        .size:           8
        .value_kind:     global_buffer
      - .address_space:  global
        .offset:         8
        .size:           8
        .value_kind:     global_buffer
      - .address_space:  global
        .offset:         16
        .size:           8
        .value_kind:     global_buffer
      - .offset:         24
        .size:           32
        .value_kind:     by_value
      - .address_space:  global
        .offset:         56
        .size:           8
        .value_kind:     global_buffer
      - .offset:         64
        .size:           4
        .value_kind:     by_value
      - .offset:         68
        .size:           12
        .value_kind:     by_value
      - .offset:         80
        .size:           4
        .value_kind:     by_value
      - .offset:         84
        .size:           4
        .value_kind:     by_value
      - .offset:         88
        .size:           4
        .value_kind:     by_value
      - .offset:         92
        .size:           12
        .value_kind:     by_value
      - .offset:         104
        .size:           4
        .value_kind:     by_value
      - .offset:         108
        .size:           4
        .value_kind:     by_value
      - .offset:         112
        .size:           4
        .value_kind:     by_value
      - .offset:         116
        .size:           12
        .value_kind:     by_value
      - .offset:         128
        .size:           4
        .value_kind:     by_value
      - .offset:         132
        .size:           4
        .value_kind:     by_value
      - .offset:         136
        .size:           4
        .value_kind:     by_value
      - .offset:         140
        .size:           4
        .value_kind:     by_value
    .group_segment_fixed_size: 0
    .kernarg_segment_align: 8
    .kernarg_segment_size: 144
    .language:       OpenCL C
    .language_version:
      - 2
      - 0
    .max_flat_workgroup_size: 1024
    .name:           _ZL13mul_mat_vec_fI6__halfS0_Li5ELi32ELb0ELb0EEvPKT_PKfPKi31ggml_cuda_mm_fusion_args_devicePfi15HIP_vector_typeIjLj3EEiiiSB_iiiSB_iiii
    .private_segment_fixed_size: 0
    .sgpr_count:     34
    .sgpr_spill_count: 0
    .symbol:         _ZL13mul_mat_vec_fI6__halfS0_Li5ELi32ELb0ELb0EEvPKT_PKfPKi31ggml_cuda_mm_fusion_args_devicePfi15HIP_vector_typeIjLj3EEiiiSB_iiiSB_iiii.kd
    .uniform_work_group_size: 1
    .uses_dynamic_stack: false
    .vgpr_count:     22
    .vgpr_spill_count: 0
    .wavefront_size: 32
    .workgroup_processor_mode: 1
  - .args:
      - .address_space:  global
        .offset:         0
        .size:           8
        .value_kind:     global_buffer
      - .address_space:  global
        .offset:         8
        .size:           8
        .value_kind:     global_buffer
      - .address_space:  global
        .offset:         16
        .size:           8
        .value_kind:     global_buffer
      - .offset:         24
        .size:           32
        .value_kind:     by_value
      - .address_space:  global
        .offset:         56
        .size:           8
        .value_kind:     global_buffer
      - .offset:         64
        .size:           4
        .value_kind:     by_value
      - .offset:         68
        .size:           12
        .value_kind:     by_value
      - .offset:         80
        .size:           4
        .value_kind:     by_value
      - .offset:         84
        .size:           4
        .value_kind:     by_value
      - .offset:         88
        .size:           4
        .value_kind:     by_value
      - .offset:         92
        .size:           12
        .value_kind:     by_value
      - .offset:         104
        .size:           4
        .value_kind:     by_value
      - .offset:         108
        .size:           4
        .value_kind:     by_value
      - .offset:         112
        .size:           4
        .value_kind:     by_value
      - .offset:         116
        .size:           12
        .value_kind:     by_value
      - .offset:         128
        .size:           4
        .value_kind:     by_value
      - .offset:         132
        .size:           4
        .value_kind:     by_value
      - .offset:         136
        .size:           4
        .value_kind:     by_value
      - .offset:         140
        .size:           4
        .value_kind:     by_value
    .group_segment_fixed_size: 0
    .kernarg_segment_align: 8
    .kernarg_segment_size: 144
    .language:       OpenCL C
    .language_version:
      - 2
      - 0
    .max_flat_workgroup_size: 1024
    .name:           _ZL13mul_mat_vec_fI6__halfS0_Li5ELi64ELb0ELb0EEvPKT_PKfPKi31ggml_cuda_mm_fusion_args_devicePfi15HIP_vector_typeIjLj3EEiiiSB_iiiSB_iiii
    .private_segment_fixed_size: 0
    .sgpr_count:     38
    .sgpr_spill_count: 0
    .symbol:         _ZL13mul_mat_vec_fI6__halfS0_Li5ELi64ELb0ELb0EEvPKT_PKfPKi31ggml_cuda_mm_fusion_args_devicePfi15HIP_vector_typeIjLj3EEiiiSB_iiiSB_iiii.kd
    .uniform_work_group_size: 1
    .uses_dynamic_stack: false
    .vgpr_count:     23
    .vgpr_spill_count: 0
    .wavefront_size: 32
    .workgroup_processor_mode: 1
  - .args:
      - .address_space:  global
        .offset:         0
        .size:           8
        .value_kind:     global_buffer
      - .address_space:  global
        .offset:         8
        .size:           8
        .value_kind:     global_buffer
      - .address_space:  global
        .offset:         16
        .size:           8
        .value_kind:     global_buffer
      - .offset:         24
        .size:           32
        .value_kind:     by_value
      - .address_space:  global
        .offset:         56
        .size:           8
        .value_kind:     global_buffer
      - .offset:         64
        .size:           4
        .value_kind:     by_value
      - .offset:         68
        .size:           12
        .value_kind:     by_value
      - .offset:         80
        .size:           4
        .value_kind:     by_value
      - .offset:         84
        .size:           4
        .value_kind:     by_value
      - .offset:         88
        .size:           4
        .value_kind:     by_value
      - .offset:         92
        .size:           12
        .value_kind:     by_value
      - .offset:         104
        .size:           4
        .value_kind:     by_value
      - .offset:         108
        .size:           4
        .value_kind:     by_value
      - .offset:         112
        .size:           4
        .value_kind:     by_value
      - .offset:         116
        .size:           12
        .value_kind:     by_value
      - .offset:         128
        .size:           4
        .value_kind:     by_value
      - .offset:         132
        .size:           4
        .value_kind:     by_value
      - .offset:         136
        .size:           4
        .value_kind:     by_value
      - .offset:         140
        .size:           4
        .value_kind:     by_value
    .group_segment_fixed_size: 0
    .kernarg_segment_align: 8
    .kernarg_segment_size: 144
    .language:       OpenCL C
    .language_version:
      - 2
      - 0
    .max_flat_workgroup_size: 1024
    .name:           _ZL13mul_mat_vec_fI6__halfS0_Li5ELi96ELb0ELb0EEvPKT_PKfPKi31ggml_cuda_mm_fusion_args_devicePfi15HIP_vector_typeIjLj3EEiiiSB_iiiSB_iiii
    .private_segment_fixed_size: 0
    .sgpr_count:     38
    .sgpr_spill_count: 0
    .symbol:         _ZL13mul_mat_vec_fI6__halfS0_Li5ELi96ELb0ELb0EEvPKT_PKfPKi31ggml_cuda_mm_fusion_args_devicePfi15HIP_vector_typeIjLj3EEiiiSB_iiiSB_iiii.kd
    .uniform_work_group_size: 1
    .uses_dynamic_stack: false
    .vgpr_count:     23
    .vgpr_spill_count: 0
    .wavefront_size: 32
    .workgroup_processor_mode: 1
  - .args:
      - .address_space:  global
        .offset:         0
        .size:           8
        .value_kind:     global_buffer
      - .address_space:  global
        .offset:         8
        .size:           8
        .value_kind:     global_buffer
      - .address_space:  global
        .offset:         16
        .size:           8
        .value_kind:     global_buffer
      - .offset:         24
        .size:           32
        .value_kind:     by_value
      - .address_space:  global
        .offset:         56
        .size:           8
        .value_kind:     global_buffer
      - .offset:         64
        .size:           4
        .value_kind:     by_value
      - .offset:         68
        .size:           12
        .value_kind:     by_value
      - .offset:         80
        .size:           4
        .value_kind:     by_value
      - .offset:         84
        .size:           4
        .value_kind:     by_value
      - .offset:         88
        .size:           4
        .value_kind:     by_value
      - .offset:         92
        .size:           12
        .value_kind:     by_value
      - .offset:         104
        .size:           4
        .value_kind:     by_value
      - .offset:         108
        .size:           4
        .value_kind:     by_value
      - .offset:         112
        .size:           4
        .value_kind:     by_value
      - .offset:         116
        .size:           12
        .value_kind:     by_value
      - .offset:         128
        .size:           4
        .value_kind:     by_value
      - .offset:         132
        .size:           4
        .value_kind:     by_value
      - .offset:         136
        .size:           4
        .value_kind:     by_value
      - .offset:         140
        .size:           4
        .value_kind:     by_value
    .group_segment_fixed_size: 0
    .kernarg_segment_align: 8
    .kernarg_segment_size: 144
    .language:       OpenCL C
    .language_version:
      - 2
      - 0
    .max_flat_workgroup_size: 1024
    .name:           _ZL13mul_mat_vec_fI6__halfS0_Li5ELi128ELb0ELb0EEvPKT_PKfPKi31ggml_cuda_mm_fusion_args_devicePfi15HIP_vector_typeIjLj3EEiiiSB_iiiSB_iiii
    .private_segment_fixed_size: 0
    .sgpr_count:     38
    .sgpr_spill_count: 0
    .symbol:         _ZL13mul_mat_vec_fI6__halfS0_Li5ELi128ELb0ELb0EEvPKT_PKfPKi31ggml_cuda_mm_fusion_args_devicePfi15HIP_vector_typeIjLj3EEiiiSB_iiiSB_iiii.kd
    .uniform_work_group_size: 1
    .uses_dynamic_stack: false
    .vgpr_count:     23
    .vgpr_spill_count: 0
    .wavefront_size: 32
    .workgroup_processor_mode: 1
  - .args:
      - .address_space:  global
        .offset:         0
        .size:           8
        .value_kind:     global_buffer
      - .address_space:  global
        .offset:         8
        .size:           8
        .value_kind:     global_buffer
      - .address_space:  global
        .offset:         16
        .size:           8
        .value_kind:     global_buffer
      - .offset:         24
        .size:           32
        .value_kind:     by_value
      - .address_space:  global
        .offset:         56
        .size:           8
        .value_kind:     global_buffer
      - .offset:         64
        .size:           4
        .value_kind:     by_value
      - .offset:         68
        .size:           12
        .value_kind:     by_value
      - .offset:         80
        .size:           4
        .value_kind:     by_value
      - .offset:         84
        .size:           4
        .value_kind:     by_value
      - .offset:         88
        .size:           4
        .value_kind:     by_value
      - .offset:         92
        .size:           12
        .value_kind:     by_value
      - .offset:         104
        .size:           4
        .value_kind:     by_value
      - .offset:         108
        .size:           4
        .value_kind:     by_value
      - .offset:         112
        .size:           4
        .value_kind:     by_value
      - .offset:         116
        .size:           12
        .value_kind:     by_value
      - .offset:         128
        .size:           4
        .value_kind:     by_value
      - .offset:         132
        .size:           4
        .value_kind:     by_value
      - .offset:         136
        .size:           4
        .value_kind:     by_value
      - .offset:         140
        .size:           4
        .value_kind:     by_value
    .group_segment_fixed_size: 0
    .kernarg_segment_align: 8
    .kernarg_segment_size: 144
    .language:       OpenCL C
    .language_version:
      - 2
      - 0
    .max_flat_workgroup_size: 1024
    .name:           _ZL13mul_mat_vec_fI6__halfS0_Li5ELi160ELb0ELb0EEvPKT_PKfPKi31ggml_cuda_mm_fusion_args_devicePfi15HIP_vector_typeIjLj3EEiiiSB_iiiSB_iiii
    .private_segment_fixed_size: 0
    .sgpr_count:     38
    .sgpr_spill_count: 0
    .symbol:         _ZL13mul_mat_vec_fI6__halfS0_Li5ELi160ELb0ELb0EEvPKT_PKfPKi31ggml_cuda_mm_fusion_args_devicePfi15HIP_vector_typeIjLj3EEiiiSB_iiiSB_iiii.kd
    .uniform_work_group_size: 1
    .uses_dynamic_stack: false
    .vgpr_count:     23
    .vgpr_spill_count: 0
    .wavefront_size: 32
    .workgroup_processor_mode: 1
  - .args:
      - .address_space:  global
        .offset:         0
        .size:           8
        .value_kind:     global_buffer
      - .address_space:  global
        .offset:         8
        .size:           8
        .value_kind:     global_buffer
      - .address_space:  global
        .offset:         16
        .size:           8
        .value_kind:     global_buffer
      - .offset:         24
        .size:           32
        .value_kind:     by_value
      - .address_space:  global
        .offset:         56
        .size:           8
        .value_kind:     global_buffer
      - .offset:         64
        .size:           4
        .value_kind:     by_value
      - .offset:         68
        .size:           12
        .value_kind:     by_value
      - .offset:         80
        .size:           4
        .value_kind:     by_value
      - .offset:         84
        .size:           4
        .value_kind:     by_value
      - .offset:         88
        .size:           4
        .value_kind:     by_value
      - .offset:         92
        .size:           12
        .value_kind:     by_value
      - .offset:         104
        .size:           4
        .value_kind:     by_value
      - .offset:         108
        .size:           4
        .value_kind:     by_value
      - .offset:         112
        .size:           4
        .value_kind:     by_value
      - .offset:         116
        .size:           12
        .value_kind:     by_value
      - .offset:         128
        .size:           4
        .value_kind:     by_value
      - .offset:         132
        .size:           4
        .value_kind:     by_value
      - .offset:         136
        .size:           4
        .value_kind:     by_value
      - .offset:         140
        .size:           4
        .value_kind:     by_value
    .group_segment_fixed_size: 0
    .kernarg_segment_align: 8
    .kernarg_segment_size: 144
    .language:       OpenCL C
    .language_version:
      - 2
      - 0
    .max_flat_workgroup_size: 1024
    .name:           _ZL13mul_mat_vec_fI6__halfS0_Li5ELi192ELb0ELb0EEvPKT_PKfPKi31ggml_cuda_mm_fusion_args_devicePfi15HIP_vector_typeIjLj3EEiiiSB_iiiSB_iiii
    .private_segment_fixed_size: 0
    .sgpr_count:     38
    .sgpr_spill_count: 0
    .symbol:         _ZL13mul_mat_vec_fI6__halfS0_Li5ELi192ELb0ELb0EEvPKT_PKfPKi31ggml_cuda_mm_fusion_args_devicePfi15HIP_vector_typeIjLj3EEiiiSB_iiiSB_iiii.kd
    .uniform_work_group_size: 1
    .uses_dynamic_stack: false
    .vgpr_count:     23
    .vgpr_spill_count: 0
    .wavefront_size: 32
    .workgroup_processor_mode: 1
  - .args:
      - .address_space:  global
        .offset:         0
        .size:           8
        .value_kind:     global_buffer
      - .address_space:  global
        .offset:         8
        .size:           8
        .value_kind:     global_buffer
      - .address_space:  global
        .offset:         16
        .size:           8
        .value_kind:     global_buffer
      - .offset:         24
        .size:           32
        .value_kind:     by_value
      - .address_space:  global
        .offset:         56
        .size:           8
        .value_kind:     global_buffer
      - .offset:         64
        .size:           4
        .value_kind:     by_value
      - .offset:         68
        .size:           12
        .value_kind:     by_value
      - .offset:         80
        .size:           4
        .value_kind:     by_value
      - .offset:         84
        .size:           4
        .value_kind:     by_value
      - .offset:         88
        .size:           4
        .value_kind:     by_value
      - .offset:         92
        .size:           12
        .value_kind:     by_value
      - .offset:         104
        .size:           4
        .value_kind:     by_value
      - .offset:         108
        .size:           4
        .value_kind:     by_value
      - .offset:         112
        .size:           4
        .value_kind:     by_value
      - .offset:         116
        .size:           12
        .value_kind:     by_value
      - .offset:         128
        .size:           4
        .value_kind:     by_value
      - .offset:         132
        .size:           4
        .value_kind:     by_value
      - .offset:         136
        .size:           4
        .value_kind:     by_value
      - .offset:         140
        .size:           4
        .value_kind:     by_value
    .group_segment_fixed_size: 0
    .kernarg_segment_align: 8
    .kernarg_segment_size: 144
    .language:       OpenCL C
    .language_version:
      - 2
      - 0
    .max_flat_workgroup_size: 1024
    .name:           _ZL13mul_mat_vec_fI6__halfS0_Li5ELi224ELb0ELb0EEvPKT_PKfPKi31ggml_cuda_mm_fusion_args_devicePfi15HIP_vector_typeIjLj3EEiiiSB_iiiSB_iiii
    .private_segment_fixed_size: 0
    .sgpr_count:     38
    .sgpr_spill_count: 0
    .symbol:         _ZL13mul_mat_vec_fI6__halfS0_Li5ELi224ELb0ELb0EEvPKT_PKfPKi31ggml_cuda_mm_fusion_args_devicePfi15HIP_vector_typeIjLj3EEiiiSB_iiiSB_iiii.kd
    .uniform_work_group_size: 1
    .uses_dynamic_stack: false
    .vgpr_count:     23
    .vgpr_spill_count: 0
    .wavefront_size: 32
    .workgroup_processor_mode: 1
  - .args:
      - .address_space:  global
        .offset:         0
        .size:           8
        .value_kind:     global_buffer
      - .address_space:  global
        .offset:         8
        .size:           8
        .value_kind:     global_buffer
      - .address_space:  global
        .offset:         16
        .size:           8
        .value_kind:     global_buffer
      - .offset:         24
        .size:           32
        .value_kind:     by_value
      - .address_space:  global
        .offset:         56
        .size:           8
        .value_kind:     global_buffer
      - .offset:         64
        .size:           4
        .value_kind:     by_value
      - .offset:         68
        .size:           12
        .value_kind:     by_value
      - .offset:         80
        .size:           4
        .value_kind:     by_value
      - .offset:         84
        .size:           4
        .value_kind:     by_value
      - .offset:         88
        .size:           4
        .value_kind:     by_value
      - .offset:         92
        .size:           12
        .value_kind:     by_value
      - .offset:         104
        .size:           4
        .value_kind:     by_value
      - .offset:         108
        .size:           4
        .value_kind:     by_value
      - .offset:         112
        .size:           4
        .value_kind:     by_value
      - .offset:         116
        .size:           12
        .value_kind:     by_value
      - .offset:         128
        .size:           4
        .value_kind:     by_value
      - .offset:         132
        .size:           4
        .value_kind:     by_value
      - .offset:         136
        .size:           4
        .value_kind:     by_value
      - .offset:         140
        .size:           4
        .value_kind:     by_value
    .group_segment_fixed_size: 0
    .kernarg_segment_align: 8
    .kernarg_segment_size: 144
    .language:       OpenCL C
    .language_version:
      - 2
      - 0
    .max_flat_workgroup_size: 1024
    .name:           _ZL13mul_mat_vec_fI6__halfS0_Li5ELi256ELb0ELb0EEvPKT_PKfPKi31ggml_cuda_mm_fusion_args_devicePfi15HIP_vector_typeIjLj3EEiiiSB_iiiSB_iiii
    .private_segment_fixed_size: 0
    .sgpr_count:     38
    .sgpr_spill_count: 0
    .symbol:         _ZL13mul_mat_vec_fI6__halfS0_Li5ELi256ELb0ELb0EEvPKT_PKfPKi31ggml_cuda_mm_fusion_args_devicePfi15HIP_vector_typeIjLj3EEiiiSB_iiiSB_iiii.kd
    .uniform_work_group_size: 1
    .uses_dynamic_stack: false
    .vgpr_count:     23
    .vgpr_spill_count: 0
    .wavefront_size: 32
    .workgroup_processor_mode: 1
  - .args:
      - .address_space:  global
        .offset:         0
        .size:           8
        .value_kind:     global_buffer
      - .address_space:  global
        .offset:         8
        .size:           8
        .value_kind:     global_buffer
      - .address_space:  global
        .offset:         16
        .size:           8
        .value_kind:     global_buffer
      - .offset:         24
        .size:           32
        .value_kind:     by_value
      - .address_space:  global
        .offset:         56
        .size:           8
        .value_kind:     global_buffer
      - .offset:         64
        .size:           4
        .value_kind:     by_value
      - .offset:         68
        .size:           12
        .value_kind:     by_value
      - .offset:         80
        .size:           4
        .value_kind:     by_value
      - .offset:         84
        .size:           4
        .value_kind:     by_value
      - .offset:         88
        .size:           4
        .value_kind:     by_value
      - .offset:         92
        .size:           12
        .value_kind:     by_value
      - .offset:         104
        .size:           4
        .value_kind:     by_value
      - .offset:         108
        .size:           4
        .value_kind:     by_value
      - .offset:         112
        .size:           4
        .value_kind:     by_value
      - .offset:         116
        .size:           12
        .value_kind:     by_value
      - .offset:         128
        .size:           4
        .value_kind:     by_value
      - .offset:         132
        .size:           4
        .value_kind:     by_value
      - .offset:         136
        .size:           4
        .value_kind:     by_value
      - .offset:         140
        .size:           4
        .value_kind:     by_value
    .group_segment_fixed_size: 0
    .kernarg_segment_align: 8
    .kernarg_segment_size: 144
    .language:       OpenCL C
    .language_version:
      - 2
      - 0
    .max_flat_workgroup_size: 1024
    .name:           _ZL13mul_mat_vec_fI6__halfS0_Li6ELi32ELb0ELb0EEvPKT_PKfPKi31ggml_cuda_mm_fusion_args_devicePfi15HIP_vector_typeIjLj3EEiiiSB_iiiSB_iiii
    .private_segment_fixed_size: 0
    .sgpr_count:     34
    .sgpr_spill_count: 0
    .symbol:         _ZL13mul_mat_vec_fI6__halfS0_Li6ELi32ELb0ELb0EEvPKT_PKfPKi31ggml_cuda_mm_fusion_args_devicePfi15HIP_vector_typeIjLj3EEiiiSB_iiiSB_iiii.kd
    .uniform_work_group_size: 1
    .uses_dynamic_stack: false
    .vgpr_count:     25
    .vgpr_spill_count: 0
    .wavefront_size: 32
    .workgroup_processor_mode: 1
  - .args:
      - .address_space:  global
        .offset:         0
        .size:           8
        .value_kind:     global_buffer
      - .address_space:  global
        .offset:         8
        .size:           8
        .value_kind:     global_buffer
      - .address_space:  global
        .offset:         16
        .size:           8
        .value_kind:     global_buffer
      - .offset:         24
        .size:           32
        .value_kind:     by_value
      - .address_space:  global
        .offset:         56
        .size:           8
        .value_kind:     global_buffer
      - .offset:         64
        .size:           4
        .value_kind:     by_value
      - .offset:         68
        .size:           12
        .value_kind:     by_value
      - .offset:         80
        .size:           4
        .value_kind:     by_value
      - .offset:         84
        .size:           4
        .value_kind:     by_value
      - .offset:         88
        .size:           4
        .value_kind:     by_value
      - .offset:         92
        .size:           12
        .value_kind:     by_value
      - .offset:         104
        .size:           4
        .value_kind:     by_value
      - .offset:         108
        .size:           4
        .value_kind:     by_value
      - .offset:         112
        .size:           4
        .value_kind:     by_value
      - .offset:         116
        .size:           12
        .value_kind:     by_value
      - .offset:         128
        .size:           4
        .value_kind:     by_value
      - .offset:         132
        .size:           4
        .value_kind:     by_value
      - .offset:         136
        .size:           4
        .value_kind:     by_value
      - .offset:         140
        .size:           4
        .value_kind:     by_value
    .group_segment_fixed_size: 0
    .kernarg_segment_align: 8
    .kernarg_segment_size: 144
    .language:       OpenCL C
    .language_version:
      - 2
      - 0
    .max_flat_workgroup_size: 1024
    .name:           _ZL13mul_mat_vec_fI6__halfS0_Li6ELi64ELb0ELb0EEvPKT_PKfPKi31ggml_cuda_mm_fusion_args_devicePfi15HIP_vector_typeIjLj3EEiiiSB_iiiSB_iiii
    .private_segment_fixed_size: 0
    .sgpr_count:     38
    .sgpr_spill_count: 0
    .symbol:         _ZL13mul_mat_vec_fI6__halfS0_Li6ELi64ELb0ELb0EEvPKT_PKfPKi31ggml_cuda_mm_fusion_args_devicePfi15HIP_vector_typeIjLj3EEiiiSB_iiiSB_iiii.kd
    .uniform_work_group_size: 1
    .uses_dynamic_stack: false
    .vgpr_count:     26
    .vgpr_spill_count: 0
    .wavefront_size: 32
    .workgroup_processor_mode: 1
  - .args:
      - .address_space:  global
        .offset:         0
        .size:           8
        .value_kind:     global_buffer
      - .address_space:  global
        .offset:         8
        .size:           8
        .value_kind:     global_buffer
      - .address_space:  global
        .offset:         16
        .size:           8
        .value_kind:     global_buffer
      - .offset:         24
        .size:           32
        .value_kind:     by_value
      - .address_space:  global
        .offset:         56
        .size:           8
        .value_kind:     global_buffer
      - .offset:         64
        .size:           4
        .value_kind:     by_value
      - .offset:         68
        .size:           12
        .value_kind:     by_value
      - .offset:         80
        .size:           4
        .value_kind:     by_value
      - .offset:         84
        .size:           4
        .value_kind:     by_value
      - .offset:         88
        .size:           4
        .value_kind:     by_value
      - .offset:         92
        .size:           12
        .value_kind:     by_value
      - .offset:         104
        .size:           4
        .value_kind:     by_value
      - .offset:         108
        .size:           4
        .value_kind:     by_value
      - .offset:         112
        .size:           4
        .value_kind:     by_value
      - .offset:         116
        .size:           12
        .value_kind:     by_value
      - .offset:         128
        .size:           4
        .value_kind:     by_value
      - .offset:         132
        .size:           4
        .value_kind:     by_value
      - .offset:         136
        .size:           4
        .value_kind:     by_value
      - .offset:         140
        .size:           4
        .value_kind:     by_value
    .group_segment_fixed_size: 0
    .kernarg_segment_align: 8
    .kernarg_segment_size: 144
    .language:       OpenCL C
    .language_version:
      - 2
      - 0
    .max_flat_workgroup_size: 1024
    .name:           _ZL13mul_mat_vec_fI6__halfS0_Li6ELi96ELb0ELb0EEvPKT_PKfPKi31ggml_cuda_mm_fusion_args_devicePfi15HIP_vector_typeIjLj3EEiiiSB_iiiSB_iiii
    .private_segment_fixed_size: 0
    .sgpr_count:     38
    .sgpr_spill_count: 0
    .symbol:         _ZL13mul_mat_vec_fI6__halfS0_Li6ELi96ELb0ELb0EEvPKT_PKfPKi31ggml_cuda_mm_fusion_args_devicePfi15HIP_vector_typeIjLj3EEiiiSB_iiiSB_iiii.kd
    .uniform_work_group_size: 1
    .uses_dynamic_stack: false
    .vgpr_count:     26
    .vgpr_spill_count: 0
    .wavefront_size: 32
    .workgroup_processor_mode: 1
  - .args:
      - .address_space:  global
        .offset:         0
        .size:           8
        .value_kind:     global_buffer
      - .address_space:  global
        .offset:         8
        .size:           8
        .value_kind:     global_buffer
      - .address_space:  global
        .offset:         16
        .size:           8
        .value_kind:     global_buffer
      - .offset:         24
        .size:           32
        .value_kind:     by_value
      - .address_space:  global
        .offset:         56
        .size:           8
        .value_kind:     global_buffer
      - .offset:         64
        .size:           4
        .value_kind:     by_value
      - .offset:         68
        .size:           12
        .value_kind:     by_value
      - .offset:         80
        .size:           4
        .value_kind:     by_value
      - .offset:         84
        .size:           4
        .value_kind:     by_value
      - .offset:         88
        .size:           4
        .value_kind:     by_value
      - .offset:         92
        .size:           12
        .value_kind:     by_value
      - .offset:         104
        .size:           4
        .value_kind:     by_value
      - .offset:         108
        .size:           4
        .value_kind:     by_value
      - .offset:         112
        .size:           4
        .value_kind:     by_value
      - .offset:         116
        .size:           12
        .value_kind:     by_value
      - .offset:         128
        .size:           4
        .value_kind:     by_value
      - .offset:         132
        .size:           4
        .value_kind:     by_value
      - .offset:         136
        .size:           4
        .value_kind:     by_value
      - .offset:         140
        .size:           4
        .value_kind:     by_value
    .group_segment_fixed_size: 0
    .kernarg_segment_align: 8
    .kernarg_segment_size: 144
    .language:       OpenCL C
    .language_version:
      - 2
      - 0
    .max_flat_workgroup_size: 1024
    .name:           _ZL13mul_mat_vec_fI6__halfS0_Li6ELi128ELb0ELb0EEvPKT_PKfPKi31ggml_cuda_mm_fusion_args_devicePfi15HIP_vector_typeIjLj3EEiiiSB_iiiSB_iiii
    .private_segment_fixed_size: 0
    .sgpr_count:     38
    .sgpr_spill_count: 0
    .symbol:         _ZL13mul_mat_vec_fI6__halfS0_Li6ELi128ELb0ELb0EEvPKT_PKfPKi31ggml_cuda_mm_fusion_args_devicePfi15HIP_vector_typeIjLj3EEiiiSB_iiiSB_iiii.kd
    .uniform_work_group_size: 1
    .uses_dynamic_stack: false
    .vgpr_count:     26
    .vgpr_spill_count: 0
    .wavefront_size: 32
    .workgroup_processor_mode: 1
  - .args:
      - .address_space:  global
        .offset:         0
        .size:           8
        .value_kind:     global_buffer
      - .address_space:  global
        .offset:         8
        .size:           8
        .value_kind:     global_buffer
      - .address_space:  global
        .offset:         16
        .size:           8
        .value_kind:     global_buffer
      - .offset:         24
        .size:           32
        .value_kind:     by_value
      - .address_space:  global
        .offset:         56
        .size:           8
        .value_kind:     global_buffer
      - .offset:         64
        .size:           4
        .value_kind:     by_value
      - .offset:         68
        .size:           12
        .value_kind:     by_value
      - .offset:         80
        .size:           4
        .value_kind:     by_value
      - .offset:         84
        .size:           4
        .value_kind:     by_value
      - .offset:         88
        .size:           4
        .value_kind:     by_value
      - .offset:         92
        .size:           12
        .value_kind:     by_value
      - .offset:         104
        .size:           4
        .value_kind:     by_value
      - .offset:         108
        .size:           4
        .value_kind:     by_value
      - .offset:         112
        .size:           4
        .value_kind:     by_value
      - .offset:         116
        .size:           12
        .value_kind:     by_value
      - .offset:         128
        .size:           4
        .value_kind:     by_value
      - .offset:         132
        .size:           4
        .value_kind:     by_value
      - .offset:         136
        .size:           4
        .value_kind:     by_value
      - .offset:         140
        .size:           4
        .value_kind:     by_value
    .group_segment_fixed_size: 0
    .kernarg_segment_align: 8
    .kernarg_segment_size: 144
    .language:       OpenCL C
    .language_version:
      - 2
      - 0
    .max_flat_workgroup_size: 1024
    .name:           _ZL13mul_mat_vec_fI6__halfS0_Li6ELi160ELb0ELb0EEvPKT_PKfPKi31ggml_cuda_mm_fusion_args_devicePfi15HIP_vector_typeIjLj3EEiiiSB_iiiSB_iiii
    .private_segment_fixed_size: 0
    .sgpr_count:     38
    .sgpr_spill_count: 0
    .symbol:         _ZL13mul_mat_vec_fI6__halfS0_Li6ELi160ELb0ELb0EEvPKT_PKfPKi31ggml_cuda_mm_fusion_args_devicePfi15HIP_vector_typeIjLj3EEiiiSB_iiiSB_iiii.kd
    .uniform_work_group_size: 1
    .uses_dynamic_stack: false
    .vgpr_count:     26
    .vgpr_spill_count: 0
    .wavefront_size: 32
    .workgroup_processor_mode: 1
  - .args:
      - .address_space:  global
        .offset:         0
        .size:           8
        .value_kind:     global_buffer
      - .address_space:  global
        .offset:         8
        .size:           8
        .value_kind:     global_buffer
      - .address_space:  global
        .offset:         16
        .size:           8
        .value_kind:     global_buffer
      - .offset:         24
        .size:           32
        .value_kind:     by_value
      - .address_space:  global
        .offset:         56
        .size:           8
        .value_kind:     global_buffer
      - .offset:         64
        .size:           4
        .value_kind:     by_value
      - .offset:         68
        .size:           12
        .value_kind:     by_value
      - .offset:         80
        .size:           4
        .value_kind:     by_value
      - .offset:         84
        .size:           4
        .value_kind:     by_value
      - .offset:         88
        .size:           4
        .value_kind:     by_value
      - .offset:         92
        .size:           12
        .value_kind:     by_value
      - .offset:         104
        .size:           4
        .value_kind:     by_value
      - .offset:         108
        .size:           4
        .value_kind:     by_value
      - .offset:         112
        .size:           4
        .value_kind:     by_value
      - .offset:         116
        .size:           12
        .value_kind:     by_value
      - .offset:         128
        .size:           4
        .value_kind:     by_value
      - .offset:         132
        .size:           4
        .value_kind:     by_value
      - .offset:         136
        .size:           4
        .value_kind:     by_value
      - .offset:         140
        .size:           4
        .value_kind:     by_value
    .group_segment_fixed_size: 0
    .kernarg_segment_align: 8
    .kernarg_segment_size: 144
    .language:       OpenCL C
    .language_version:
      - 2
      - 0
    .max_flat_workgroup_size: 1024
    .name:           _ZL13mul_mat_vec_fI6__halfS0_Li6ELi192ELb0ELb0EEvPKT_PKfPKi31ggml_cuda_mm_fusion_args_devicePfi15HIP_vector_typeIjLj3EEiiiSB_iiiSB_iiii
    .private_segment_fixed_size: 0
    .sgpr_count:     38
    .sgpr_spill_count: 0
    .symbol:         _ZL13mul_mat_vec_fI6__halfS0_Li6ELi192ELb0ELb0EEvPKT_PKfPKi31ggml_cuda_mm_fusion_args_devicePfi15HIP_vector_typeIjLj3EEiiiSB_iiiSB_iiii.kd
    .uniform_work_group_size: 1
    .uses_dynamic_stack: false
    .vgpr_count:     26
    .vgpr_spill_count: 0
    .wavefront_size: 32
    .workgroup_processor_mode: 1
  - .args:
      - .address_space:  global
        .offset:         0
        .size:           8
        .value_kind:     global_buffer
      - .address_space:  global
        .offset:         8
        .size:           8
        .value_kind:     global_buffer
      - .address_space:  global
        .offset:         16
        .size:           8
        .value_kind:     global_buffer
      - .offset:         24
        .size:           32
        .value_kind:     by_value
      - .address_space:  global
        .offset:         56
        .size:           8
        .value_kind:     global_buffer
      - .offset:         64
        .size:           4
        .value_kind:     by_value
      - .offset:         68
        .size:           12
        .value_kind:     by_value
      - .offset:         80
        .size:           4
        .value_kind:     by_value
      - .offset:         84
        .size:           4
        .value_kind:     by_value
      - .offset:         88
        .size:           4
        .value_kind:     by_value
      - .offset:         92
        .size:           12
        .value_kind:     by_value
      - .offset:         104
        .size:           4
        .value_kind:     by_value
      - .offset:         108
        .size:           4
        .value_kind:     by_value
      - .offset:         112
        .size:           4
        .value_kind:     by_value
      - .offset:         116
        .size:           12
        .value_kind:     by_value
      - .offset:         128
        .size:           4
        .value_kind:     by_value
      - .offset:         132
        .size:           4
        .value_kind:     by_value
      - .offset:         136
        .size:           4
        .value_kind:     by_value
      - .offset:         140
        .size:           4
        .value_kind:     by_value
    .group_segment_fixed_size: 0
    .kernarg_segment_align: 8
    .kernarg_segment_size: 144
    .language:       OpenCL C
    .language_version:
      - 2
      - 0
    .max_flat_workgroup_size: 1024
    .name:           _ZL13mul_mat_vec_fI6__halfS0_Li6ELi224ELb0ELb0EEvPKT_PKfPKi31ggml_cuda_mm_fusion_args_devicePfi15HIP_vector_typeIjLj3EEiiiSB_iiiSB_iiii
    .private_segment_fixed_size: 0
    .sgpr_count:     38
    .sgpr_spill_count: 0
    .symbol:         _ZL13mul_mat_vec_fI6__halfS0_Li6ELi224ELb0ELb0EEvPKT_PKfPKi31ggml_cuda_mm_fusion_args_devicePfi15HIP_vector_typeIjLj3EEiiiSB_iiiSB_iiii.kd
    .uniform_work_group_size: 1
    .uses_dynamic_stack: false
    .vgpr_count:     26
    .vgpr_spill_count: 0
    .wavefront_size: 32
    .workgroup_processor_mode: 1
  - .args:
      - .address_space:  global
        .offset:         0
        .size:           8
        .value_kind:     global_buffer
      - .address_space:  global
        .offset:         8
        .size:           8
        .value_kind:     global_buffer
      - .address_space:  global
        .offset:         16
        .size:           8
        .value_kind:     global_buffer
      - .offset:         24
        .size:           32
        .value_kind:     by_value
      - .address_space:  global
        .offset:         56
        .size:           8
        .value_kind:     global_buffer
      - .offset:         64
        .size:           4
        .value_kind:     by_value
      - .offset:         68
        .size:           12
        .value_kind:     by_value
      - .offset:         80
        .size:           4
        .value_kind:     by_value
      - .offset:         84
        .size:           4
        .value_kind:     by_value
      - .offset:         88
        .size:           4
        .value_kind:     by_value
      - .offset:         92
        .size:           12
        .value_kind:     by_value
      - .offset:         104
        .size:           4
        .value_kind:     by_value
      - .offset:         108
        .size:           4
        .value_kind:     by_value
      - .offset:         112
        .size:           4
        .value_kind:     by_value
      - .offset:         116
        .size:           12
        .value_kind:     by_value
      - .offset:         128
        .size:           4
        .value_kind:     by_value
      - .offset:         132
        .size:           4
        .value_kind:     by_value
      - .offset:         136
        .size:           4
        .value_kind:     by_value
      - .offset:         140
        .size:           4
        .value_kind:     by_value
    .group_segment_fixed_size: 0
    .kernarg_segment_align: 8
    .kernarg_segment_size: 144
    .language:       OpenCL C
    .language_version:
      - 2
      - 0
    .max_flat_workgroup_size: 1024
    .name:           _ZL13mul_mat_vec_fI6__halfS0_Li6ELi256ELb0ELb0EEvPKT_PKfPKi31ggml_cuda_mm_fusion_args_devicePfi15HIP_vector_typeIjLj3EEiiiSB_iiiSB_iiii
    .private_segment_fixed_size: 0
    .sgpr_count:     38
    .sgpr_spill_count: 0
    .symbol:         _ZL13mul_mat_vec_fI6__halfS0_Li6ELi256ELb0ELb0EEvPKT_PKfPKi31ggml_cuda_mm_fusion_args_devicePfi15HIP_vector_typeIjLj3EEiiiSB_iiiSB_iiii.kd
    .uniform_work_group_size: 1
    .uses_dynamic_stack: false
    .vgpr_count:     26
    .vgpr_spill_count: 0
    .wavefront_size: 32
    .workgroup_processor_mode: 1
  - .args:
      - .address_space:  global
        .offset:         0
        .size:           8
        .value_kind:     global_buffer
      - .address_space:  global
        .offset:         8
        .size:           8
        .value_kind:     global_buffer
      - .address_space:  global
        .offset:         16
        .size:           8
        .value_kind:     global_buffer
      - .offset:         24
        .size:           32
        .value_kind:     by_value
      - .address_space:  global
        .offset:         56
        .size:           8
        .value_kind:     global_buffer
      - .offset:         64
        .size:           4
        .value_kind:     by_value
      - .offset:         68
        .size:           12
        .value_kind:     by_value
      - .offset:         80
        .size:           4
        .value_kind:     by_value
      - .offset:         84
        .size:           4
        .value_kind:     by_value
      - .offset:         88
        .size:           4
        .value_kind:     by_value
      - .offset:         92
        .size:           12
        .value_kind:     by_value
      - .offset:         104
        .size:           4
        .value_kind:     by_value
      - .offset:         108
        .size:           4
        .value_kind:     by_value
      - .offset:         112
        .size:           4
        .value_kind:     by_value
      - .offset:         116
        .size:           12
        .value_kind:     by_value
      - .offset:         128
        .size:           4
        .value_kind:     by_value
      - .offset:         132
        .size:           4
        .value_kind:     by_value
      - .offset:         136
        .size:           4
        .value_kind:     by_value
      - .offset:         140
        .size:           4
        .value_kind:     by_value
    .group_segment_fixed_size: 0
    .kernarg_segment_align: 8
    .kernarg_segment_size: 144
    .language:       OpenCL C
    .language_version:
      - 2
      - 0
    .max_flat_workgroup_size: 1024
    .name:           _ZL13mul_mat_vec_fI6__halfS0_Li7ELi32ELb0ELb0EEvPKT_PKfPKi31ggml_cuda_mm_fusion_args_devicePfi15HIP_vector_typeIjLj3EEiiiSB_iiiSB_iiii
    .private_segment_fixed_size: 0
    .sgpr_count:     38
    .sgpr_spill_count: 0
    .symbol:         _ZL13mul_mat_vec_fI6__halfS0_Li7ELi32ELb0ELb0EEvPKT_PKfPKi31ggml_cuda_mm_fusion_args_devicePfi15HIP_vector_typeIjLj3EEiiiSB_iiiSB_iiii.kd
    .uniform_work_group_size: 1
    .uses_dynamic_stack: false
    .vgpr_count:     28
    .vgpr_spill_count: 0
    .wavefront_size: 32
    .workgroup_processor_mode: 1
  - .args:
      - .address_space:  global
        .offset:         0
        .size:           8
        .value_kind:     global_buffer
      - .address_space:  global
        .offset:         8
        .size:           8
        .value_kind:     global_buffer
      - .address_space:  global
        .offset:         16
        .size:           8
        .value_kind:     global_buffer
      - .offset:         24
        .size:           32
        .value_kind:     by_value
      - .address_space:  global
        .offset:         56
        .size:           8
        .value_kind:     global_buffer
      - .offset:         64
        .size:           4
        .value_kind:     by_value
      - .offset:         68
        .size:           12
        .value_kind:     by_value
      - .offset:         80
        .size:           4
        .value_kind:     by_value
      - .offset:         84
        .size:           4
        .value_kind:     by_value
      - .offset:         88
        .size:           4
        .value_kind:     by_value
      - .offset:         92
        .size:           12
        .value_kind:     by_value
      - .offset:         104
        .size:           4
        .value_kind:     by_value
      - .offset:         108
        .size:           4
        .value_kind:     by_value
      - .offset:         112
        .size:           4
        .value_kind:     by_value
      - .offset:         116
        .size:           12
        .value_kind:     by_value
      - .offset:         128
        .size:           4
        .value_kind:     by_value
      - .offset:         132
        .size:           4
        .value_kind:     by_value
      - .offset:         136
        .size:           4
        .value_kind:     by_value
      - .offset:         140
        .size:           4
        .value_kind:     by_value
    .group_segment_fixed_size: 0
    .kernarg_segment_align: 8
    .kernarg_segment_size: 144
    .language:       OpenCL C
    .language_version:
      - 2
      - 0
    .max_flat_workgroup_size: 1024
    .name:           _ZL13mul_mat_vec_fI6__halfS0_Li7ELi64ELb0ELb0EEvPKT_PKfPKi31ggml_cuda_mm_fusion_args_devicePfi15HIP_vector_typeIjLj3EEiiiSB_iiiSB_iiii
    .private_segment_fixed_size: 0
    .sgpr_count:     38
    .sgpr_spill_count: 0
    .symbol:         _ZL13mul_mat_vec_fI6__halfS0_Li7ELi64ELb0ELb0EEvPKT_PKfPKi31ggml_cuda_mm_fusion_args_devicePfi15HIP_vector_typeIjLj3EEiiiSB_iiiSB_iiii.kd
    .uniform_work_group_size: 1
    .uses_dynamic_stack: false
    .vgpr_count:     29
    .vgpr_spill_count: 0
    .wavefront_size: 32
    .workgroup_processor_mode: 1
  - .args:
      - .address_space:  global
        .offset:         0
        .size:           8
        .value_kind:     global_buffer
      - .address_space:  global
        .offset:         8
        .size:           8
        .value_kind:     global_buffer
      - .address_space:  global
        .offset:         16
        .size:           8
        .value_kind:     global_buffer
      - .offset:         24
        .size:           32
        .value_kind:     by_value
      - .address_space:  global
        .offset:         56
        .size:           8
        .value_kind:     global_buffer
      - .offset:         64
        .size:           4
        .value_kind:     by_value
      - .offset:         68
        .size:           12
        .value_kind:     by_value
      - .offset:         80
        .size:           4
        .value_kind:     by_value
      - .offset:         84
        .size:           4
        .value_kind:     by_value
      - .offset:         88
        .size:           4
        .value_kind:     by_value
      - .offset:         92
        .size:           12
        .value_kind:     by_value
      - .offset:         104
        .size:           4
        .value_kind:     by_value
      - .offset:         108
        .size:           4
        .value_kind:     by_value
      - .offset:         112
        .size:           4
        .value_kind:     by_value
      - .offset:         116
        .size:           12
        .value_kind:     by_value
      - .offset:         128
        .size:           4
        .value_kind:     by_value
      - .offset:         132
        .size:           4
        .value_kind:     by_value
      - .offset:         136
        .size:           4
        .value_kind:     by_value
      - .offset:         140
        .size:           4
        .value_kind:     by_value
    .group_segment_fixed_size: 0
    .kernarg_segment_align: 8
    .kernarg_segment_size: 144
    .language:       OpenCL C
    .language_version:
      - 2
      - 0
    .max_flat_workgroup_size: 1024
    .name:           _ZL13mul_mat_vec_fI6__halfS0_Li7ELi96ELb0ELb0EEvPKT_PKfPKi31ggml_cuda_mm_fusion_args_devicePfi15HIP_vector_typeIjLj3EEiiiSB_iiiSB_iiii
    .private_segment_fixed_size: 0
    .sgpr_count:     38
    .sgpr_spill_count: 0
    .symbol:         _ZL13mul_mat_vec_fI6__halfS0_Li7ELi96ELb0ELb0EEvPKT_PKfPKi31ggml_cuda_mm_fusion_args_devicePfi15HIP_vector_typeIjLj3EEiiiSB_iiiSB_iiii.kd
    .uniform_work_group_size: 1
    .uses_dynamic_stack: false
    .vgpr_count:     29
    .vgpr_spill_count: 0
    .wavefront_size: 32
    .workgroup_processor_mode: 1
  - .args:
      - .address_space:  global
        .offset:         0
        .size:           8
        .value_kind:     global_buffer
      - .address_space:  global
        .offset:         8
        .size:           8
        .value_kind:     global_buffer
      - .address_space:  global
        .offset:         16
        .size:           8
        .value_kind:     global_buffer
      - .offset:         24
        .size:           32
        .value_kind:     by_value
      - .address_space:  global
        .offset:         56
        .size:           8
        .value_kind:     global_buffer
      - .offset:         64
        .size:           4
        .value_kind:     by_value
      - .offset:         68
        .size:           12
        .value_kind:     by_value
      - .offset:         80
        .size:           4
        .value_kind:     by_value
      - .offset:         84
        .size:           4
        .value_kind:     by_value
      - .offset:         88
        .size:           4
        .value_kind:     by_value
      - .offset:         92
        .size:           12
        .value_kind:     by_value
      - .offset:         104
        .size:           4
        .value_kind:     by_value
      - .offset:         108
        .size:           4
        .value_kind:     by_value
      - .offset:         112
        .size:           4
        .value_kind:     by_value
      - .offset:         116
        .size:           12
        .value_kind:     by_value
      - .offset:         128
        .size:           4
        .value_kind:     by_value
      - .offset:         132
        .size:           4
        .value_kind:     by_value
      - .offset:         136
        .size:           4
        .value_kind:     by_value
      - .offset:         140
        .size:           4
        .value_kind:     by_value
    .group_segment_fixed_size: 0
    .kernarg_segment_align: 8
    .kernarg_segment_size: 144
    .language:       OpenCL C
    .language_version:
      - 2
      - 0
    .max_flat_workgroup_size: 1024
    .name:           _ZL13mul_mat_vec_fI6__halfS0_Li7ELi128ELb0ELb0EEvPKT_PKfPKi31ggml_cuda_mm_fusion_args_devicePfi15HIP_vector_typeIjLj3EEiiiSB_iiiSB_iiii
    .private_segment_fixed_size: 0
    .sgpr_count:     38
    .sgpr_spill_count: 0
    .symbol:         _ZL13mul_mat_vec_fI6__halfS0_Li7ELi128ELb0ELb0EEvPKT_PKfPKi31ggml_cuda_mm_fusion_args_devicePfi15HIP_vector_typeIjLj3EEiiiSB_iiiSB_iiii.kd
    .uniform_work_group_size: 1
    .uses_dynamic_stack: false
    .vgpr_count:     29
    .vgpr_spill_count: 0
    .wavefront_size: 32
    .workgroup_processor_mode: 1
  - .args:
      - .address_space:  global
        .offset:         0
        .size:           8
        .value_kind:     global_buffer
      - .address_space:  global
        .offset:         8
        .size:           8
        .value_kind:     global_buffer
      - .address_space:  global
        .offset:         16
        .size:           8
        .value_kind:     global_buffer
      - .offset:         24
        .size:           32
        .value_kind:     by_value
      - .address_space:  global
        .offset:         56
        .size:           8
        .value_kind:     global_buffer
      - .offset:         64
        .size:           4
        .value_kind:     by_value
      - .offset:         68
        .size:           12
        .value_kind:     by_value
      - .offset:         80
        .size:           4
        .value_kind:     by_value
      - .offset:         84
        .size:           4
        .value_kind:     by_value
      - .offset:         88
        .size:           4
        .value_kind:     by_value
      - .offset:         92
        .size:           12
        .value_kind:     by_value
      - .offset:         104
        .size:           4
        .value_kind:     by_value
      - .offset:         108
        .size:           4
        .value_kind:     by_value
      - .offset:         112
        .size:           4
        .value_kind:     by_value
      - .offset:         116
        .size:           12
        .value_kind:     by_value
      - .offset:         128
        .size:           4
        .value_kind:     by_value
      - .offset:         132
        .size:           4
        .value_kind:     by_value
      - .offset:         136
        .size:           4
        .value_kind:     by_value
      - .offset:         140
        .size:           4
        .value_kind:     by_value
    .group_segment_fixed_size: 0
    .kernarg_segment_align: 8
    .kernarg_segment_size: 144
    .language:       OpenCL C
    .language_version:
      - 2
      - 0
    .max_flat_workgroup_size: 1024
    .name:           _ZL13mul_mat_vec_fI6__halfS0_Li7ELi160ELb0ELb0EEvPKT_PKfPKi31ggml_cuda_mm_fusion_args_devicePfi15HIP_vector_typeIjLj3EEiiiSB_iiiSB_iiii
    .private_segment_fixed_size: 0
    .sgpr_count:     38
    .sgpr_spill_count: 0
    .symbol:         _ZL13mul_mat_vec_fI6__halfS0_Li7ELi160ELb0ELb0EEvPKT_PKfPKi31ggml_cuda_mm_fusion_args_devicePfi15HIP_vector_typeIjLj3EEiiiSB_iiiSB_iiii.kd
    .uniform_work_group_size: 1
    .uses_dynamic_stack: false
    .vgpr_count:     29
    .vgpr_spill_count: 0
    .wavefront_size: 32
    .workgroup_processor_mode: 1
  - .args:
      - .address_space:  global
        .offset:         0
        .size:           8
        .value_kind:     global_buffer
      - .address_space:  global
        .offset:         8
        .size:           8
        .value_kind:     global_buffer
      - .address_space:  global
        .offset:         16
        .size:           8
        .value_kind:     global_buffer
      - .offset:         24
        .size:           32
        .value_kind:     by_value
      - .address_space:  global
        .offset:         56
        .size:           8
        .value_kind:     global_buffer
      - .offset:         64
        .size:           4
        .value_kind:     by_value
      - .offset:         68
        .size:           12
        .value_kind:     by_value
      - .offset:         80
        .size:           4
        .value_kind:     by_value
      - .offset:         84
        .size:           4
        .value_kind:     by_value
      - .offset:         88
        .size:           4
        .value_kind:     by_value
      - .offset:         92
        .size:           12
        .value_kind:     by_value
      - .offset:         104
        .size:           4
        .value_kind:     by_value
      - .offset:         108
        .size:           4
        .value_kind:     by_value
      - .offset:         112
        .size:           4
        .value_kind:     by_value
      - .offset:         116
        .size:           12
        .value_kind:     by_value
      - .offset:         128
        .size:           4
        .value_kind:     by_value
      - .offset:         132
        .size:           4
        .value_kind:     by_value
      - .offset:         136
        .size:           4
        .value_kind:     by_value
      - .offset:         140
        .size:           4
        .value_kind:     by_value
    .group_segment_fixed_size: 0
    .kernarg_segment_align: 8
    .kernarg_segment_size: 144
    .language:       OpenCL C
    .language_version:
      - 2
      - 0
    .max_flat_workgroup_size: 1024
    .name:           _ZL13mul_mat_vec_fI6__halfS0_Li7ELi192ELb0ELb0EEvPKT_PKfPKi31ggml_cuda_mm_fusion_args_devicePfi15HIP_vector_typeIjLj3EEiiiSB_iiiSB_iiii
    .private_segment_fixed_size: 0
    .sgpr_count:     38
    .sgpr_spill_count: 0
    .symbol:         _ZL13mul_mat_vec_fI6__halfS0_Li7ELi192ELb0ELb0EEvPKT_PKfPKi31ggml_cuda_mm_fusion_args_devicePfi15HIP_vector_typeIjLj3EEiiiSB_iiiSB_iiii.kd
    .uniform_work_group_size: 1
    .uses_dynamic_stack: false
    .vgpr_count:     29
    .vgpr_spill_count: 0
    .wavefront_size: 32
    .workgroup_processor_mode: 1
  - .args:
      - .address_space:  global
        .offset:         0
        .size:           8
        .value_kind:     global_buffer
      - .address_space:  global
        .offset:         8
        .size:           8
        .value_kind:     global_buffer
      - .address_space:  global
        .offset:         16
        .size:           8
        .value_kind:     global_buffer
      - .offset:         24
        .size:           32
        .value_kind:     by_value
      - .address_space:  global
        .offset:         56
        .size:           8
        .value_kind:     global_buffer
      - .offset:         64
        .size:           4
        .value_kind:     by_value
      - .offset:         68
        .size:           12
        .value_kind:     by_value
      - .offset:         80
        .size:           4
        .value_kind:     by_value
      - .offset:         84
        .size:           4
        .value_kind:     by_value
      - .offset:         88
        .size:           4
        .value_kind:     by_value
      - .offset:         92
        .size:           12
        .value_kind:     by_value
      - .offset:         104
        .size:           4
        .value_kind:     by_value
      - .offset:         108
        .size:           4
        .value_kind:     by_value
      - .offset:         112
        .size:           4
        .value_kind:     by_value
      - .offset:         116
        .size:           12
        .value_kind:     by_value
      - .offset:         128
        .size:           4
        .value_kind:     by_value
      - .offset:         132
        .size:           4
        .value_kind:     by_value
      - .offset:         136
        .size:           4
        .value_kind:     by_value
      - .offset:         140
        .size:           4
        .value_kind:     by_value
    .group_segment_fixed_size: 0
    .kernarg_segment_align: 8
    .kernarg_segment_size: 144
    .language:       OpenCL C
    .language_version:
      - 2
      - 0
    .max_flat_workgroup_size: 1024
    .name:           _ZL13mul_mat_vec_fI6__halfS0_Li7ELi224ELb0ELb0EEvPKT_PKfPKi31ggml_cuda_mm_fusion_args_devicePfi15HIP_vector_typeIjLj3EEiiiSB_iiiSB_iiii
    .private_segment_fixed_size: 0
    .sgpr_count:     38
    .sgpr_spill_count: 0
    .symbol:         _ZL13mul_mat_vec_fI6__halfS0_Li7ELi224ELb0ELb0EEvPKT_PKfPKi31ggml_cuda_mm_fusion_args_devicePfi15HIP_vector_typeIjLj3EEiiiSB_iiiSB_iiii.kd
    .uniform_work_group_size: 1
    .uses_dynamic_stack: false
    .vgpr_count:     29
    .vgpr_spill_count: 0
    .wavefront_size: 32
    .workgroup_processor_mode: 1
  - .args:
      - .address_space:  global
        .offset:         0
        .size:           8
        .value_kind:     global_buffer
      - .address_space:  global
        .offset:         8
        .size:           8
        .value_kind:     global_buffer
      - .address_space:  global
        .offset:         16
        .size:           8
        .value_kind:     global_buffer
      - .offset:         24
        .size:           32
        .value_kind:     by_value
      - .address_space:  global
        .offset:         56
        .size:           8
        .value_kind:     global_buffer
      - .offset:         64
        .size:           4
        .value_kind:     by_value
      - .offset:         68
        .size:           12
        .value_kind:     by_value
      - .offset:         80
        .size:           4
        .value_kind:     by_value
      - .offset:         84
        .size:           4
        .value_kind:     by_value
      - .offset:         88
        .size:           4
        .value_kind:     by_value
      - .offset:         92
        .size:           12
        .value_kind:     by_value
      - .offset:         104
        .size:           4
        .value_kind:     by_value
      - .offset:         108
        .size:           4
        .value_kind:     by_value
      - .offset:         112
        .size:           4
        .value_kind:     by_value
      - .offset:         116
        .size:           12
        .value_kind:     by_value
      - .offset:         128
        .size:           4
        .value_kind:     by_value
      - .offset:         132
        .size:           4
        .value_kind:     by_value
      - .offset:         136
        .size:           4
        .value_kind:     by_value
      - .offset:         140
        .size:           4
        .value_kind:     by_value
    .group_segment_fixed_size: 0
    .kernarg_segment_align: 8
    .kernarg_segment_size: 144
    .language:       OpenCL C
    .language_version:
      - 2
      - 0
    .max_flat_workgroup_size: 1024
    .name:           _ZL13mul_mat_vec_fI6__halfS0_Li7ELi256ELb0ELb0EEvPKT_PKfPKi31ggml_cuda_mm_fusion_args_devicePfi15HIP_vector_typeIjLj3EEiiiSB_iiiSB_iiii
    .private_segment_fixed_size: 0
    .sgpr_count:     38
    .sgpr_spill_count: 0
    .symbol:         _ZL13mul_mat_vec_fI6__halfS0_Li7ELi256ELb0ELb0EEvPKT_PKfPKi31ggml_cuda_mm_fusion_args_devicePfi15HIP_vector_typeIjLj3EEiiiSB_iiiSB_iiii.kd
    .uniform_work_group_size: 1
    .uses_dynamic_stack: false
    .vgpr_count:     29
    .vgpr_spill_count: 0
    .wavefront_size: 32
    .workgroup_processor_mode: 1
  - .args:
      - .address_space:  global
        .offset:         0
        .size:           8
        .value_kind:     global_buffer
      - .address_space:  global
        .offset:         8
        .size:           8
        .value_kind:     global_buffer
      - .address_space:  global
        .offset:         16
        .size:           8
        .value_kind:     global_buffer
      - .offset:         24
        .size:           32
        .value_kind:     by_value
      - .address_space:  global
        .offset:         56
        .size:           8
        .value_kind:     global_buffer
      - .offset:         64
        .size:           4
        .value_kind:     by_value
      - .offset:         68
        .size:           12
        .value_kind:     by_value
      - .offset:         80
        .size:           4
        .value_kind:     by_value
      - .offset:         84
        .size:           4
        .value_kind:     by_value
      - .offset:         88
        .size:           4
        .value_kind:     by_value
      - .offset:         92
        .size:           12
        .value_kind:     by_value
      - .offset:         104
        .size:           4
        .value_kind:     by_value
      - .offset:         108
        .size:           4
        .value_kind:     by_value
      - .offset:         112
        .size:           4
        .value_kind:     by_value
      - .offset:         116
        .size:           12
        .value_kind:     by_value
      - .offset:         128
        .size:           4
        .value_kind:     by_value
      - .offset:         132
        .size:           4
        .value_kind:     by_value
      - .offset:         136
        .size:           4
        .value_kind:     by_value
      - .offset:         140
        .size:           4
        .value_kind:     by_value
    .group_segment_fixed_size: 0
    .kernarg_segment_align: 8
    .kernarg_segment_size: 144
    .language:       OpenCL C
    .language_version:
      - 2
      - 0
    .max_flat_workgroup_size: 1024
    .name:           _ZL13mul_mat_vec_fI6__halfS0_Li8ELi32ELb0ELb0EEvPKT_PKfPKi31ggml_cuda_mm_fusion_args_devicePfi15HIP_vector_typeIjLj3EEiiiSB_iiiSB_iiii
    .private_segment_fixed_size: 0
    .sgpr_count:     38
    .sgpr_spill_count: 0
    .symbol:         _ZL13mul_mat_vec_fI6__halfS0_Li8ELi32ELb0ELb0EEvPKT_PKfPKi31ggml_cuda_mm_fusion_args_devicePfi15HIP_vector_typeIjLj3EEiiiSB_iiiSB_iiii.kd
    .uniform_work_group_size: 1
    .uses_dynamic_stack: false
    .vgpr_count:     31
    .vgpr_spill_count: 0
    .wavefront_size: 32
    .workgroup_processor_mode: 1
  - .args:
      - .address_space:  global
        .offset:         0
        .size:           8
        .value_kind:     global_buffer
      - .address_space:  global
        .offset:         8
        .size:           8
        .value_kind:     global_buffer
      - .address_space:  global
        .offset:         16
        .size:           8
        .value_kind:     global_buffer
      - .offset:         24
        .size:           32
        .value_kind:     by_value
      - .address_space:  global
        .offset:         56
        .size:           8
        .value_kind:     global_buffer
      - .offset:         64
        .size:           4
        .value_kind:     by_value
      - .offset:         68
        .size:           12
        .value_kind:     by_value
      - .offset:         80
        .size:           4
        .value_kind:     by_value
      - .offset:         84
        .size:           4
        .value_kind:     by_value
      - .offset:         88
        .size:           4
        .value_kind:     by_value
      - .offset:         92
        .size:           12
        .value_kind:     by_value
      - .offset:         104
        .size:           4
        .value_kind:     by_value
      - .offset:         108
        .size:           4
        .value_kind:     by_value
      - .offset:         112
        .size:           4
        .value_kind:     by_value
      - .offset:         116
        .size:           12
        .value_kind:     by_value
      - .offset:         128
        .size:           4
        .value_kind:     by_value
      - .offset:         132
        .size:           4
        .value_kind:     by_value
      - .offset:         136
        .size:           4
        .value_kind:     by_value
      - .offset:         140
        .size:           4
        .value_kind:     by_value
    .group_segment_fixed_size: 0
    .kernarg_segment_align: 8
    .kernarg_segment_size: 144
    .language:       OpenCL C
    .language_version:
      - 2
      - 0
    .max_flat_workgroup_size: 1024
    .name:           _ZL13mul_mat_vec_fI6__halfS0_Li8ELi64ELb0ELb0EEvPKT_PKfPKi31ggml_cuda_mm_fusion_args_devicePfi15HIP_vector_typeIjLj3EEiiiSB_iiiSB_iiii
    .private_segment_fixed_size: 0
    .sgpr_count:     40
    .sgpr_spill_count: 0
    .symbol:         _ZL13mul_mat_vec_fI6__halfS0_Li8ELi64ELb0ELb0EEvPKT_PKfPKi31ggml_cuda_mm_fusion_args_devicePfi15HIP_vector_typeIjLj3EEiiiSB_iiiSB_iiii.kd
    .uniform_work_group_size: 1
    .uses_dynamic_stack: false
    .vgpr_count:     32
    .vgpr_spill_count: 0
    .wavefront_size: 32
    .workgroup_processor_mode: 1
  - .args:
      - .address_space:  global
        .offset:         0
        .size:           8
        .value_kind:     global_buffer
      - .address_space:  global
        .offset:         8
        .size:           8
        .value_kind:     global_buffer
      - .address_space:  global
        .offset:         16
        .size:           8
        .value_kind:     global_buffer
      - .offset:         24
        .size:           32
        .value_kind:     by_value
      - .address_space:  global
        .offset:         56
        .size:           8
        .value_kind:     global_buffer
      - .offset:         64
        .size:           4
        .value_kind:     by_value
      - .offset:         68
        .size:           12
        .value_kind:     by_value
      - .offset:         80
        .size:           4
        .value_kind:     by_value
      - .offset:         84
        .size:           4
        .value_kind:     by_value
      - .offset:         88
        .size:           4
        .value_kind:     by_value
      - .offset:         92
        .size:           12
        .value_kind:     by_value
      - .offset:         104
        .size:           4
        .value_kind:     by_value
      - .offset:         108
        .size:           4
        .value_kind:     by_value
      - .offset:         112
        .size:           4
        .value_kind:     by_value
      - .offset:         116
        .size:           12
        .value_kind:     by_value
      - .offset:         128
        .size:           4
        .value_kind:     by_value
      - .offset:         132
        .size:           4
        .value_kind:     by_value
      - .offset:         136
        .size:           4
        .value_kind:     by_value
      - .offset:         140
        .size:           4
        .value_kind:     by_value
    .group_segment_fixed_size: 0
    .kernarg_segment_align: 8
    .kernarg_segment_size: 144
    .language:       OpenCL C
    .language_version:
      - 2
      - 0
    .max_flat_workgroup_size: 1024
    .name:           _ZL13mul_mat_vec_fI6__halfS0_Li8ELi96ELb0ELb0EEvPKT_PKfPKi31ggml_cuda_mm_fusion_args_devicePfi15HIP_vector_typeIjLj3EEiiiSB_iiiSB_iiii
    .private_segment_fixed_size: 0
    .sgpr_count:     40
    .sgpr_spill_count: 0
    .symbol:         _ZL13mul_mat_vec_fI6__halfS0_Li8ELi96ELb0ELb0EEvPKT_PKfPKi31ggml_cuda_mm_fusion_args_devicePfi15HIP_vector_typeIjLj3EEiiiSB_iiiSB_iiii.kd
    .uniform_work_group_size: 1
    .uses_dynamic_stack: false
    .vgpr_count:     32
    .vgpr_spill_count: 0
    .wavefront_size: 32
    .workgroup_processor_mode: 1
  - .args:
      - .address_space:  global
        .offset:         0
        .size:           8
        .value_kind:     global_buffer
      - .address_space:  global
        .offset:         8
        .size:           8
        .value_kind:     global_buffer
      - .address_space:  global
        .offset:         16
        .size:           8
        .value_kind:     global_buffer
      - .offset:         24
        .size:           32
        .value_kind:     by_value
      - .address_space:  global
        .offset:         56
        .size:           8
        .value_kind:     global_buffer
      - .offset:         64
        .size:           4
        .value_kind:     by_value
      - .offset:         68
        .size:           12
        .value_kind:     by_value
      - .offset:         80
        .size:           4
        .value_kind:     by_value
      - .offset:         84
        .size:           4
        .value_kind:     by_value
      - .offset:         88
        .size:           4
        .value_kind:     by_value
      - .offset:         92
        .size:           12
        .value_kind:     by_value
      - .offset:         104
        .size:           4
        .value_kind:     by_value
      - .offset:         108
        .size:           4
        .value_kind:     by_value
      - .offset:         112
        .size:           4
        .value_kind:     by_value
      - .offset:         116
        .size:           12
        .value_kind:     by_value
      - .offset:         128
        .size:           4
        .value_kind:     by_value
      - .offset:         132
        .size:           4
        .value_kind:     by_value
      - .offset:         136
        .size:           4
        .value_kind:     by_value
      - .offset:         140
        .size:           4
        .value_kind:     by_value
    .group_segment_fixed_size: 0
    .kernarg_segment_align: 8
    .kernarg_segment_size: 144
    .language:       OpenCL C
    .language_version:
      - 2
      - 0
    .max_flat_workgroup_size: 1024
    .name:           _ZL13mul_mat_vec_fI6__halfS0_Li8ELi128ELb0ELb0EEvPKT_PKfPKi31ggml_cuda_mm_fusion_args_devicePfi15HIP_vector_typeIjLj3EEiiiSB_iiiSB_iiii
    .private_segment_fixed_size: 0
    .sgpr_count:     40
    .sgpr_spill_count: 0
    .symbol:         _ZL13mul_mat_vec_fI6__halfS0_Li8ELi128ELb0ELb0EEvPKT_PKfPKi31ggml_cuda_mm_fusion_args_devicePfi15HIP_vector_typeIjLj3EEiiiSB_iiiSB_iiii.kd
    .uniform_work_group_size: 1
    .uses_dynamic_stack: false
    .vgpr_count:     32
    .vgpr_spill_count: 0
    .wavefront_size: 32
    .workgroup_processor_mode: 1
  - .args:
      - .address_space:  global
        .offset:         0
        .size:           8
        .value_kind:     global_buffer
      - .address_space:  global
        .offset:         8
        .size:           8
        .value_kind:     global_buffer
      - .address_space:  global
        .offset:         16
        .size:           8
        .value_kind:     global_buffer
      - .offset:         24
        .size:           32
        .value_kind:     by_value
      - .address_space:  global
        .offset:         56
        .size:           8
        .value_kind:     global_buffer
      - .offset:         64
        .size:           4
        .value_kind:     by_value
      - .offset:         68
        .size:           12
        .value_kind:     by_value
      - .offset:         80
        .size:           4
        .value_kind:     by_value
      - .offset:         84
        .size:           4
        .value_kind:     by_value
      - .offset:         88
        .size:           4
        .value_kind:     by_value
      - .offset:         92
        .size:           12
        .value_kind:     by_value
      - .offset:         104
        .size:           4
        .value_kind:     by_value
      - .offset:         108
        .size:           4
        .value_kind:     by_value
      - .offset:         112
        .size:           4
        .value_kind:     by_value
      - .offset:         116
        .size:           12
        .value_kind:     by_value
      - .offset:         128
        .size:           4
        .value_kind:     by_value
      - .offset:         132
        .size:           4
        .value_kind:     by_value
      - .offset:         136
        .size:           4
        .value_kind:     by_value
      - .offset:         140
        .size:           4
        .value_kind:     by_value
    .group_segment_fixed_size: 0
    .kernarg_segment_align: 8
    .kernarg_segment_size: 144
    .language:       OpenCL C
    .language_version:
      - 2
      - 0
    .max_flat_workgroup_size: 1024
    .name:           _ZL13mul_mat_vec_fI6__halfS0_Li8ELi160ELb0ELb0EEvPKT_PKfPKi31ggml_cuda_mm_fusion_args_devicePfi15HIP_vector_typeIjLj3EEiiiSB_iiiSB_iiii
    .private_segment_fixed_size: 0
    .sgpr_count:     40
    .sgpr_spill_count: 0
    .symbol:         _ZL13mul_mat_vec_fI6__halfS0_Li8ELi160ELb0ELb0EEvPKT_PKfPKi31ggml_cuda_mm_fusion_args_devicePfi15HIP_vector_typeIjLj3EEiiiSB_iiiSB_iiii.kd
    .uniform_work_group_size: 1
    .uses_dynamic_stack: false
    .vgpr_count:     32
    .vgpr_spill_count: 0
    .wavefront_size: 32
    .workgroup_processor_mode: 1
  - .args:
      - .address_space:  global
        .offset:         0
        .size:           8
        .value_kind:     global_buffer
      - .address_space:  global
        .offset:         8
        .size:           8
        .value_kind:     global_buffer
      - .address_space:  global
        .offset:         16
        .size:           8
        .value_kind:     global_buffer
      - .offset:         24
        .size:           32
        .value_kind:     by_value
      - .address_space:  global
        .offset:         56
        .size:           8
        .value_kind:     global_buffer
      - .offset:         64
        .size:           4
        .value_kind:     by_value
      - .offset:         68
        .size:           12
        .value_kind:     by_value
      - .offset:         80
        .size:           4
        .value_kind:     by_value
      - .offset:         84
        .size:           4
        .value_kind:     by_value
      - .offset:         88
        .size:           4
        .value_kind:     by_value
      - .offset:         92
        .size:           12
        .value_kind:     by_value
      - .offset:         104
        .size:           4
        .value_kind:     by_value
      - .offset:         108
        .size:           4
        .value_kind:     by_value
      - .offset:         112
        .size:           4
        .value_kind:     by_value
      - .offset:         116
        .size:           12
        .value_kind:     by_value
      - .offset:         128
        .size:           4
        .value_kind:     by_value
      - .offset:         132
        .size:           4
        .value_kind:     by_value
      - .offset:         136
        .size:           4
        .value_kind:     by_value
      - .offset:         140
        .size:           4
        .value_kind:     by_value
    .group_segment_fixed_size: 0
    .kernarg_segment_align: 8
    .kernarg_segment_size: 144
    .language:       OpenCL C
    .language_version:
      - 2
      - 0
    .max_flat_workgroup_size: 1024
    .name:           _ZL13mul_mat_vec_fI6__halfS0_Li8ELi192ELb0ELb0EEvPKT_PKfPKi31ggml_cuda_mm_fusion_args_devicePfi15HIP_vector_typeIjLj3EEiiiSB_iiiSB_iiii
    .private_segment_fixed_size: 0
    .sgpr_count:     40
    .sgpr_spill_count: 0
    .symbol:         _ZL13mul_mat_vec_fI6__halfS0_Li8ELi192ELb0ELb0EEvPKT_PKfPKi31ggml_cuda_mm_fusion_args_devicePfi15HIP_vector_typeIjLj3EEiiiSB_iiiSB_iiii.kd
    .uniform_work_group_size: 1
    .uses_dynamic_stack: false
    .vgpr_count:     32
    .vgpr_spill_count: 0
    .wavefront_size: 32
    .workgroup_processor_mode: 1
  - .args:
      - .address_space:  global
        .offset:         0
        .size:           8
        .value_kind:     global_buffer
      - .address_space:  global
        .offset:         8
        .size:           8
        .value_kind:     global_buffer
      - .address_space:  global
        .offset:         16
        .size:           8
        .value_kind:     global_buffer
      - .offset:         24
        .size:           32
        .value_kind:     by_value
      - .address_space:  global
        .offset:         56
        .size:           8
        .value_kind:     global_buffer
      - .offset:         64
        .size:           4
        .value_kind:     by_value
      - .offset:         68
        .size:           12
        .value_kind:     by_value
      - .offset:         80
        .size:           4
        .value_kind:     by_value
      - .offset:         84
        .size:           4
        .value_kind:     by_value
      - .offset:         88
        .size:           4
        .value_kind:     by_value
      - .offset:         92
        .size:           12
        .value_kind:     by_value
      - .offset:         104
        .size:           4
        .value_kind:     by_value
      - .offset:         108
        .size:           4
        .value_kind:     by_value
      - .offset:         112
        .size:           4
        .value_kind:     by_value
      - .offset:         116
        .size:           12
        .value_kind:     by_value
      - .offset:         128
        .size:           4
        .value_kind:     by_value
      - .offset:         132
        .size:           4
        .value_kind:     by_value
      - .offset:         136
        .size:           4
        .value_kind:     by_value
      - .offset:         140
        .size:           4
        .value_kind:     by_value
    .group_segment_fixed_size: 0
    .kernarg_segment_align: 8
    .kernarg_segment_size: 144
    .language:       OpenCL C
    .language_version:
      - 2
      - 0
    .max_flat_workgroup_size: 1024
    .name:           _ZL13mul_mat_vec_fI6__halfS0_Li8ELi224ELb0ELb0EEvPKT_PKfPKi31ggml_cuda_mm_fusion_args_devicePfi15HIP_vector_typeIjLj3EEiiiSB_iiiSB_iiii
    .private_segment_fixed_size: 0
    .sgpr_count:     40
    .sgpr_spill_count: 0
    .symbol:         _ZL13mul_mat_vec_fI6__halfS0_Li8ELi224ELb0ELb0EEvPKT_PKfPKi31ggml_cuda_mm_fusion_args_devicePfi15HIP_vector_typeIjLj3EEiiiSB_iiiSB_iiii.kd
    .uniform_work_group_size: 1
    .uses_dynamic_stack: false
    .vgpr_count:     32
    .vgpr_spill_count: 0
    .wavefront_size: 32
    .workgroup_processor_mode: 1
  - .args:
      - .address_space:  global
        .offset:         0
        .size:           8
        .value_kind:     global_buffer
      - .address_space:  global
        .offset:         8
        .size:           8
        .value_kind:     global_buffer
      - .address_space:  global
        .offset:         16
        .size:           8
        .value_kind:     global_buffer
      - .offset:         24
        .size:           32
        .value_kind:     by_value
      - .address_space:  global
        .offset:         56
        .size:           8
        .value_kind:     global_buffer
      - .offset:         64
        .size:           4
        .value_kind:     by_value
      - .offset:         68
        .size:           12
        .value_kind:     by_value
      - .offset:         80
        .size:           4
        .value_kind:     by_value
      - .offset:         84
        .size:           4
        .value_kind:     by_value
      - .offset:         88
        .size:           4
        .value_kind:     by_value
      - .offset:         92
        .size:           12
        .value_kind:     by_value
      - .offset:         104
        .size:           4
        .value_kind:     by_value
      - .offset:         108
        .size:           4
        .value_kind:     by_value
      - .offset:         112
        .size:           4
        .value_kind:     by_value
      - .offset:         116
        .size:           12
        .value_kind:     by_value
      - .offset:         128
        .size:           4
        .value_kind:     by_value
      - .offset:         132
        .size:           4
        .value_kind:     by_value
      - .offset:         136
        .size:           4
        .value_kind:     by_value
      - .offset:         140
        .size:           4
        .value_kind:     by_value
    .group_segment_fixed_size: 0
    .kernarg_segment_align: 8
    .kernarg_segment_size: 144
    .language:       OpenCL C
    .language_version:
      - 2
      - 0
    .max_flat_workgroup_size: 1024
    .name:           _ZL13mul_mat_vec_fI6__halfS0_Li8ELi256ELb0ELb0EEvPKT_PKfPKi31ggml_cuda_mm_fusion_args_devicePfi15HIP_vector_typeIjLj3EEiiiSB_iiiSB_iiii
    .private_segment_fixed_size: 0
    .sgpr_count:     40
    .sgpr_spill_count: 0
    .symbol:         _ZL13mul_mat_vec_fI6__halfS0_Li8ELi256ELb0ELb0EEvPKT_PKfPKi31ggml_cuda_mm_fusion_args_devicePfi15HIP_vector_typeIjLj3EEiiiSB_iiiSB_iiii.kd
    .uniform_work_group_size: 1
    .uses_dynamic_stack: false
    .vgpr_count:     32
    .vgpr_spill_count: 0
    .wavefront_size: 32
    .workgroup_processor_mode: 1
  - .args:
      - .address_space:  global
        .offset:         0
        .size:           8
        .value_kind:     global_buffer
      - .address_space:  global
        .offset:         8
        .size:           8
        .value_kind:     global_buffer
      - .address_space:  global
        .offset:         16
        .size:           8
        .value_kind:     global_buffer
      - .offset:         24
        .size:           32
        .value_kind:     by_value
      - .address_space:  global
        .offset:         56
        .size:           8
        .value_kind:     global_buffer
      - .offset:         64
        .size:           4
        .value_kind:     by_value
      - .offset:         68
        .size:           12
        .value_kind:     by_value
      - .offset:         80
        .size:           4
        .value_kind:     by_value
      - .offset:         84
        .size:           4
        .value_kind:     by_value
      - .offset:         88
        .size:           4
        .value_kind:     by_value
      - .offset:         92
        .size:           12
        .value_kind:     by_value
      - .offset:         104
        .size:           4
        .value_kind:     by_value
      - .offset:         108
        .size:           4
        .value_kind:     by_value
      - .offset:         112
        .size:           4
        .value_kind:     by_value
      - .offset:         116
        .size:           12
        .value_kind:     by_value
      - .offset:         128
        .size:           4
        .value_kind:     by_value
      - .offset:         132
        .size:           4
        .value_kind:     by_value
      - .offset:         136
        .size:           4
        .value_kind:     by_value
      - .offset:         140
        .size:           4
        .value_kind:     by_value
    .group_segment_fixed_size: 0
    .kernarg_segment_align: 8
    .kernarg_segment_size: 144
    .language:       OpenCL C
    .language_version:
      - 2
      - 0
    .max_flat_workgroup_size: 1024
    .name:           _ZL13mul_mat_vec_fI6__halffLi1ELi32ELb1ELb1EEvPKT_PKfPKi31ggml_cuda_mm_fusion_args_devicePfi15HIP_vector_typeIjLj3EEiiiSB_iiiSB_iiii
    .private_segment_fixed_size: 0
    .sgpr_count:     42
    .sgpr_spill_count: 0
    .symbol:         _ZL13mul_mat_vec_fI6__halffLi1ELi32ELb1ELb1EEvPKT_PKfPKi31ggml_cuda_mm_fusion_args_devicePfi15HIP_vector_typeIjLj3EEiiiSB_iiiSB_iiii.kd
    .uniform_work_group_size: 1
    .uses_dynamic_stack: false
    .vgpr_count:     15
    .vgpr_spill_count: 0
    .wavefront_size: 32
    .workgroup_processor_mode: 1
  - .args:
      - .address_space:  global
        .offset:         0
        .size:           8
        .value_kind:     global_buffer
      - .address_space:  global
        .offset:         8
        .size:           8
        .value_kind:     global_buffer
      - .address_space:  global
        .offset:         16
        .size:           8
        .value_kind:     global_buffer
      - .offset:         24
        .size:           32
        .value_kind:     by_value
      - .address_space:  global
        .offset:         56
        .size:           8
        .value_kind:     global_buffer
      - .offset:         64
        .size:           4
        .value_kind:     by_value
      - .offset:         68
        .size:           12
        .value_kind:     by_value
      - .offset:         80
        .size:           4
        .value_kind:     by_value
      - .offset:         84
        .size:           4
        .value_kind:     by_value
      - .offset:         88
        .size:           4
        .value_kind:     by_value
      - .offset:         92
        .size:           12
        .value_kind:     by_value
      - .offset:         104
        .size:           4
        .value_kind:     by_value
      - .offset:         108
        .size:           4
        .value_kind:     by_value
      - .offset:         112
        .size:           4
        .value_kind:     by_value
      - .offset:         116
        .size:           12
        .value_kind:     by_value
      - .offset:         128
        .size:           4
        .value_kind:     by_value
      - .offset:         132
        .size:           4
        .value_kind:     by_value
      - .offset:         136
        .size:           4
        .value_kind:     by_value
      - .offset:         140
        .size:           4
        .value_kind:     by_value
    .group_segment_fixed_size: 0
    .kernarg_segment_align: 8
    .kernarg_segment_size: 144
    .language:       OpenCL C
    .language_version:
      - 2
      - 0
    .max_flat_workgroup_size: 1024
    .name:           _ZL13mul_mat_vec_fI6__halffLi1ELi32ELb0ELb1EEvPKT_PKfPKi31ggml_cuda_mm_fusion_args_devicePfi15HIP_vector_typeIjLj3EEiiiSB_iiiSB_iiii
    .private_segment_fixed_size: 0
    .sgpr_count:     26
    .sgpr_spill_count: 0
    .symbol:         _ZL13mul_mat_vec_fI6__halffLi1ELi32ELb0ELb1EEvPKT_PKfPKi31ggml_cuda_mm_fusion_args_devicePfi15HIP_vector_typeIjLj3EEiiiSB_iiiSB_iiii.kd
    .uniform_work_group_size: 1
    .uses_dynamic_stack: false
    .vgpr_count:     10
    .vgpr_spill_count: 0
    .wavefront_size: 32
    .workgroup_processor_mode: 1
  - .args:
      - .address_space:  global
        .offset:         0
        .size:           8
        .value_kind:     global_buffer
      - .address_space:  global
        .offset:         8
        .size:           8
        .value_kind:     global_buffer
      - .address_space:  global
        .offset:         16
        .size:           8
        .value_kind:     global_buffer
      - .offset:         24
        .size:           32
        .value_kind:     by_value
      - .address_space:  global
        .offset:         56
        .size:           8
        .value_kind:     global_buffer
      - .offset:         64
        .size:           4
        .value_kind:     by_value
      - .offset:         68
        .size:           12
        .value_kind:     by_value
      - .offset:         80
        .size:           4
        .value_kind:     by_value
      - .offset:         84
        .size:           4
        .value_kind:     by_value
      - .offset:         88
        .size:           4
        .value_kind:     by_value
      - .offset:         92
        .size:           12
        .value_kind:     by_value
      - .offset:         104
        .size:           4
        .value_kind:     by_value
      - .offset:         108
        .size:           4
        .value_kind:     by_value
      - .offset:         112
        .size:           4
        .value_kind:     by_value
      - .offset:         116
        .size:           12
        .value_kind:     by_value
      - .offset:         128
        .size:           4
        .value_kind:     by_value
      - .offset:         132
        .size:           4
        .value_kind:     by_value
      - .offset:         136
        .size:           4
        .value_kind:     by_value
      - .offset:         140
        .size:           4
        .value_kind:     by_value
    .group_segment_fixed_size: 0
    .kernarg_segment_align: 8
    .kernarg_segment_size: 144
    .language:       OpenCL C
    .language_version:
      - 2
      - 0
    .max_flat_workgroup_size: 1024
    .name:           _ZL13mul_mat_vec_fI6__halffLi1ELi64ELb1ELb1EEvPKT_PKfPKi31ggml_cuda_mm_fusion_args_devicePfi15HIP_vector_typeIjLj3EEiiiSB_iiiSB_iiii
    .private_segment_fixed_size: 0
    .sgpr_count:     42
    .sgpr_spill_count: 0
    .symbol:         _ZL13mul_mat_vec_fI6__halffLi1ELi64ELb1ELb1EEvPKT_PKfPKi31ggml_cuda_mm_fusion_args_devicePfi15HIP_vector_typeIjLj3EEiiiSB_iiiSB_iiii.kd
    .uniform_work_group_size: 1
    .uses_dynamic_stack: false
    .vgpr_count:     16
    .vgpr_spill_count: 0
    .wavefront_size: 32
    .workgroup_processor_mode: 1
  - .args:
      - .address_space:  global
        .offset:         0
        .size:           8
        .value_kind:     global_buffer
      - .address_space:  global
        .offset:         8
        .size:           8
        .value_kind:     global_buffer
      - .address_space:  global
        .offset:         16
        .size:           8
        .value_kind:     global_buffer
      - .offset:         24
        .size:           32
        .value_kind:     by_value
      - .address_space:  global
        .offset:         56
        .size:           8
        .value_kind:     global_buffer
      - .offset:         64
        .size:           4
        .value_kind:     by_value
      - .offset:         68
        .size:           12
        .value_kind:     by_value
      - .offset:         80
        .size:           4
        .value_kind:     by_value
      - .offset:         84
        .size:           4
        .value_kind:     by_value
      - .offset:         88
        .size:           4
        .value_kind:     by_value
      - .offset:         92
        .size:           12
        .value_kind:     by_value
      - .offset:         104
        .size:           4
        .value_kind:     by_value
      - .offset:         108
        .size:           4
        .value_kind:     by_value
      - .offset:         112
        .size:           4
        .value_kind:     by_value
      - .offset:         116
        .size:           12
        .value_kind:     by_value
      - .offset:         128
        .size:           4
        .value_kind:     by_value
      - .offset:         132
        .size:           4
        .value_kind:     by_value
      - .offset:         136
        .size:           4
        .value_kind:     by_value
      - .offset:         140
        .size:           4
        .value_kind:     by_value
    .group_segment_fixed_size: 0
    .kernarg_segment_align: 8
    .kernarg_segment_size: 144
    .language:       OpenCL C
    .language_version:
      - 2
      - 0
    .max_flat_workgroup_size: 1024
    .name:           _ZL13mul_mat_vec_fI6__halffLi1ELi64ELb0ELb1EEvPKT_PKfPKi31ggml_cuda_mm_fusion_args_devicePfi15HIP_vector_typeIjLj3EEiiiSB_iiiSB_iiii
    .private_segment_fixed_size: 0
    .sgpr_count:     30
    .sgpr_spill_count: 0
    .symbol:         _ZL13mul_mat_vec_fI6__halffLi1ELi64ELb0ELb1EEvPKT_PKfPKi31ggml_cuda_mm_fusion_args_devicePfi15HIP_vector_typeIjLj3EEiiiSB_iiiSB_iiii.kd
    .uniform_work_group_size: 1
    .uses_dynamic_stack: false
    .vgpr_count:     11
    .vgpr_spill_count: 0
    .wavefront_size: 32
    .workgroup_processor_mode: 1
  - .args:
      - .address_space:  global
        .offset:         0
        .size:           8
        .value_kind:     global_buffer
      - .address_space:  global
        .offset:         8
        .size:           8
        .value_kind:     global_buffer
      - .address_space:  global
        .offset:         16
        .size:           8
        .value_kind:     global_buffer
      - .offset:         24
        .size:           32
        .value_kind:     by_value
      - .address_space:  global
        .offset:         56
        .size:           8
        .value_kind:     global_buffer
      - .offset:         64
        .size:           4
        .value_kind:     by_value
      - .offset:         68
        .size:           12
        .value_kind:     by_value
      - .offset:         80
        .size:           4
        .value_kind:     by_value
      - .offset:         84
        .size:           4
        .value_kind:     by_value
      - .offset:         88
        .size:           4
        .value_kind:     by_value
      - .offset:         92
        .size:           12
        .value_kind:     by_value
      - .offset:         104
        .size:           4
        .value_kind:     by_value
      - .offset:         108
        .size:           4
        .value_kind:     by_value
      - .offset:         112
        .size:           4
        .value_kind:     by_value
      - .offset:         116
        .size:           12
        .value_kind:     by_value
      - .offset:         128
        .size:           4
        .value_kind:     by_value
      - .offset:         132
        .size:           4
        .value_kind:     by_value
      - .offset:         136
        .size:           4
        .value_kind:     by_value
      - .offset:         140
        .size:           4
        .value_kind:     by_value
    .group_segment_fixed_size: 0
    .kernarg_segment_align: 8
    .kernarg_segment_size: 144
    .language:       OpenCL C
    .language_version:
      - 2
      - 0
    .max_flat_workgroup_size: 1024
    .name:           _ZL13mul_mat_vec_fI6__halffLi1ELi96ELb1ELb1EEvPKT_PKfPKi31ggml_cuda_mm_fusion_args_devicePfi15HIP_vector_typeIjLj3EEiiiSB_iiiSB_iiii
    .private_segment_fixed_size: 0
    .sgpr_count:     42
    .sgpr_spill_count: 0
    .symbol:         _ZL13mul_mat_vec_fI6__halffLi1ELi96ELb1ELb1EEvPKT_PKfPKi31ggml_cuda_mm_fusion_args_devicePfi15HIP_vector_typeIjLj3EEiiiSB_iiiSB_iiii.kd
    .uniform_work_group_size: 1
    .uses_dynamic_stack: false
    .vgpr_count:     16
    .vgpr_spill_count: 0
    .wavefront_size: 32
    .workgroup_processor_mode: 1
  - .args:
      - .address_space:  global
        .offset:         0
        .size:           8
        .value_kind:     global_buffer
      - .address_space:  global
        .offset:         8
        .size:           8
        .value_kind:     global_buffer
      - .address_space:  global
        .offset:         16
        .size:           8
        .value_kind:     global_buffer
      - .offset:         24
        .size:           32
        .value_kind:     by_value
      - .address_space:  global
        .offset:         56
        .size:           8
        .value_kind:     global_buffer
      - .offset:         64
        .size:           4
        .value_kind:     by_value
      - .offset:         68
        .size:           12
        .value_kind:     by_value
      - .offset:         80
        .size:           4
        .value_kind:     by_value
      - .offset:         84
        .size:           4
        .value_kind:     by_value
      - .offset:         88
        .size:           4
        .value_kind:     by_value
      - .offset:         92
        .size:           12
        .value_kind:     by_value
      - .offset:         104
        .size:           4
        .value_kind:     by_value
      - .offset:         108
        .size:           4
        .value_kind:     by_value
      - .offset:         112
        .size:           4
        .value_kind:     by_value
      - .offset:         116
        .size:           12
        .value_kind:     by_value
      - .offset:         128
        .size:           4
        .value_kind:     by_value
      - .offset:         132
        .size:           4
        .value_kind:     by_value
      - .offset:         136
        .size:           4
        .value_kind:     by_value
      - .offset:         140
        .size:           4
        .value_kind:     by_value
    .group_segment_fixed_size: 0
    .kernarg_segment_align: 8
    .kernarg_segment_size: 144
    .language:       OpenCL C
    .language_version:
      - 2
      - 0
    .max_flat_workgroup_size: 1024
    .name:           _ZL13mul_mat_vec_fI6__halffLi1ELi96ELb0ELb1EEvPKT_PKfPKi31ggml_cuda_mm_fusion_args_devicePfi15HIP_vector_typeIjLj3EEiiiSB_iiiSB_iiii
    .private_segment_fixed_size: 0
    .sgpr_count:     30
    .sgpr_spill_count: 0
    .symbol:         _ZL13mul_mat_vec_fI6__halffLi1ELi96ELb0ELb1EEvPKT_PKfPKi31ggml_cuda_mm_fusion_args_devicePfi15HIP_vector_typeIjLj3EEiiiSB_iiiSB_iiii.kd
    .uniform_work_group_size: 1
    .uses_dynamic_stack: false
    .vgpr_count:     11
    .vgpr_spill_count: 0
    .wavefront_size: 32
    .workgroup_processor_mode: 1
  - .args:
      - .address_space:  global
        .offset:         0
        .size:           8
        .value_kind:     global_buffer
      - .address_space:  global
        .offset:         8
        .size:           8
        .value_kind:     global_buffer
      - .address_space:  global
        .offset:         16
        .size:           8
        .value_kind:     global_buffer
      - .offset:         24
        .size:           32
        .value_kind:     by_value
      - .address_space:  global
        .offset:         56
        .size:           8
        .value_kind:     global_buffer
      - .offset:         64
        .size:           4
        .value_kind:     by_value
      - .offset:         68
        .size:           12
        .value_kind:     by_value
      - .offset:         80
        .size:           4
        .value_kind:     by_value
      - .offset:         84
        .size:           4
        .value_kind:     by_value
      - .offset:         88
        .size:           4
        .value_kind:     by_value
      - .offset:         92
        .size:           12
        .value_kind:     by_value
      - .offset:         104
        .size:           4
        .value_kind:     by_value
      - .offset:         108
        .size:           4
        .value_kind:     by_value
      - .offset:         112
        .size:           4
        .value_kind:     by_value
      - .offset:         116
        .size:           12
        .value_kind:     by_value
      - .offset:         128
        .size:           4
        .value_kind:     by_value
      - .offset:         132
        .size:           4
        .value_kind:     by_value
      - .offset:         136
        .size:           4
        .value_kind:     by_value
      - .offset:         140
        .size:           4
        .value_kind:     by_value
    .group_segment_fixed_size: 0
    .kernarg_segment_align: 8
    .kernarg_segment_size: 144
    .language:       OpenCL C
    .language_version:
      - 2
      - 0
    .max_flat_workgroup_size: 1024
    .name:           _ZL13mul_mat_vec_fI6__halffLi1ELi128ELb1ELb1EEvPKT_PKfPKi31ggml_cuda_mm_fusion_args_devicePfi15HIP_vector_typeIjLj3EEiiiSB_iiiSB_iiii
    .private_segment_fixed_size: 0
    .sgpr_count:     42
    .sgpr_spill_count: 0
    .symbol:         _ZL13mul_mat_vec_fI6__halffLi1ELi128ELb1ELb1EEvPKT_PKfPKi31ggml_cuda_mm_fusion_args_devicePfi15HIP_vector_typeIjLj3EEiiiSB_iiiSB_iiii.kd
    .uniform_work_group_size: 1
    .uses_dynamic_stack: false
    .vgpr_count:     16
    .vgpr_spill_count: 0
    .wavefront_size: 32
    .workgroup_processor_mode: 1
  - .args:
      - .address_space:  global
        .offset:         0
        .size:           8
        .value_kind:     global_buffer
      - .address_space:  global
        .offset:         8
        .size:           8
        .value_kind:     global_buffer
      - .address_space:  global
        .offset:         16
        .size:           8
        .value_kind:     global_buffer
      - .offset:         24
        .size:           32
        .value_kind:     by_value
      - .address_space:  global
        .offset:         56
        .size:           8
        .value_kind:     global_buffer
      - .offset:         64
        .size:           4
        .value_kind:     by_value
      - .offset:         68
        .size:           12
        .value_kind:     by_value
      - .offset:         80
        .size:           4
        .value_kind:     by_value
      - .offset:         84
        .size:           4
        .value_kind:     by_value
      - .offset:         88
        .size:           4
        .value_kind:     by_value
      - .offset:         92
        .size:           12
        .value_kind:     by_value
      - .offset:         104
        .size:           4
        .value_kind:     by_value
      - .offset:         108
        .size:           4
        .value_kind:     by_value
      - .offset:         112
        .size:           4
        .value_kind:     by_value
      - .offset:         116
        .size:           12
        .value_kind:     by_value
      - .offset:         128
        .size:           4
        .value_kind:     by_value
      - .offset:         132
        .size:           4
        .value_kind:     by_value
      - .offset:         136
        .size:           4
        .value_kind:     by_value
      - .offset:         140
        .size:           4
        .value_kind:     by_value
    .group_segment_fixed_size: 0
    .kernarg_segment_align: 8
    .kernarg_segment_size: 144
    .language:       OpenCL C
    .language_version:
      - 2
      - 0
    .max_flat_workgroup_size: 1024
    .name:           _ZL13mul_mat_vec_fI6__halffLi1ELi128ELb0ELb1EEvPKT_PKfPKi31ggml_cuda_mm_fusion_args_devicePfi15HIP_vector_typeIjLj3EEiiiSB_iiiSB_iiii
    .private_segment_fixed_size: 0
    .sgpr_count:     30
    .sgpr_spill_count: 0
    .symbol:         _ZL13mul_mat_vec_fI6__halffLi1ELi128ELb0ELb1EEvPKT_PKfPKi31ggml_cuda_mm_fusion_args_devicePfi15HIP_vector_typeIjLj3EEiiiSB_iiiSB_iiii.kd
    .uniform_work_group_size: 1
    .uses_dynamic_stack: false
    .vgpr_count:     11
    .vgpr_spill_count: 0
    .wavefront_size: 32
    .workgroup_processor_mode: 1
  - .args:
      - .address_space:  global
        .offset:         0
        .size:           8
        .value_kind:     global_buffer
      - .address_space:  global
        .offset:         8
        .size:           8
        .value_kind:     global_buffer
      - .address_space:  global
        .offset:         16
        .size:           8
        .value_kind:     global_buffer
      - .offset:         24
        .size:           32
        .value_kind:     by_value
      - .address_space:  global
        .offset:         56
        .size:           8
        .value_kind:     global_buffer
      - .offset:         64
        .size:           4
        .value_kind:     by_value
      - .offset:         68
        .size:           12
        .value_kind:     by_value
      - .offset:         80
        .size:           4
        .value_kind:     by_value
      - .offset:         84
        .size:           4
        .value_kind:     by_value
      - .offset:         88
        .size:           4
        .value_kind:     by_value
      - .offset:         92
        .size:           12
        .value_kind:     by_value
      - .offset:         104
        .size:           4
        .value_kind:     by_value
      - .offset:         108
        .size:           4
        .value_kind:     by_value
      - .offset:         112
        .size:           4
        .value_kind:     by_value
      - .offset:         116
        .size:           12
        .value_kind:     by_value
      - .offset:         128
        .size:           4
        .value_kind:     by_value
      - .offset:         132
        .size:           4
        .value_kind:     by_value
      - .offset:         136
        .size:           4
        .value_kind:     by_value
      - .offset:         140
        .size:           4
        .value_kind:     by_value
    .group_segment_fixed_size: 0
    .kernarg_segment_align: 8
    .kernarg_segment_size: 144
    .language:       OpenCL C
    .language_version:
      - 2
      - 0
    .max_flat_workgroup_size: 1024
    .name:           _ZL13mul_mat_vec_fI6__halffLi1ELi160ELb1ELb1EEvPKT_PKfPKi31ggml_cuda_mm_fusion_args_devicePfi15HIP_vector_typeIjLj3EEiiiSB_iiiSB_iiii
    .private_segment_fixed_size: 0
    .sgpr_count:     42
    .sgpr_spill_count: 0
    .symbol:         _ZL13mul_mat_vec_fI6__halffLi1ELi160ELb1ELb1EEvPKT_PKfPKi31ggml_cuda_mm_fusion_args_devicePfi15HIP_vector_typeIjLj3EEiiiSB_iiiSB_iiii.kd
    .uniform_work_group_size: 1
    .uses_dynamic_stack: false
    .vgpr_count:     16
    .vgpr_spill_count: 0
    .wavefront_size: 32
    .workgroup_processor_mode: 1
  - .args:
      - .address_space:  global
        .offset:         0
        .size:           8
        .value_kind:     global_buffer
      - .address_space:  global
        .offset:         8
        .size:           8
        .value_kind:     global_buffer
      - .address_space:  global
        .offset:         16
        .size:           8
        .value_kind:     global_buffer
      - .offset:         24
        .size:           32
        .value_kind:     by_value
      - .address_space:  global
        .offset:         56
        .size:           8
        .value_kind:     global_buffer
      - .offset:         64
        .size:           4
        .value_kind:     by_value
      - .offset:         68
        .size:           12
        .value_kind:     by_value
      - .offset:         80
        .size:           4
        .value_kind:     by_value
      - .offset:         84
        .size:           4
        .value_kind:     by_value
      - .offset:         88
        .size:           4
        .value_kind:     by_value
      - .offset:         92
        .size:           12
        .value_kind:     by_value
      - .offset:         104
        .size:           4
        .value_kind:     by_value
      - .offset:         108
        .size:           4
        .value_kind:     by_value
      - .offset:         112
        .size:           4
        .value_kind:     by_value
      - .offset:         116
        .size:           12
        .value_kind:     by_value
      - .offset:         128
        .size:           4
        .value_kind:     by_value
      - .offset:         132
        .size:           4
        .value_kind:     by_value
      - .offset:         136
        .size:           4
        .value_kind:     by_value
      - .offset:         140
        .size:           4
        .value_kind:     by_value
    .group_segment_fixed_size: 0
    .kernarg_segment_align: 8
    .kernarg_segment_size: 144
    .language:       OpenCL C
    .language_version:
      - 2
      - 0
    .max_flat_workgroup_size: 1024
    .name:           _ZL13mul_mat_vec_fI6__halffLi1ELi160ELb0ELb1EEvPKT_PKfPKi31ggml_cuda_mm_fusion_args_devicePfi15HIP_vector_typeIjLj3EEiiiSB_iiiSB_iiii
    .private_segment_fixed_size: 0
    .sgpr_count:     30
    .sgpr_spill_count: 0
    .symbol:         _ZL13mul_mat_vec_fI6__halffLi1ELi160ELb0ELb1EEvPKT_PKfPKi31ggml_cuda_mm_fusion_args_devicePfi15HIP_vector_typeIjLj3EEiiiSB_iiiSB_iiii.kd
    .uniform_work_group_size: 1
    .uses_dynamic_stack: false
    .vgpr_count:     11
    .vgpr_spill_count: 0
    .wavefront_size: 32
    .workgroup_processor_mode: 1
  - .args:
      - .address_space:  global
        .offset:         0
        .size:           8
        .value_kind:     global_buffer
      - .address_space:  global
        .offset:         8
        .size:           8
        .value_kind:     global_buffer
      - .address_space:  global
        .offset:         16
        .size:           8
        .value_kind:     global_buffer
      - .offset:         24
        .size:           32
        .value_kind:     by_value
      - .address_space:  global
        .offset:         56
        .size:           8
        .value_kind:     global_buffer
      - .offset:         64
        .size:           4
        .value_kind:     by_value
      - .offset:         68
        .size:           12
        .value_kind:     by_value
      - .offset:         80
        .size:           4
        .value_kind:     by_value
      - .offset:         84
        .size:           4
        .value_kind:     by_value
      - .offset:         88
        .size:           4
        .value_kind:     by_value
      - .offset:         92
        .size:           12
        .value_kind:     by_value
      - .offset:         104
        .size:           4
        .value_kind:     by_value
      - .offset:         108
        .size:           4
        .value_kind:     by_value
      - .offset:         112
        .size:           4
        .value_kind:     by_value
      - .offset:         116
        .size:           12
        .value_kind:     by_value
      - .offset:         128
        .size:           4
        .value_kind:     by_value
      - .offset:         132
        .size:           4
        .value_kind:     by_value
      - .offset:         136
        .size:           4
        .value_kind:     by_value
      - .offset:         140
        .size:           4
        .value_kind:     by_value
    .group_segment_fixed_size: 0
    .kernarg_segment_align: 8
    .kernarg_segment_size: 144
    .language:       OpenCL C
    .language_version:
      - 2
      - 0
    .max_flat_workgroup_size: 1024
    .name:           _ZL13mul_mat_vec_fI6__halffLi1ELi192ELb1ELb1EEvPKT_PKfPKi31ggml_cuda_mm_fusion_args_devicePfi15HIP_vector_typeIjLj3EEiiiSB_iiiSB_iiii
    .private_segment_fixed_size: 0
    .sgpr_count:     42
    .sgpr_spill_count: 0
    .symbol:         _ZL13mul_mat_vec_fI6__halffLi1ELi192ELb1ELb1EEvPKT_PKfPKi31ggml_cuda_mm_fusion_args_devicePfi15HIP_vector_typeIjLj3EEiiiSB_iiiSB_iiii.kd
    .uniform_work_group_size: 1
    .uses_dynamic_stack: false
    .vgpr_count:     16
    .vgpr_spill_count: 0
    .wavefront_size: 32
    .workgroup_processor_mode: 1
  - .args:
      - .address_space:  global
        .offset:         0
        .size:           8
        .value_kind:     global_buffer
      - .address_space:  global
        .offset:         8
        .size:           8
        .value_kind:     global_buffer
      - .address_space:  global
        .offset:         16
        .size:           8
        .value_kind:     global_buffer
      - .offset:         24
        .size:           32
        .value_kind:     by_value
      - .address_space:  global
        .offset:         56
        .size:           8
        .value_kind:     global_buffer
      - .offset:         64
        .size:           4
        .value_kind:     by_value
      - .offset:         68
        .size:           12
        .value_kind:     by_value
      - .offset:         80
        .size:           4
        .value_kind:     by_value
      - .offset:         84
        .size:           4
        .value_kind:     by_value
      - .offset:         88
        .size:           4
        .value_kind:     by_value
      - .offset:         92
        .size:           12
        .value_kind:     by_value
      - .offset:         104
        .size:           4
        .value_kind:     by_value
      - .offset:         108
        .size:           4
        .value_kind:     by_value
      - .offset:         112
        .size:           4
        .value_kind:     by_value
      - .offset:         116
        .size:           12
        .value_kind:     by_value
      - .offset:         128
        .size:           4
        .value_kind:     by_value
      - .offset:         132
        .size:           4
        .value_kind:     by_value
      - .offset:         136
        .size:           4
        .value_kind:     by_value
      - .offset:         140
        .size:           4
        .value_kind:     by_value
    .group_segment_fixed_size: 0
    .kernarg_segment_align: 8
    .kernarg_segment_size: 144
    .language:       OpenCL C
    .language_version:
      - 2
      - 0
    .max_flat_workgroup_size: 1024
    .name:           _ZL13mul_mat_vec_fI6__halffLi1ELi192ELb0ELb1EEvPKT_PKfPKi31ggml_cuda_mm_fusion_args_devicePfi15HIP_vector_typeIjLj3EEiiiSB_iiiSB_iiii
    .private_segment_fixed_size: 0
    .sgpr_count:     30
    .sgpr_spill_count: 0
    .symbol:         _ZL13mul_mat_vec_fI6__halffLi1ELi192ELb0ELb1EEvPKT_PKfPKi31ggml_cuda_mm_fusion_args_devicePfi15HIP_vector_typeIjLj3EEiiiSB_iiiSB_iiii.kd
    .uniform_work_group_size: 1
    .uses_dynamic_stack: false
    .vgpr_count:     11
    .vgpr_spill_count: 0
    .wavefront_size: 32
    .workgroup_processor_mode: 1
  - .args:
      - .address_space:  global
        .offset:         0
        .size:           8
        .value_kind:     global_buffer
      - .address_space:  global
        .offset:         8
        .size:           8
        .value_kind:     global_buffer
      - .address_space:  global
        .offset:         16
        .size:           8
        .value_kind:     global_buffer
      - .offset:         24
        .size:           32
        .value_kind:     by_value
      - .address_space:  global
        .offset:         56
        .size:           8
        .value_kind:     global_buffer
      - .offset:         64
        .size:           4
        .value_kind:     by_value
      - .offset:         68
        .size:           12
        .value_kind:     by_value
      - .offset:         80
        .size:           4
        .value_kind:     by_value
      - .offset:         84
        .size:           4
        .value_kind:     by_value
      - .offset:         88
        .size:           4
        .value_kind:     by_value
      - .offset:         92
        .size:           12
        .value_kind:     by_value
      - .offset:         104
        .size:           4
        .value_kind:     by_value
      - .offset:         108
        .size:           4
        .value_kind:     by_value
      - .offset:         112
        .size:           4
        .value_kind:     by_value
      - .offset:         116
        .size:           12
        .value_kind:     by_value
      - .offset:         128
        .size:           4
        .value_kind:     by_value
      - .offset:         132
        .size:           4
        .value_kind:     by_value
      - .offset:         136
        .size:           4
        .value_kind:     by_value
      - .offset:         140
        .size:           4
        .value_kind:     by_value
    .group_segment_fixed_size: 0
    .kernarg_segment_align: 8
    .kernarg_segment_size: 144
    .language:       OpenCL C
    .language_version:
      - 2
      - 0
    .max_flat_workgroup_size: 1024
    .name:           _ZL13mul_mat_vec_fI6__halffLi1ELi224ELb1ELb1EEvPKT_PKfPKi31ggml_cuda_mm_fusion_args_devicePfi15HIP_vector_typeIjLj3EEiiiSB_iiiSB_iiii
    .private_segment_fixed_size: 0
    .sgpr_count:     42
    .sgpr_spill_count: 0
    .symbol:         _ZL13mul_mat_vec_fI6__halffLi1ELi224ELb1ELb1EEvPKT_PKfPKi31ggml_cuda_mm_fusion_args_devicePfi15HIP_vector_typeIjLj3EEiiiSB_iiiSB_iiii.kd
    .uniform_work_group_size: 1
    .uses_dynamic_stack: false
    .vgpr_count:     16
    .vgpr_spill_count: 0
    .wavefront_size: 32
    .workgroup_processor_mode: 1
  - .args:
      - .address_space:  global
        .offset:         0
        .size:           8
        .value_kind:     global_buffer
      - .address_space:  global
        .offset:         8
        .size:           8
        .value_kind:     global_buffer
      - .address_space:  global
        .offset:         16
        .size:           8
        .value_kind:     global_buffer
      - .offset:         24
        .size:           32
        .value_kind:     by_value
      - .address_space:  global
        .offset:         56
        .size:           8
        .value_kind:     global_buffer
      - .offset:         64
        .size:           4
        .value_kind:     by_value
      - .offset:         68
        .size:           12
        .value_kind:     by_value
      - .offset:         80
        .size:           4
        .value_kind:     by_value
      - .offset:         84
        .size:           4
        .value_kind:     by_value
      - .offset:         88
        .size:           4
        .value_kind:     by_value
      - .offset:         92
        .size:           12
        .value_kind:     by_value
      - .offset:         104
        .size:           4
        .value_kind:     by_value
      - .offset:         108
        .size:           4
        .value_kind:     by_value
      - .offset:         112
        .size:           4
        .value_kind:     by_value
      - .offset:         116
        .size:           12
        .value_kind:     by_value
      - .offset:         128
        .size:           4
        .value_kind:     by_value
      - .offset:         132
        .size:           4
        .value_kind:     by_value
      - .offset:         136
        .size:           4
        .value_kind:     by_value
      - .offset:         140
        .size:           4
        .value_kind:     by_value
    .group_segment_fixed_size: 0
    .kernarg_segment_align: 8
    .kernarg_segment_size: 144
    .language:       OpenCL C
    .language_version:
      - 2
      - 0
    .max_flat_workgroup_size: 1024
    .name:           _ZL13mul_mat_vec_fI6__halffLi1ELi224ELb0ELb1EEvPKT_PKfPKi31ggml_cuda_mm_fusion_args_devicePfi15HIP_vector_typeIjLj3EEiiiSB_iiiSB_iiii
    .private_segment_fixed_size: 0
    .sgpr_count:     30
    .sgpr_spill_count: 0
    .symbol:         _ZL13mul_mat_vec_fI6__halffLi1ELi224ELb0ELb1EEvPKT_PKfPKi31ggml_cuda_mm_fusion_args_devicePfi15HIP_vector_typeIjLj3EEiiiSB_iiiSB_iiii.kd
    .uniform_work_group_size: 1
    .uses_dynamic_stack: false
    .vgpr_count:     11
    .vgpr_spill_count: 0
    .wavefront_size: 32
    .workgroup_processor_mode: 1
  - .args:
      - .address_space:  global
        .offset:         0
        .size:           8
        .value_kind:     global_buffer
      - .address_space:  global
        .offset:         8
        .size:           8
        .value_kind:     global_buffer
      - .address_space:  global
        .offset:         16
        .size:           8
        .value_kind:     global_buffer
      - .offset:         24
        .size:           32
        .value_kind:     by_value
      - .address_space:  global
        .offset:         56
        .size:           8
        .value_kind:     global_buffer
      - .offset:         64
        .size:           4
        .value_kind:     by_value
      - .offset:         68
        .size:           12
        .value_kind:     by_value
      - .offset:         80
        .size:           4
        .value_kind:     by_value
      - .offset:         84
        .size:           4
        .value_kind:     by_value
      - .offset:         88
        .size:           4
        .value_kind:     by_value
      - .offset:         92
        .size:           12
        .value_kind:     by_value
      - .offset:         104
        .size:           4
        .value_kind:     by_value
      - .offset:         108
        .size:           4
        .value_kind:     by_value
      - .offset:         112
        .size:           4
        .value_kind:     by_value
      - .offset:         116
        .size:           12
        .value_kind:     by_value
      - .offset:         128
        .size:           4
        .value_kind:     by_value
      - .offset:         132
        .size:           4
        .value_kind:     by_value
      - .offset:         136
        .size:           4
        .value_kind:     by_value
      - .offset:         140
        .size:           4
        .value_kind:     by_value
    .group_segment_fixed_size: 0
    .kernarg_segment_align: 8
    .kernarg_segment_size: 144
    .language:       OpenCL C
    .language_version:
      - 2
      - 0
    .max_flat_workgroup_size: 1024
    .name:           _ZL13mul_mat_vec_fI6__halffLi1ELi256ELb1ELb1EEvPKT_PKfPKi31ggml_cuda_mm_fusion_args_devicePfi15HIP_vector_typeIjLj3EEiiiSB_iiiSB_iiii
    .private_segment_fixed_size: 0
    .sgpr_count:     42
    .sgpr_spill_count: 0
    .symbol:         _ZL13mul_mat_vec_fI6__halffLi1ELi256ELb1ELb1EEvPKT_PKfPKi31ggml_cuda_mm_fusion_args_devicePfi15HIP_vector_typeIjLj3EEiiiSB_iiiSB_iiii.kd
    .uniform_work_group_size: 1
    .uses_dynamic_stack: false
    .vgpr_count:     16
    .vgpr_spill_count: 0
    .wavefront_size: 32
    .workgroup_processor_mode: 1
  - .args:
      - .address_space:  global
        .offset:         0
        .size:           8
        .value_kind:     global_buffer
      - .address_space:  global
        .offset:         8
        .size:           8
        .value_kind:     global_buffer
      - .address_space:  global
        .offset:         16
        .size:           8
        .value_kind:     global_buffer
      - .offset:         24
        .size:           32
        .value_kind:     by_value
      - .address_space:  global
        .offset:         56
        .size:           8
        .value_kind:     global_buffer
      - .offset:         64
        .size:           4
        .value_kind:     by_value
      - .offset:         68
        .size:           12
        .value_kind:     by_value
      - .offset:         80
        .size:           4
        .value_kind:     by_value
      - .offset:         84
        .size:           4
        .value_kind:     by_value
      - .offset:         88
        .size:           4
        .value_kind:     by_value
      - .offset:         92
        .size:           12
        .value_kind:     by_value
      - .offset:         104
        .size:           4
        .value_kind:     by_value
      - .offset:         108
        .size:           4
        .value_kind:     by_value
      - .offset:         112
        .size:           4
        .value_kind:     by_value
      - .offset:         116
        .size:           12
        .value_kind:     by_value
      - .offset:         128
        .size:           4
        .value_kind:     by_value
      - .offset:         132
        .size:           4
        .value_kind:     by_value
      - .offset:         136
        .size:           4
        .value_kind:     by_value
      - .offset:         140
        .size:           4
        .value_kind:     by_value
    .group_segment_fixed_size: 0
    .kernarg_segment_align: 8
    .kernarg_segment_size: 144
    .language:       OpenCL C
    .language_version:
      - 2
      - 0
    .max_flat_workgroup_size: 1024
    .name:           _ZL13mul_mat_vec_fI6__halffLi1ELi256ELb0ELb1EEvPKT_PKfPKi31ggml_cuda_mm_fusion_args_devicePfi15HIP_vector_typeIjLj3EEiiiSB_iiiSB_iiii
    .private_segment_fixed_size: 0
    .sgpr_count:     30
    .sgpr_spill_count: 0
    .symbol:         _ZL13mul_mat_vec_fI6__halffLi1ELi256ELb0ELb1EEvPKT_PKfPKi31ggml_cuda_mm_fusion_args_devicePfi15HIP_vector_typeIjLj3EEiiiSB_iiiSB_iiii.kd
    .uniform_work_group_size: 1
    .uses_dynamic_stack: false
    .vgpr_count:     11
    .vgpr_spill_count: 0
    .wavefront_size: 32
    .workgroup_processor_mode: 1
  - .args:
      - .address_space:  global
        .offset:         0
        .size:           8
        .value_kind:     global_buffer
      - .address_space:  global
        .offset:         8
        .size:           8
        .value_kind:     global_buffer
      - .address_space:  global
        .offset:         16
        .size:           8
        .value_kind:     global_buffer
      - .offset:         24
        .size:           32
        .value_kind:     by_value
      - .address_space:  global
        .offset:         56
        .size:           8
        .value_kind:     global_buffer
      - .offset:         64
        .size:           4
        .value_kind:     by_value
      - .offset:         68
        .size:           12
        .value_kind:     by_value
      - .offset:         80
        .size:           4
        .value_kind:     by_value
      - .offset:         84
        .size:           4
        .value_kind:     by_value
      - .offset:         88
        .size:           4
        .value_kind:     by_value
      - .offset:         92
        .size:           12
        .value_kind:     by_value
      - .offset:         104
        .size:           4
        .value_kind:     by_value
      - .offset:         108
        .size:           4
        .value_kind:     by_value
      - .offset:         112
        .size:           4
        .value_kind:     by_value
      - .offset:         116
        .size:           12
        .value_kind:     by_value
      - .offset:         128
        .size:           4
        .value_kind:     by_value
      - .offset:         132
        .size:           4
        .value_kind:     by_value
      - .offset:         136
        .size:           4
        .value_kind:     by_value
      - .offset:         140
        .size:           4
        .value_kind:     by_value
    .group_segment_fixed_size: 0
    .kernarg_segment_align: 8
    .kernarg_segment_size: 144
    .language:       OpenCL C
    .language_version:
      - 2
      - 0
    .max_flat_workgroup_size: 1024
    .name:           _ZL13mul_mat_vec_fI6__halffLi1ELi32ELb1ELb0EEvPKT_PKfPKi31ggml_cuda_mm_fusion_args_devicePfi15HIP_vector_typeIjLj3EEiiiSB_iiiSB_iiii
    .private_segment_fixed_size: 0
    .sgpr_count:     42
    .sgpr_spill_count: 0
    .symbol:         _ZL13mul_mat_vec_fI6__halffLi1ELi32ELb1ELb0EEvPKT_PKfPKi31ggml_cuda_mm_fusion_args_devicePfi15HIP_vector_typeIjLj3EEiiiSB_iiiSB_iiii.kd
    .uniform_work_group_size: 1
    .uses_dynamic_stack: false
    .vgpr_count:     15
    .vgpr_spill_count: 0
    .wavefront_size: 32
    .workgroup_processor_mode: 1
  - .args:
      - .address_space:  global
        .offset:         0
        .size:           8
        .value_kind:     global_buffer
      - .address_space:  global
        .offset:         8
        .size:           8
        .value_kind:     global_buffer
      - .address_space:  global
        .offset:         16
        .size:           8
        .value_kind:     global_buffer
      - .offset:         24
        .size:           32
        .value_kind:     by_value
      - .address_space:  global
        .offset:         56
        .size:           8
        .value_kind:     global_buffer
      - .offset:         64
        .size:           4
        .value_kind:     by_value
      - .offset:         68
        .size:           12
        .value_kind:     by_value
      - .offset:         80
        .size:           4
        .value_kind:     by_value
      - .offset:         84
        .size:           4
        .value_kind:     by_value
      - .offset:         88
        .size:           4
        .value_kind:     by_value
      - .offset:         92
        .size:           12
        .value_kind:     by_value
      - .offset:         104
        .size:           4
        .value_kind:     by_value
      - .offset:         108
        .size:           4
        .value_kind:     by_value
      - .offset:         112
        .size:           4
        .value_kind:     by_value
      - .offset:         116
        .size:           12
        .value_kind:     by_value
      - .offset:         128
        .size:           4
        .value_kind:     by_value
      - .offset:         132
        .size:           4
        .value_kind:     by_value
      - .offset:         136
        .size:           4
        .value_kind:     by_value
      - .offset:         140
        .size:           4
        .value_kind:     by_value
    .group_segment_fixed_size: 0
    .kernarg_segment_align: 8
    .kernarg_segment_size: 144
    .language:       OpenCL C
    .language_version:
      - 2
      - 0
    .max_flat_workgroup_size: 1024
    .name:           _ZL13mul_mat_vec_fI6__halffLi1ELi32ELb0ELb0EEvPKT_PKfPKi31ggml_cuda_mm_fusion_args_devicePfi15HIP_vector_typeIjLj3EEiiiSB_iiiSB_iiii
    .private_segment_fixed_size: 0
    .sgpr_count:     30
    .sgpr_spill_count: 0
    .symbol:         _ZL13mul_mat_vec_fI6__halffLi1ELi32ELb0ELb0EEvPKT_PKfPKi31ggml_cuda_mm_fusion_args_devicePfi15HIP_vector_typeIjLj3EEiiiSB_iiiSB_iiii.kd
    .uniform_work_group_size: 1
    .uses_dynamic_stack: false
    .vgpr_count:     10
    .vgpr_spill_count: 0
    .wavefront_size: 32
    .workgroup_processor_mode: 1
  - .args:
      - .address_space:  global
        .offset:         0
        .size:           8
        .value_kind:     global_buffer
      - .address_space:  global
        .offset:         8
        .size:           8
        .value_kind:     global_buffer
      - .address_space:  global
        .offset:         16
        .size:           8
        .value_kind:     global_buffer
      - .offset:         24
        .size:           32
        .value_kind:     by_value
      - .address_space:  global
        .offset:         56
        .size:           8
        .value_kind:     global_buffer
      - .offset:         64
        .size:           4
        .value_kind:     by_value
      - .offset:         68
        .size:           12
        .value_kind:     by_value
      - .offset:         80
        .size:           4
        .value_kind:     by_value
      - .offset:         84
        .size:           4
        .value_kind:     by_value
      - .offset:         88
        .size:           4
        .value_kind:     by_value
      - .offset:         92
        .size:           12
        .value_kind:     by_value
      - .offset:         104
        .size:           4
        .value_kind:     by_value
      - .offset:         108
        .size:           4
        .value_kind:     by_value
      - .offset:         112
        .size:           4
        .value_kind:     by_value
      - .offset:         116
        .size:           12
        .value_kind:     by_value
      - .offset:         128
        .size:           4
        .value_kind:     by_value
      - .offset:         132
        .size:           4
        .value_kind:     by_value
      - .offset:         136
        .size:           4
        .value_kind:     by_value
      - .offset:         140
        .size:           4
        .value_kind:     by_value
    .group_segment_fixed_size: 0
    .kernarg_segment_align: 8
    .kernarg_segment_size: 144
    .language:       OpenCL C
    .language_version:
      - 2
      - 0
    .max_flat_workgroup_size: 1024
    .name:           _ZL13mul_mat_vec_fI6__halffLi1ELi64ELb1ELb0EEvPKT_PKfPKi31ggml_cuda_mm_fusion_args_devicePfi15HIP_vector_typeIjLj3EEiiiSB_iiiSB_iiii
    .private_segment_fixed_size: 0
    .sgpr_count:     42
    .sgpr_spill_count: 0
    .symbol:         _ZL13mul_mat_vec_fI6__halffLi1ELi64ELb1ELb0EEvPKT_PKfPKi31ggml_cuda_mm_fusion_args_devicePfi15HIP_vector_typeIjLj3EEiiiSB_iiiSB_iiii.kd
    .uniform_work_group_size: 1
    .uses_dynamic_stack: false
    .vgpr_count:     16
    .vgpr_spill_count: 0
    .wavefront_size: 32
    .workgroup_processor_mode: 1
  - .args:
      - .address_space:  global
        .offset:         0
        .size:           8
        .value_kind:     global_buffer
      - .address_space:  global
        .offset:         8
        .size:           8
        .value_kind:     global_buffer
      - .address_space:  global
        .offset:         16
        .size:           8
        .value_kind:     global_buffer
      - .offset:         24
        .size:           32
        .value_kind:     by_value
      - .address_space:  global
        .offset:         56
        .size:           8
        .value_kind:     global_buffer
      - .offset:         64
        .size:           4
        .value_kind:     by_value
      - .offset:         68
        .size:           12
        .value_kind:     by_value
      - .offset:         80
        .size:           4
        .value_kind:     by_value
      - .offset:         84
        .size:           4
        .value_kind:     by_value
      - .offset:         88
        .size:           4
        .value_kind:     by_value
      - .offset:         92
        .size:           12
        .value_kind:     by_value
      - .offset:         104
        .size:           4
        .value_kind:     by_value
      - .offset:         108
        .size:           4
        .value_kind:     by_value
      - .offset:         112
        .size:           4
        .value_kind:     by_value
      - .offset:         116
        .size:           12
        .value_kind:     by_value
      - .offset:         128
        .size:           4
        .value_kind:     by_value
      - .offset:         132
        .size:           4
        .value_kind:     by_value
      - .offset:         136
        .size:           4
        .value_kind:     by_value
      - .offset:         140
        .size:           4
        .value_kind:     by_value
    .group_segment_fixed_size: 0
    .kernarg_segment_align: 8
    .kernarg_segment_size: 144
    .language:       OpenCL C
    .language_version:
      - 2
      - 0
    .max_flat_workgroup_size: 1024
    .name:           _ZL13mul_mat_vec_fI6__halffLi1ELi64ELb0ELb0EEvPKT_PKfPKi31ggml_cuda_mm_fusion_args_devicePfi15HIP_vector_typeIjLj3EEiiiSB_iiiSB_iiii
    .private_segment_fixed_size: 0
    .sgpr_count:     30
    .sgpr_spill_count: 0
    .symbol:         _ZL13mul_mat_vec_fI6__halffLi1ELi64ELb0ELb0EEvPKT_PKfPKi31ggml_cuda_mm_fusion_args_devicePfi15HIP_vector_typeIjLj3EEiiiSB_iiiSB_iiii.kd
    .uniform_work_group_size: 1
    .uses_dynamic_stack: false
    .vgpr_count:     11
    .vgpr_spill_count: 0
    .wavefront_size: 32
    .workgroup_processor_mode: 1
  - .args:
      - .address_space:  global
        .offset:         0
        .size:           8
        .value_kind:     global_buffer
      - .address_space:  global
        .offset:         8
        .size:           8
        .value_kind:     global_buffer
      - .address_space:  global
        .offset:         16
        .size:           8
        .value_kind:     global_buffer
      - .offset:         24
        .size:           32
        .value_kind:     by_value
      - .address_space:  global
        .offset:         56
        .size:           8
        .value_kind:     global_buffer
      - .offset:         64
        .size:           4
        .value_kind:     by_value
      - .offset:         68
        .size:           12
        .value_kind:     by_value
      - .offset:         80
        .size:           4
        .value_kind:     by_value
      - .offset:         84
        .size:           4
        .value_kind:     by_value
      - .offset:         88
        .size:           4
        .value_kind:     by_value
      - .offset:         92
        .size:           12
        .value_kind:     by_value
      - .offset:         104
        .size:           4
        .value_kind:     by_value
      - .offset:         108
        .size:           4
        .value_kind:     by_value
      - .offset:         112
        .size:           4
        .value_kind:     by_value
      - .offset:         116
        .size:           12
        .value_kind:     by_value
      - .offset:         128
        .size:           4
        .value_kind:     by_value
      - .offset:         132
        .size:           4
        .value_kind:     by_value
      - .offset:         136
        .size:           4
        .value_kind:     by_value
      - .offset:         140
        .size:           4
        .value_kind:     by_value
    .group_segment_fixed_size: 0
    .kernarg_segment_align: 8
    .kernarg_segment_size: 144
    .language:       OpenCL C
    .language_version:
      - 2
      - 0
    .max_flat_workgroup_size: 1024
    .name:           _ZL13mul_mat_vec_fI6__halffLi1ELi96ELb1ELb0EEvPKT_PKfPKi31ggml_cuda_mm_fusion_args_devicePfi15HIP_vector_typeIjLj3EEiiiSB_iiiSB_iiii
    .private_segment_fixed_size: 0
    .sgpr_count:     42
    .sgpr_spill_count: 0
    .symbol:         _ZL13mul_mat_vec_fI6__halffLi1ELi96ELb1ELb0EEvPKT_PKfPKi31ggml_cuda_mm_fusion_args_devicePfi15HIP_vector_typeIjLj3EEiiiSB_iiiSB_iiii.kd
    .uniform_work_group_size: 1
    .uses_dynamic_stack: false
    .vgpr_count:     16
    .vgpr_spill_count: 0
    .wavefront_size: 32
    .workgroup_processor_mode: 1
  - .args:
      - .address_space:  global
        .offset:         0
        .size:           8
        .value_kind:     global_buffer
      - .address_space:  global
        .offset:         8
        .size:           8
        .value_kind:     global_buffer
      - .address_space:  global
        .offset:         16
        .size:           8
        .value_kind:     global_buffer
      - .offset:         24
        .size:           32
        .value_kind:     by_value
      - .address_space:  global
        .offset:         56
        .size:           8
        .value_kind:     global_buffer
      - .offset:         64
        .size:           4
        .value_kind:     by_value
      - .offset:         68
        .size:           12
        .value_kind:     by_value
      - .offset:         80
        .size:           4
        .value_kind:     by_value
      - .offset:         84
        .size:           4
        .value_kind:     by_value
      - .offset:         88
        .size:           4
        .value_kind:     by_value
      - .offset:         92
        .size:           12
        .value_kind:     by_value
      - .offset:         104
        .size:           4
        .value_kind:     by_value
      - .offset:         108
        .size:           4
        .value_kind:     by_value
      - .offset:         112
        .size:           4
        .value_kind:     by_value
      - .offset:         116
        .size:           12
        .value_kind:     by_value
      - .offset:         128
        .size:           4
        .value_kind:     by_value
      - .offset:         132
        .size:           4
        .value_kind:     by_value
      - .offset:         136
        .size:           4
        .value_kind:     by_value
      - .offset:         140
        .size:           4
        .value_kind:     by_value
    .group_segment_fixed_size: 0
    .kernarg_segment_align: 8
    .kernarg_segment_size: 144
    .language:       OpenCL C
    .language_version:
      - 2
      - 0
    .max_flat_workgroup_size: 1024
    .name:           _ZL13mul_mat_vec_fI6__halffLi1ELi96ELb0ELb0EEvPKT_PKfPKi31ggml_cuda_mm_fusion_args_devicePfi15HIP_vector_typeIjLj3EEiiiSB_iiiSB_iiii
    .private_segment_fixed_size: 0
    .sgpr_count:     30
    .sgpr_spill_count: 0
    .symbol:         _ZL13mul_mat_vec_fI6__halffLi1ELi96ELb0ELb0EEvPKT_PKfPKi31ggml_cuda_mm_fusion_args_devicePfi15HIP_vector_typeIjLj3EEiiiSB_iiiSB_iiii.kd
    .uniform_work_group_size: 1
    .uses_dynamic_stack: false
    .vgpr_count:     11
    .vgpr_spill_count: 0
    .wavefront_size: 32
    .workgroup_processor_mode: 1
  - .args:
      - .address_space:  global
        .offset:         0
        .size:           8
        .value_kind:     global_buffer
      - .address_space:  global
        .offset:         8
        .size:           8
        .value_kind:     global_buffer
      - .address_space:  global
        .offset:         16
        .size:           8
        .value_kind:     global_buffer
      - .offset:         24
        .size:           32
        .value_kind:     by_value
      - .address_space:  global
        .offset:         56
        .size:           8
        .value_kind:     global_buffer
      - .offset:         64
        .size:           4
        .value_kind:     by_value
      - .offset:         68
        .size:           12
        .value_kind:     by_value
      - .offset:         80
        .size:           4
        .value_kind:     by_value
      - .offset:         84
        .size:           4
        .value_kind:     by_value
      - .offset:         88
        .size:           4
        .value_kind:     by_value
      - .offset:         92
        .size:           12
        .value_kind:     by_value
      - .offset:         104
        .size:           4
        .value_kind:     by_value
      - .offset:         108
        .size:           4
        .value_kind:     by_value
      - .offset:         112
        .size:           4
        .value_kind:     by_value
      - .offset:         116
        .size:           12
        .value_kind:     by_value
      - .offset:         128
        .size:           4
        .value_kind:     by_value
      - .offset:         132
        .size:           4
        .value_kind:     by_value
      - .offset:         136
        .size:           4
        .value_kind:     by_value
      - .offset:         140
        .size:           4
        .value_kind:     by_value
    .group_segment_fixed_size: 0
    .kernarg_segment_align: 8
    .kernarg_segment_size: 144
    .language:       OpenCL C
    .language_version:
      - 2
      - 0
    .max_flat_workgroup_size: 1024
    .name:           _ZL13mul_mat_vec_fI6__halffLi1ELi128ELb1ELb0EEvPKT_PKfPKi31ggml_cuda_mm_fusion_args_devicePfi15HIP_vector_typeIjLj3EEiiiSB_iiiSB_iiii
    .private_segment_fixed_size: 0
    .sgpr_count:     42
    .sgpr_spill_count: 0
    .symbol:         _ZL13mul_mat_vec_fI6__halffLi1ELi128ELb1ELb0EEvPKT_PKfPKi31ggml_cuda_mm_fusion_args_devicePfi15HIP_vector_typeIjLj3EEiiiSB_iiiSB_iiii.kd
    .uniform_work_group_size: 1
    .uses_dynamic_stack: false
    .vgpr_count:     16
    .vgpr_spill_count: 0
    .wavefront_size: 32
    .workgroup_processor_mode: 1
  - .args:
      - .address_space:  global
        .offset:         0
        .size:           8
        .value_kind:     global_buffer
      - .address_space:  global
        .offset:         8
        .size:           8
        .value_kind:     global_buffer
      - .address_space:  global
        .offset:         16
        .size:           8
        .value_kind:     global_buffer
      - .offset:         24
        .size:           32
        .value_kind:     by_value
      - .address_space:  global
        .offset:         56
        .size:           8
        .value_kind:     global_buffer
      - .offset:         64
        .size:           4
        .value_kind:     by_value
      - .offset:         68
        .size:           12
        .value_kind:     by_value
      - .offset:         80
        .size:           4
        .value_kind:     by_value
      - .offset:         84
        .size:           4
        .value_kind:     by_value
      - .offset:         88
        .size:           4
        .value_kind:     by_value
      - .offset:         92
        .size:           12
        .value_kind:     by_value
      - .offset:         104
        .size:           4
        .value_kind:     by_value
      - .offset:         108
        .size:           4
        .value_kind:     by_value
      - .offset:         112
        .size:           4
        .value_kind:     by_value
      - .offset:         116
        .size:           12
        .value_kind:     by_value
      - .offset:         128
        .size:           4
        .value_kind:     by_value
      - .offset:         132
        .size:           4
        .value_kind:     by_value
      - .offset:         136
        .size:           4
        .value_kind:     by_value
      - .offset:         140
        .size:           4
        .value_kind:     by_value
    .group_segment_fixed_size: 0
    .kernarg_segment_align: 8
    .kernarg_segment_size: 144
    .language:       OpenCL C
    .language_version:
      - 2
      - 0
    .max_flat_workgroup_size: 1024
    .name:           _ZL13mul_mat_vec_fI6__halffLi1ELi128ELb0ELb0EEvPKT_PKfPKi31ggml_cuda_mm_fusion_args_devicePfi15HIP_vector_typeIjLj3EEiiiSB_iiiSB_iiii
    .private_segment_fixed_size: 0
    .sgpr_count:     30
    .sgpr_spill_count: 0
    .symbol:         _ZL13mul_mat_vec_fI6__halffLi1ELi128ELb0ELb0EEvPKT_PKfPKi31ggml_cuda_mm_fusion_args_devicePfi15HIP_vector_typeIjLj3EEiiiSB_iiiSB_iiii.kd
    .uniform_work_group_size: 1
    .uses_dynamic_stack: false
    .vgpr_count:     11
    .vgpr_spill_count: 0
    .wavefront_size: 32
    .workgroup_processor_mode: 1
  - .args:
      - .address_space:  global
        .offset:         0
        .size:           8
        .value_kind:     global_buffer
      - .address_space:  global
        .offset:         8
        .size:           8
        .value_kind:     global_buffer
      - .address_space:  global
        .offset:         16
        .size:           8
        .value_kind:     global_buffer
      - .offset:         24
        .size:           32
        .value_kind:     by_value
      - .address_space:  global
        .offset:         56
        .size:           8
        .value_kind:     global_buffer
      - .offset:         64
        .size:           4
        .value_kind:     by_value
      - .offset:         68
        .size:           12
        .value_kind:     by_value
      - .offset:         80
        .size:           4
        .value_kind:     by_value
      - .offset:         84
        .size:           4
        .value_kind:     by_value
      - .offset:         88
        .size:           4
        .value_kind:     by_value
      - .offset:         92
        .size:           12
        .value_kind:     by_value
      - .offset:         104
        .size:           4
        .value_kind:     by_value
      - .offset:         108
        .size:           4
        .value_kind:     by_value
      - .offset:         112
        .size:           4
        .value_kind:     by_value
      - .offset:         116
        .size:           12
        .value_kind:     by_value
      - .offset:         128
        .size:           4
        .value_kind:     by_value
      - .offset:         132
        .size:           4
        .value_kind:     by_value
      - .offset:         136
        .size:           4
        .value_kind:     by_value
      - .offset:         140
        .size:           4
        .value_kind:     by_value
    .group_segment_fixed_size: 0
    .kernarg_segment_align: 8
    .kernarg_segment_size: 144
    .language:       OpenCL C
    .language_version:
      - 2
      - 0
    .max_flat_workgroup_size: 1024
    .name:           _ZL13mul_mat_vec_fI6__halffLi1ELi160ELb1ELb0EEvPKT_PKfPKi31ggml_cuda_mm_fusion_args_devicePfi15HIP_vector_typeIjLj3EEiiiSB_iiiSB_iiii
    .private_segment_fixed_size: 0
    .sgpr_count:     42
    .sgpr_spill_count: 0
    .symbol:         _ZL13mul_mat_vec_fI6__halffLi1ELi160ELb1ELb0EEvPKT_PKfPKi31ggml_cuda_mm_fusion_args_devicePfi15HIP_vector_typeIjLj3EEiiiSB_iiiSB_iiii.kd
    .uniform_work_group_size: 1
    .uses_dynamic_stack: false
    .vgpr_count:     16
    .vgpr_spill_count: 0
    .wavefront_size: 32
    .workgroup_processor_mode: 1
  - .args:
      - .address_space:  global
        .offset:         0
        .size:           8
        .value_kind:     global_buffer
      - .address_space:  global
        .offset:         8
        .size:           8
        .value_kind:     global_buffer
      - .address_space:  global
        .offset:         16
        .size:           8
        .value_kind:     global_buffer
      - .offset:         24
        .size:           32
        .value_kind:     by_value
      - .address_space:  global
        .offset:         56
        .size:           8
        .value_kind:     global_buffer
      - .offset:         64
        .size:           4
        .value_kind:     by_value
      - .offset:         68
        .size:           12
        .value_kind:     by_value
      - .offset:         80
        .size:           4
        .value_kind:     by_value
      - .offset:         84
        .size:           4
        .value_kind:     by_value
      - .offset:         88
        .size:           4
        .value_kind:     by_value
      - .offset:         92
        .size:           12
        .value_kind:     by_value
      - .offset:         104
        .size:           4
        .value_kind:     by_value
      - .offset:         108
        .size:           4
        .value_kind:     by_value
      - .offset:         112
        .size:           4
        .value_kind:     by_value
      - .offset:         116
        .size:           12
        .value_kind:     by_value
      - .offset:         128
        .size:           4
        .value_kind:     by_value
      - .offset:         132
        .size:           4
        .value_kind:     by_value
      - .offset:         136
        .size:           4
        .value_kind:     by_value
      - .offset:         140
        .size:           4
        .value_kind:     by_value
    .group_segment_fixed_size: 0
    .kernarg_segment_align: 8
    .kernarg_segment_size: 144
    .language:       OpenCL C
    .language_version:
      - 2
      - 0
    .max_flat_workgroup_size: 1024
    .name:           _ZL13mul_mat_vec_fI6__halffLi1ELi160ELb0ELb0EEvPKT_PKfPKi31ggml_cuda_mm_fusion_args_devicePfi15HIP_vector_typeIjLj3EEiiiSB_iiiSB_iiii
    .private_segment_fixed_size: 0
    .sgpr_count:     30
    .sgpr_spill_count: 0
    .symbol:         _ZL13mul_mat_vec_fI6__halffLi1ELi160ELb0ELb0EEvPKT_PKfPKi31ggml_cuda_mm_fusion_args_devicePfi15HIP_vector_typeIjLj3EEiiiSB_iiiSB_iiii.kd
    .uniform_work_group_size: 1
    .uses_dynamic_stack: false
    .vgpr_count:     11
    .vgpr_spill_count: 0
    .wavefront_size: 32
    .workgroup_processor_mode: 1
  - .args:
      - .address_space:  global
        .offset:         0
        .size:           8
        .value_kind:     global_buffer
      - .address_space:  global
        .offset:         8
        .size:           8
        .value_kind:     global_buffer
      - .address_space:  global
        .offset:         16
        .size:           8
        .value_kind:     global_buffer
      - .offset:         24
        .size:           32
        .value_kind:     by_value
      - .address_space:  global
        .offset:         56
        .size:           8
        .value_kind:     global_buffer
      - .offset:         64
        .size:           4
        .value_kind:     by_value
      - .offset:         68
        .size:           12
        .value_kind:     by_value
      - .offset:         80
        .size:           4
        .value_kind:     by_value
      - .offset:         84
        .size:           4
        .value_kind:     by_value
      - .offset:         88
        .size:           4
        .value_kind:     by_value
      - .offset:         92
        .size:           12
        .value_kind:     by_value
      - .offset:         104
        .size:           4
        .value_kind:     by_value
      - .offset:         108
        .size:           4
        .value_kind:     by_value
      - .offset:         112
        .size:           4
        .value_kind:     by_value
      - .offset:         116
        .size:           12
        .value_kind:     by_value
      - .offset:         128
        .size:           4
        .value_kind:     by_value
      - .offset:         132
        .size:           4
        .value_kind:     by_value
      - .offset:         136
        .size:           4
        .value_kind:     by_value
      - .offset:         140
        .size:           4
        .value_kind:     by_value
    .group_segment_fixed_size: 0
    .kernarg_segment_align: 8
    .kernarg_segment_size: 144
    .language:       OpenCL C
    .language_version:
      - 2
      - 0
    .max_flat_workgroup_size: 1024
    .name:           _ZL13mul_mat_vec_fI6__halffLi1ELi192ELb1ELb0EEvPKT_PKfPKi31ggml_cuda_mm_fusion_args_devicePfi15HIP_vector_typeIjLj3EEiiiSB_iiiSB_iiii
    .private_segment_fixed_size: 0
    .sgpr_count:     42
    .sgpr_spill_count: 0
    .symbol:         _ZL13mul_mat_vec_fI6__halffLi1ELi192ELb1ELb0EEvPKT_PKfPKi31ggml_cuda_mm_fusion_args_devicePfi15HIP_vector_typeIjLj3EEiiiSB_iiiSB_iiii.kd
    .uniform_work_group_size: 1
    .uses_dynamic_stack: false
    .vgpr_count:     16
    .vgpr_spill_count: 0
    .wavefront_size: 32
    .workgroup_processor_mode: 1
  - .args:
      - .address_space:  global
        .offset:         0
        .size:           8
        .value_kind:     global_buffer
      - .address_space:  global
        .offset:         8
        .size:           8
        .value_kind:     global_buffer
      - .address_space:  global
        .offset:         16
        .size:           8
        .value_kind:     global_buffer
      - .offset:         24
        .size:           32
        .value_kind:     by_value
      - .address_space:  global
        .offset:         56
        .size:           8
        .value_kind:     global_buffer
      - .offset:         64
        .size:           4
        .value_kind:     by_value
      - .offset:         68
        .size:           12
        .value_kind:     by_value
      - .offset:         80
        .size:           4
        .value_kind:     by_value
      - .offset:         84
        .size:           4
        .value_kind:     by_value
      - .offset:         88
        .size:           4
        .value_kind:     by_value
      - .offset:         92
        .size:           12
        .value_kind:     by_value
      - .offset:         104
        .size:           4
        .value_kind:     by_value
      - .offset:         108
        .size:           4
        .value_kind:     by_value
      - .offset:         112
        .size:           4
        .value_kind:     by_value
      - .offset:         116
        .size:           12
        .value_kind:     by_value
      - .offset:         128
        .size:           4
        .value_kind:     by_value
      - .offset:         132
        .size:           4
        .value_kind:     by_value
      - .offset:         136
        .size:           4
        .value_kind:     by_value
      - .offset:         140
        .size:           4
        .value_kind:     by_value
    .group_segment_fixed_size: 0
    .kernarg_segment_align: 8
    .kernarg_segment_size: 144
    .language:       OpenCL C
    .language_version:
      - 2
      - 0
    .max_flat_workgroup_size: 1024
    .name:           _ZL13mul_mat_vec_fI6__halffLi1ELi192ELb0ELb0EEvPKT_PKfPKi31ggml_cuda_mm_fusion_args_devicePfi15HIP_vector_typeIjLj3EEiiiSB_iiiSB_iiii
    .private_segment_fixed_size: 0
    .sgpr_count:     30
    .sgpr_spill_count: 0
    .symbol:         _ZL13mul_mat_vec_fI6__halffLi1ELi192ELb0ELb0EEvPKT_PKfPKi31ggml_cuda_mm_fusion_args_devicePfi15HIP_vector_typeIjLj3EEiiiSB_iiiSB_iiii.kd
    .uniform_work_group_size: 1
    .uses_dynamic_stack: false
    .vgpr_count:     11
    .vgpr_spill_count: 0
    .wavefront_size: 32
    .workgroup_processor_mode: 1
  - .args:
      - .address_space:  global
        .offset:         0
        .size:           8
        .value_kind:     global_buffer
      - .address_space:  global
        .offset:         8
        .size:           8
        .value_kind:     global_buffer
      - .address_space:  global
        .offset:         16
        .size:           8
        .value_kind:     global_buffer
      - .offset:         24
        .size:           32
        .value_kind:     by_value
      - .address_space:  global
        .offset:         56
        .size:           8
        .value_kind:     global_buffer
      - .offset:         64
        .size:           4
        .value_kind:     by_value
      - .offset:         68
        .size:           12
        .value_kind:     by_value
      - .offset:         80
        .size:           4
        .value_kind:     by_value
      - .offset:         84
        .size:           4
        .value_kind:     by_value
      - .offset:         88
        .size:           4
        .value_kind:     by_value
      - .offset:         92
        .size:           12
        .value_kind:     by_value
      - .offset:         104
        .size:           4
        .value_kind:     by_value
      - .offset:         108
        .size:           4
        .value_kind:     by_value
      - .offset:         112
        .size:           4
        .value_kind:     by_value
      - .offset:         116
        .size:           12
        .value_kind:     by_value
      - .offset:         128
        .size:           4
        .value_kind:     by_value
      - .offset:         132
        .size:           4
        .value_kind:     by_value
      - .offset:         136
        .size:           4
        .value_kind:     by_value
      - .offset:         140
        .size:           4
        .value_kind:     by_value
    .group_segment_fixed_size: 0
    .kernarg_segment_align: 8
    .kernarg_segment_size: 144
    .language:       OpenCL C
    .language_version:
      - 2
      - 0
    .max_flat_workgroup_size: 1024
    .name:           _ZL13mul_mat_vec_fI6__halffLi1ELi224ELb1ELb0EEvPKT_PKfPKi31ggml_cuda_mm_fusion_args_devicePfi15HIP_vector_typeIjLj3EEiiiSB_iiiSB_iiii
    .private_segment_fixed_size: 0
    .sgpr_count:     42
    .sgpr_spill_count: 0
    .symbol:         _ZL13mul_mat_vec_fI6__halffLi1ELi224ELb1ELb0EEvPKT_PKfPKi31ggml_cuda_mm_fusion_args_devicePfi15HIP_vector_typeIjLj3EEiiiSB_iiiSB_iiii.kd
    .uniform_work_group_size: 1
    .uses_dynamic_stack: false
    .vgpr_count:     16
    .vgpr_spill_count: 0
    .wavefront_size: 32
    .workgroup_processor_mode: 1
  - .args:
      - .address_space:  global
        .offset:         0
        .size:           8
        .value_kind:     global_buffer
      - .address_space:  global
        .offset:         8
        .size:           8
        .value_kind:     global_buffer
      - .address_space:  global
        .offset:         16
        .size:           8
        .value_kind:     global_buffer
      - .offset:         24
        .size:           32
        .value_kind:     by_value
      - .address_space:  global
        .offset:         56
        .size:           8
        .value_kind:     global_buffer
      - .offset:         64
        .size:           4
        .value_kind:     by_value
      - .offset:         68
        .size:           12
        .value_kind:     by_value
      - .offset:         80
        .size:           4
        .value_kind:     by_value
      - .offset:         84
        .size:           4
        .value_kind:     by_value
      - .offset:         88
        .size:           4
        .value_kind:     by_value
      - .offset:         92
        .size:           12
        .value_kind:     by_value
      - .offset:         104
        .size:           4
        .value_kind:     by_value
      - .offset:         108
        .size:           4
        .value_kind:     by_value
      - .offset:         112
        .size:           4
        .value_kind:     by_value
      - .offset:         116
        .size:           12
        .value_kind:     by_value
      - .offset:         128
        .size:           4
        .value_kind:     by_value
      - .offset:         132
        .size:           4
        .value_kind:     by_value
      - .offset:         136
        .size:           4
        .value_kind:     by_value
      - .offset:         140
        .size:           4
        .value_kind:     by_value
    .group_segment_fixed_size: 0
    .kernarg_segment_align: 8
    .kernarg_segment_size: 144
    .language:       OpenCL C
    .language_version:
      - 2
      - 0
    .max_flat_workgroup_size: 1024
    .name:           _ZL13mul_mat_vec_fI6__halffLi1ELi224ELb0ELb0EEvPKT_PKfPKi31ggml_cuda_mm_fusion_args_devicePfi15HIP_vector_typeIjLj3EEiiiSB_iiiSB_iiii
    .private_segment_fixed_size: 0
    .sgpr_count:     30
    .sgpr_spill_count: 0
    .symbol:         _ZL13mul_mat_vec_fI6__halffLi1ELi224ELb0ELb0EEvPKT_PKfPKi31ggml_cuda_mm_fusion_args_devicePfi15HIP_vector_typeIjLj3EEiiiSB_iiiSB_iiii.kd
    .uniform_work_group_size: 1
    .uses_dynamic_stack: false
    .vgpr_count:     11
    .vgpr_spill_count: 0
    .wavefront_size: 32
    .workgroup_processor_mode: 1
  - .args:
      - .address_space:  global
        .offset:         0
        .size:           8
        .value_kind:     global_buffer
      - .address_space:  global
        .offset:         8
        .size:           8
        .value_kind:     global_buffer
      - .address_space:  global
        .offset:         16
        .size:           8
        .value_kind:     global_buffer
      - .offset:         24
        .size:           32
        .value_kind:     by_value
      - .address_space:  global
        .offset:         56
        .size:           8
        .value_kind:     global_buffer
      - .offset:         64
        .size:           4
        .value_kind:     by_value
      - .offset:         68
        .size:           12
        .value_kind:     by_value
      - .offset:         80
        .size:           4
        .value_kind:     by_value
      - .offset:         84
        .size:           4
        .value_kind:     by_value
      - .offset:         88
        .size:           4
        .value_kind:     by_value
      - .offset:         92
        .size:           12
        .value_kind:     by_value
      - .offset:         104
        .size:           4
        .value_kind:     by_value
      - .offset:         108
        .size:           4
        .value_kind:     by_value
      - .offset:         112
        .size:           4
        .value_kind:     by_value
      - .offset:         116
        .size:           12
        .value_kind:     by_value
      - .offset:         128
        .size:           4
        .value_kind:     by_value
      - .offset:         132
        .size:           4
        .value_kind:     by_value
      - .offset:         136
        .size:           4
        .value_kind:     by_value
      - .offset:         140
        .size:           4
        .value_kind:     by_value
    .group_segment_fixed_size: 0
    .kernarg_segment_align: 8
    .kernarg_segment_size: 144
    .language:       OpenCL C
    .language_version:
      - 2
      - 0
    .max_flat_workgroup_size: 1024
    .name:           _ZL13mul_mat_vec_fI6__halffLi1ELi256ELb1ELb0EEvPKT_PKfPKi31ggml_cuda_mm_fusion_args_devicePfi15HIP_vector_typeIjLj3EEiiiSB_iiiSB_iiii
    .private_segment_fixed_size: 0
    .sgpr_count:     42
    .sgpr_spill_count: 0
    .symbol:         _ZL13mul_mat_vec_fI6__halffLi1ELi256ELb1ELb0EEvPKT_PKfPKi31ggml_cuda_mm_fusion_args_devicePfi15HIP_vector_typeIjLj3EEiiiSB_iiiSB_iiii.kd
    .uniform_work_group_size: 1
    .uses_dynamic_stack: false
    .vgpr_count:     16
    .vgpr_spill_count: 0
    .wavefront_size: 32
    .workgroup_processor_mode: 1
  - .args:
      - .address_space:  global
        .offset:         0
        .size:           8
        .value_kind:     global_buffer
      - .address_space:  global
        .offset:         8
        .size:           8
        .value_kind:     global_buffer
      - .address_space:  global
        .offset:         16
        .size:           8
        .value_kind:     global_buffer
      - .offset:         24
        .size:           32
        .value_kind:     by_value
      - .address_space:  global
        .offset:         56
        .size:           8
        .value_kind:     global_buffer
      - .offset:         64
        .size:           4
        .value_kind:     by_value
      - .offset:         68
        .size:           12
        .value_kind:     by_value
      - .offset:         80
        .size:           4
        .value_kind:     by_value
      - .offset:         84
        .size:           4
        .value_kind:     by_value
      - .offset:         88
        .size:           4
        .value_kind:     by_value
      - .offset:         92
        .size:           12
        .value_kind:     by_value
      - .offset:         104
        .size:           4
        .value_kind:     by_value
      - .offset:         108
        .size:           4
        .value_kind:     by_value
      - .offset:         112
        .size:           4
        .value_kind:     by_value
      - .offset:         116
        .size:           12
        .value_kind:     by_value
      - .offset:         128
        .size:           4
        .value_kind:     by_value
      - .offset:         132
        .size:           4
        .value_kind:     by_value
      - .offset:         136
        .size:           4
        .value_kind:     by_value
      - .offset:         140
        .size:           4
        .value_kind:     by_value
    .group_segment_fixed_size: 0
    .kernarg_segment_align: 8
    .kernarg_segment_size: 144
    .language:       OpenCL C
    .language_version:
      - 2
      - 0
    .max_flat_workgroup_size: 1024
    .name:           _ZL13mul_mat_vec_fI6__halffLi1ELi256ELb0ELb0EEvPKT_PKfPKi31ggml_cuda_mm_fusion_args_devicePfi15HIP_vector_typeIjLj3EEiiiSB_iiiSB_iiii
    .private_segment_fixed_size: 0
    .sgpr_count:     30
    .sgpr_spill_count: 0
    .symbol:         _ZL13mul_mat_vec_fI6__halffLi1ELi256ELb0ELb0EEvPKT_PKfPKi31ggml_cuda_mm_fusion_args_devicePfi15HIP_vector_typeIjLj3EEiiiSB_iiiSB_iiii.kd
    .uniform_work_group_size: 1
    .uses_dynamic_stack: false
    .vgpr_count:     11
    .vgpr_spill_count: 0
    .wavefront_size: 32
    .workgroup_processor_mode: 1
  - .args:
      - .address_space:  global
        .offset:         0
        .size:           8
        .value_kind:     global_buffer
      - .address_space:  global
        .offset:         8
        .size:           8
        .value_kind:     global_buffer
      - .address_space:  global
        .offset:         16
        .size:           8
        .value_kind:     global_buffer
      - .offset:         24
        .size:           32
        .value_kind:     by_value
      - .address_space:  global
        .offset:         56
        .size:           8
        .value_kind:     global_buffer
      - .offset:         64
        .size:           4
        .value_kind:     by_value
      - .offset:         68
        .size:           12
        .value_kind:     by_value
      - .offset:         80
        .size:           4
        .value_kind:     by_value
      - .offset:         84
        .size:           4
        .value_kind:     by_value
      - .offset:         88
        .size:           4
        .value_kind:     by_value
      - .offset:         92
        .size:           12
        .value_kind:     by_value
      - .offset:         104
        .size:           4
        .value_kind:     by_value
      - .offset:         108
        .size:           4
        .value_kind:     by_value
      - .offset:         112
        .size:           4
        .value_kind:     by_value
      - .offset:         116
        .size:           12
        .value_kind:     by_value
      - .offset:         128
        .size:           4
        .value_kind:     by_value
      - .offset:         132
        .size:           4
        .value_kind:     by_value
      - .offset:         136
        .size:           4
        .value_kind:     by_value
      - .offset:         140
        .size:           4
        .value_kind:     by_value
    .group_segment_fixed_size: 0
    .kernarg_segment_align: 8
    .kernarg_segment_size: 144
    .language:       OpenCL C
    .language_version:
      - 2
      - 0
    .max_flat_workgroup_size: 1024
    .name:           _ZL13mul_mat_vec_fI6__halffLi2ELi32ELb0ELb0EEvPKT_PKfPKi31ggml_cuda_mm_fusion_args_devicePfi15HIP_vector_typeIjLj3EEiiiSB_iiiSB_iiii
    .private_segment_fixed_size: 0
    .sgpr_count:     34
    .sgpr_spill_count: 0
    .symbol:         _ZL13mul_mat_vec_fI6__halffLi2ELi32ELb0ELb0EEvPKT_PKfPKi31ggml_cuda_mm_fusion_args_devicePfi15HIP_vector_typeIjLj3EEiiiSB_iiiSB_iiii.kd
    .uniform_work_group_size: 1
    .uses_dynamic_stack: false
    .vgpr_count:     13
    .vgpr_spill_count: 0
    .wavefront_size: 32
    .workgroup_processor_mode: 1
  - .args:
      - .address_space:  global
        .offset:         0
        .size:           8
        .value_kind:     global_buffer
      - .address_space:  global
        .offset:         8
        .size:           8
        .value_kind:     global_buffer
      - .address_space:  global
        .offset:         16
        .size:           8
        .value_kind:     global_buffer
      - .offset:         24
        .size:           32
        .value_kind:     by_value
      - .address_space:  global
        .offset:         56
        .size:           8
        .value_kind:     global_buffer
      - .offset:         64
        .size:           4
        .value_kind:     by_value
      - .offset:         68
        .size:           12
        .value_kind:     by_value
      - .offset:         80
        .size:           4
        .value_kind:     by_value
      - .offset:         84
        .size:           4
        .value_kind:     by_value
      - .offset:         88
        .size:           4
        .value_kind:     by_value
      - .offset:         92
        .size:           12
        .value_kind:     by_value
      - .offset:         104
        .size:           4
        .value_kind:     by_value
      - .offset:         108
        .size:           4
        .value_kind:     by_value
      - .offset:         112
        .size:           4
        .value_kind:     by_value
      - .offset:         116
        .size:           12
        .value_kind:     by_value
      - .offset:         128
        .size:           4
        .value_kind:     by_value
      - .offset:         132
        .size:           4
        .value_kind:     by_value
      - .offset:         136
        .size:           4
        .value_kind:     by_value
      - .offset:         140
        .size:           4
        .value_kind:     by_value
    .group_segment_fixed_size: 0
    .kernarg_segment_align: 8
    .kernarg_segment_size: 144
    .language:       OpenCL C
    .language_version:
      - 2
      - 0
    .max_flat_workgroup_size: 1024
    .name:           _ZL13mul_mat_vec_fI6__halffLi2ELi64ELb0ELb0EEvPKT_PKfPKi31ggml_cuda_mm_fusion_args_devicePfi15HIP_vector_typeIjLj3EEiiiSB_iiiSB_iiii
    .private_segment_fixed_size: 0
    .sgpr_count:     34
    .sgpr_spill_count: 0
    .symbol:         _ZL13mul_mat_vec_fI6__halffLi2ELi64ELb0ELb0EEvPKT_PKfPKi31ggml_cuda_mm_fusion_args_devicePfi15HIP_vector_typeIjLj3EEiiiSB_iiiSB_iiii.kd
    .uniform_work_group_size: 1
    .uses_dynamic_stack: false
    .vgpr_count:     14
    .vgpr_spill_count: 0
    .wavefront_size: 32
    .workgroup_processor_mode: 1
  - .args:
      - .address_space:  global
        .offset:         0
        .size:           8
        .value_kind:     global_buffer
      - .address_space:  global
        .offset:         8
        .size:           8
        .value_kind:     global_buffer
      - .address_space:  global
        .offset:         16
        .size:           8
        .value_kind:     global_buffer
      - .offset:         24
        .size:           32
        .value_kind:     by_value
      - .address_space:  global
        .offset:         56
        .size:           8
        .value_kind:     global_buffer
      - .offset:         64
        .size:           4
        .value_kind:     by_value
      - .offset:         68
        .size:           12
        .value_kind:     by_value
      - .offset:         80
        .size:           4
        .value_kind:     by_value
      - .offset:         84
        .size:           4
        .value_kind:     by_value
      - .offset:         88
        .size:           4
        .value_kind:     by_value
      - .offset:         92
        .size:           12
        .value_kind:     by_value
      - .offset:         104
        .size:           4
        .value_kind:     by_value
      - .offset:         108
        .size:           4
        .value_kind:     by_value
      - .offset:         112
        .size:           4
        .value_kind:     by_value
      - .offset:         116
        .size:           12
        .value_kind:     by_value
      - .offset:         128
        .size:           4
        .value_kind:     by_value
      - .offset:         132
        .size:           4
        .value_kind:     by_value
      - .offset:         136
        .size:           4
        .value_kind:     by_value
      - .offset:         140
        .size:           4
        .value_kind:     by_value
    .group_segment_fixed_size: 0
    .kernarg_segment_align: 8
    .kernarg_segment_size: 144
    .language:       OpenCL C
    .language_version:
      - 2
      - 0
    .max_flat_workgroup_size: 1024
    .name:           _ZL13mul_mat_vec_fI6__halffLi2ELi96ELb0ELb0EEvPKT_PKfPKi31ggml_cuda_mm_fusion_args_devicePfi15HIP_vector_typeIjLj3EEiiiSB_iiiSB_iiii
    .private_segment_fixed_size: 0
    .sgpr_count:     34
    .sgpr_spill_count: 0
    .symbol:         _ZL13mul_mat_vec_fI6__halffLi2ELi96ELb0ELb0EEvPKT_PKfPKi31ggml_cuda_mm_fusion_args_devicePfi15HIP_vector_typeIjLj3EEiiiSB_iiiSB_iiii.kd
    .uniform_work_group_size: 1
    .uses_dynamic_stack: false
    .vgpr_count:     14
    .vgpr_spill_count: 0
    .wavefront_size: 32
    .workgroup_processor_mode: 1
  - .args:
      - .address_space:  global
        .offset:         0
        .size:           8
        .value_kind:     global_buffer
      - .address_space:  global
        .offset:         8
        .size:           8
        .value_kind:     global_buffer
      - .address_space:  global
        .offset:         16
        .size:           8
        .value_kind:     global_buffer
      - .offset:         24
        .size:           32
        .value_kind:     by_value
      - .address_space:  global
        .offset:         56
        .size:           8
        .value_kind:     global_buffer
      - .offset:         64
        .size:           4
        .value_kind:     by_value
      - .offset:         68
        .size:           12
        .value_kind:     by_value
      - .offset:         80
        .size:           4
        .value_kind:     by_value
      - .offset:         84
        .size:           4
        .value_kind:     by_value
      - .offset:         88
        .size:           4
        .value_kind:     by_value
      - .offset:         92
        .size:           12
        .value_kind:     by_value
      - .offset:         104
        .size:           4
        .value_kind:     by_value
      - .offset:         108
        .size:           4
        .value_kind:     by_value
      - .offset:         112
        .size:           4
        .value_kind:     by_value
      - .offset:         116
        .size:           12
        .value_kind:     by_value
      - .offset:         128
        .size:           4
        .value_kind:     by_value
      - .offset:         132
        .size:           4
        .value_kind:     by_value
      - .offset:         136
        .size:           4
        .value_kind:     by_value
      - .offset:         140
        .size:           4
        .value_kind:     by_value
    .group_segment_fixed_size: 0
    .kernarg_segment_align: 8
    .kernarg_segment_size: 144
    .language:       OpenCL C
    .language_version:
      - 2
      - 0
    .max_flat_workgroup_size: 1024
    .name:           _ZL13mul_mat_vec_fI6__halffLi2ELi128ELb0ELb0EEvPKT_PKfPKi31ggml_cuda_mm_fusion_args_devicePfi15HIP_vector_typeIjLj3EEiiiSB_iiiSB_iiii
    .private_segment_fixed_size: 0
    .sgpr_count:     34
    .sgpr_spill_count: 0
    .symbol:         _ZL13mul_mat_vec_fI6__halffLi2ELi128ELb0ELb0EEvPKT_PKfPKi31ggml_cuda_mm_fusion_args_devicePfi15HIP_vector_typeIjLj3EEiiiSB_iiiSB_iiii.kd
    .uniform_work_group_size: 1
    .uses_dynamic_stack: false
    .vgpr_count:     14
    .vgpr_spill_count: 0
    .wavefront_size: 32
    .workgroup_processor_mode: 1
  - .args:
      - .address_space:  global
        .offset:         0
        .size:           8
        .value_kind:     global_buffer
      - .address_space:  global
        .offset:         8
        .size:           8
        .value_kind:     global_buffer
      - .address_space:  global
        .offset:         16
        .size:           8
        .value_kind:     global_buffer
      - .offset:         24
        .size:           32
        .value_kind:     by_value
      - .address_space:  global
        .offset:         56
        .size:           8
        .value_kind:     global_buffer
      - .offset:         64
        .size:           4
        .value_kind:     by_value
      - .offset:         68
        .size:           12
        .value_kind:     by_value
      - .offset:         80
        .size:           4
        .value_kind:     by_value
      - .offset:         84
        .size:           4
        .value_kind:     by_value
      - .offset:         88
        .size:           4
        .value_kind:     by_value
      - .offset:         92
        .size:           12
        .value_kind:     by_value
      - .offset:         104
        .size:           4
        .value_kind:     by_value
      - .offset:         108
        .size:           4
        .value_kind:     by_value
      - .offset:         112
        .size:           4
        .value_kind:     by_value
      - .offset:         116
        .size:           12
        .value_kind:     by_value
      - .offset:         128
        .size:           4
        .value_kind:     by_value
      - .offset:         132
        .size:           4
        .value_kind:     by_value
      - .offset:         136
        .size:           4
        .value_kind:     by_value
      - .offset:         140
        .size:           4
        .value_kind:     by_value
    .group_segment_fixed_size: 0
    .kernarg_segment_align: 8
    .kernarg_segment_size: 144
    .language:       OpenCL C
    .language_version:
      - 2
      - 0
    .max_flat_workgroup_size: 1024
    .name:           _ZL13mul_mat_vec_fI6__halffLi2ELi160ELb0ELb0EEvPKT_PKfPKi31ggml_cuda_mm_fusion_args_devicePfi15HIP_vector_typeIjLj3EEiiiSB_iiiSB_iiii
    .private_segment_fixed_size: 0
    .sgpr_count:     34
    .sgpr_spill_count: 0
    .symbol:         _ZL13mul_mat_vec_fI6__halffLi2ELi160ELb0ELb0EEvPKT_PKfPKi31ggml_cuda_mm_fusion_args_devicePfi15HIP_vector_typeIjLj3EEiiiSB_iiiSB_iiii.kd
    .uniform_work_group_size: 1
    .uses_dynamic_stack: false
    .vgpr_count:     14
    .vgpr_spill_count: 0
    .wavefront_size: 32
    .workgroup_processor_mode: 1
  - .args:
      - .address_space:  global
        .offset:         0
        .size:           8
        .value_kind:     global_buffer
      - .address_space:  global
        .offset:         8
        .size:           8
        .value_kind:     global_buffer
      - .address_space:  global
        .offset:         16
        .size:           8
        .value_kind:     global_buffer
      - .offset:         24
        .size:           32
        .value_kind:     by_value
      - .address_space:  global
        .offset:         56
        .size:           8
        .value_kind:     global_buffer
      - .offset:         64
        .size:           4
        .value_kind:     by_value
      - .offset:         68
        .size:           12
        .value_kind:     by_value
      - .offset:         80
        .size:           4
        .value_kind:     by_value
      - .offset:         84
        .size:           4
        .value_kind:     by_value
      - .offset:         88
        .size:           4
        .value_kind:     by_value
      - .offset:         92
        .size:           12
        .value_kind:     by_value
      - .offset:         104
        .size:           4
        .value_kind:     by_value
      - .offset:         108
        .size:           4
        .value_kind:     by_value
      - .offset:         112
        .size:           4
        .value_kind:     by_value
      - .offset:         116
        .size:           12
        .value_kind:     by_value
      - .offset:         128
        .size:           4
        .value_kind:     by_value
      - .offset:         132
        .size:           4
        .value_kind:     by_value
      - .offset:         136
        .size:           4
        .value_kind:     by_value
      - .offset:         140
        .size:           4
        .value_kind:     by_value
    .group_segment_fixed_size: 0
    .kernarg_segment_align: 8
    .kernarg_segment_size: 144
    .language:       OpenCL C
    .language_version:
      - 2
      - 0
    .max_flat_workgroup_size: 1024
    .name:           _ZL13mul_mat_vec_fI6__halffLi2ELi192ELb0ELb0EEvPKT_PKfPKi31ggml_cuda_mm_fusion_args_devicePfi15HIP_vector_typeIjLj3EEiiiSB_iiiSB_iiii
    .private_segment_fixed_size: 0
    .sgpr_count:     34
    .sgpr_spill_count: 0
    .symbol:         _ZL13mul_mat_vec_fI6__halffLi2ELi192ELb0ELb0EEvPKT_PKfPKi31ggml_cuda_mm_fusion_args_devicePfi15HIP_vector_typeIjLj3EEiiiSB_iiiSB_iiii.kd
    .uniform_work_group_size: 1
    .uses_dynamic_stack: false
    .vgpr_count:     14
    .vgpr_spill_count: 0
    .wavefront_size: 32
    .workgroup_processor_mode: 1
  - .args:
      - .address_space:  global
        .offset:         0
        .size:           8
        .value_kind:     global_buffer
      - .address_space:  global
        .offset:         8
        .size:           8
        .value_kind:     global_buffer
      - .address_space:  global
        .offset:         16
        .size:           8
        .value_kind:     global_buffer
      - .offset:         24
        .size:           32
        .value_kind:     by_value
      - .address_space:  global
        .offset:         56
        .size:           8
        .value_kind:     global_buffer
      - .offset:         64
        .size:           4
        .value_kind:     by_value
      - .offset:         68
        .size:           12
        .value_kind:     by_value
      - .offset:         80
        .size:           4
        .value_kind:     by_value
      - .offset:         84
        .size:           4
        .value_kind:     by_value
      - .offset:         88
        .size:           4
        .value_kind:     by_value
      - .offset:         92
        .size:           12
        .value_kind:     by_value
      - .offset:         104
        .size:           4
        .value_kind:     by_value
      - .offset:         108
        .size:           4
        .value_kind:     by_value
      - .offset:         112
        .size:           4
        .value_kind:     by_value
      - .offset:         116
        .size:           12
        .value_kind:     by_value
      - .offset:         128
        .size:           4
        .value_kind:     by_value
      - .offset:         132
        .size:           4
        .value_kind:     by_value
      - .offset:         136
        .size:           4
        .value_kind:     by_value
      - .offset:         140
        .size:           4
        .value_kind:     by_value
    .group_segment_fixed_size: 0
    .kernarg_segment_align: 8
    .kernarg_segment_size: 144
    .language:       OpenCL C
    .language_version:
      - 2
      - 0
    .max_flat_workgroup_size: 1024
    .name:           _ZL13mul_mat_vec_fI6__halffLi2ELi224ELb0ELb0EEvPKT_PKfPKi31ggml_cuda_mm_fusion_args_devicePfi15HIP_vector_typeIjLj3EEiiiSB_iiiSB_iiii
    .private_segment_fixed_size: 0
    .sgpr_count:     34
    .sgpr_spill_count: 0
    .symbol:         _ZL13mul_mat_vec_fI6__halffLi2ELi224ELb0ELb0EEvPKT_PKfPKi31ggml_cuda_mm_fusion_args_devicePfi15HIP_vector_typeIjLj3EEiiiSB_iiiSB_iiii.kd
    .uniform_work_group_size: 1
    .uses_dynamic_stack: false
    .vgpr_count:     14
    .vgpr_spill_count: 0
    .wavefront_size: 32
    .workgroup_processor_mode: 1
  - .args:
      - .address_space:  global
        .offset:         0
        .size:           8
        .value_kind:     global_buffer
      - .address_space:  global
        .offset:         8
        .size:           8
        .value_kind:     global_buffer
      - .address_space:  global
        .offset:         16
        .size:           8
        .value_kind:     global_buffer
      - .offset:         24
        .size:           32
        .value_kind:     by_value
      - .address_space:  global
        .offset:         56
        .size:           8
        .value_kind:     global_buffer
      - .offset:         64
        .size:           4
        .value_kind:     by_value
      - .offset:         68
        .size:           12
        .value_kind:     by_value
      - .offset:         80
        .size:           4
        .value_kind:     by_value
      - .offset:         84
        .size:           4
        .value_kind:     by_value
      - .offset:         88
        .size:           4
        .value_kind:     by_value
      - .offset:         92
        .size:           12
        .value_kind:     by_value
      - .offset:         104
        .size:           4
        .value_kind:     by_value
      - .offset:         108
        .size:           4
        .value_kind:     by_value
      - .offset:         112
        .size:           4
        .value_kind:     by_value
      - .offset:         116
        .size:           12
        .value_kind:     by_value
      - .offset:         128
        .size:           4
        .value_kind:     by_value
      - .offset:         132
        .size:           4
        .value_kind:     by_value
      - .offset:         136
        .size:           4
        .value_kind:     by_value
      - .offset:         140
        .size:           4
        .value_kind:     by_value
    .group_segment_fixed_size: 0
    .kernarg_segment_align: 8
    .kernarg_segment_size: 144
    .language:       OpenCL C
    .language_version:
      - 2
      - 0
    .max_flat_workgroup_size: 1024
    .name:           _ZL13mul_mat_vec_fI6__halffLi2ELi256ELb0ELb0EEvPKT_PKfPKi31ggml_cuda_mm_fusion_args_devicePfi15HIP_vector_typeIjLj3EEiiiSB_iiiSB_iiii
    .private_segment_fixed_size: 0
    .sgpr_count:     34
    .sgpr_spill_count: 0
    .symbol:         _ZL13mul_mat_vec_fI6__halffLi2ELi256ELb0ELb0EEvPKT_PKfPKi31ggml_cuda_mm_fusion_args_devicePfi15HIP_vector_typeIjLj3EEiiiSB_iiiSB_iiii.kd
    .uniform_work_group_size: 1
    .uses_dynamic_stack: false
    .vgpr_count:     14
    .vgpr_spill_count: 0
    .wavefront_size: 32
    .workgroup_processor_mode: 1
  - .args:
      - .address_space:  global
        .offset:         0
        .size:           8
        .value_kind:     global_buffer
      - .address_space:  global
        .offset:         8
        .size:           8
        .value_kind:     global_buffer
      - .address_space:  global
        .offset:         16
        .size:           8
        .value_kind:     global_buffer
      - .offset:         24
        .size:           32
        .value_kind:     by_value
      - .address_space:  global
        .offset:         56
        .size:           8
        .value_kind:     global_buffer
      - .offset:         64
        .size:           4
        .value_kind:     by_value
      - .offset:         68
        .size:           12
        .value_kind:     by_value
      - .offset:         80
        .size:           4
        .value_kind:     by_value
      - .offset:         84
        .size:           4
        .value_kind:     by_value
      - .offset:         88
        .size:           4
        .value_kind:     by_value
      - .offset:         92
        .size:           12
        .value_kind:     by_value
      - .offset:         104
        .size:           4
        .value_kind:     by_value
      - .offset:         108
        .size:           4
        .value_kind:     by_value
      - .offset:         112
        .size:           4
        .value_kind:     by_value
      - .offset:         116
        .size:           12
        .value_kind:     by_value
      - .offset:         128
        .size:           4
        .value_kind:     by_value
      - .offset:         132
        .size:           4
        .value_kind:     by_value
      - .offset:         136
        .size:           4
        .value_kind:     by_value
      - .offset:         140
        .size:           4
        .value_kind:     by_value
    .group_segment_fixed_size: 0
    .kernarg_segment_align: 8
    .kernarg_segment_size: 144
    .language:       OpenCL C
    .language_version:
      - 2
      - 0
    .max_flat_workgroup_size: 1024
    .name:           _ZL13mul_mat_vec_fI6__halffLi3ELi32ELb0ELb0EEvPKT_PKfPKi31ggml_cuda_mm_fusion_args_devicePfi15HIP_vector_typeIjLj3EEiiiSB_iiiSB_iiii
    .private_segment_fixed_size: 0
    .sgpr_count:     34
    .sgpr_spill_count: 0
    .symbol:         _ZL13mul_mat_vec_fI6__halffLi3ELi32ELb0ELb0EEvPKT_PKfPKi31ggml_cuda_mm_fusion_args_devicePfi15HIP_vector_typeIjLj3EEiiiSB_iiiSB_iiii.kd
    .uniform_work_group_size: 1
    .uses_dynamic_stack: false
    .vgpr_count:     16
    .vgpr_spill_count: 0
    .wavefront_size: 32
    .workgroup_processor_mode: 1
  - .args:
      - .address_space:  global
        .offset:         0
        .size:           8
        .value_kind:     global_buffer
      - .address_space:  global
        .offset:         8
        .size:           8
        .value_kind:     global_buffer
      - .address_space:  global
        .offset:         16
        .size:           8
        .value_kind:     global_buffer
      - .offset:         24
        .size:           32
        .value_kind:     by_value
      - .address_space:  global
        .offset:         56
        .size:           8
        .value_kind:     global_buffer
      - .offset:         64
        .size:           4
        .value_kind:     by_value
      - .offset:         68
        .size:           12
        .value_kind:     by_value
      - .offset:         80
        .size:           4
        .value_kind:     by_value
      - .offset:         84
        .size:           4
        .value_kind:     by_value
      - .offset:         88
        .size:           4
        .value_kind:     by_value
      - .offset:         92
        .size:           12
        .value_kind:     by_value
      - .offset:         104
        .size:           4
        .value_kind:     by_value
      - .offset:         108
        .size:           4
        .value_kind:     by_value
      - .offset:         112
        .size:           4
        .value_kind:     by_value
      - .offset:         116
        .size:           12
        .value_kind:     by_value
      - .offset:         128
        .size:           4
        .value_kind:     by_value
      - .offset:         132
        .size:           4
        .value_kind:     by_value
      - .offset:         136
        .size:           4
        .value_kind:     by_value
      - .offset:         140
        .size:           4
        .value_kind:     by_value
    .group_segment_fixed_size: 0
    .kernarg_segment_align: 8
    .kernarg_segment_size: 144
    .language:       OpenCL C
    .language_version:
      - 2
      - 0
    .max_flat_workgroup_size: 1024
    .name:           _ZL13mul_mat_vec_fI6__halffLi3ELi64ELb0ELb0EEvPKT_PKfPKi31ggml_cuda_mm_fusion_args_devicePfi15HIP_vector_typeIjLj3EEiiiSB_iiiSB_iiii
    .private_segment_fixed_size: 0
    .sgpr_count:     38
    .sgpr_spill_count: 0
    .symbol:         _ZL13mul_mat_vec_fI6__halffLi3ELi64ELb0ELb0EEvPKT_PKfPKi31ggml_cuda_mm_fusion_args_devicePfi15HIP_vector_typeIjLj3EEiiiSB_iiiSB_iiii.kd
    .uniform_work_group_size: 1
    .uses_dynamic_stack: false
    .vgpr_count:     17
    .vgpr_spill_count: 0
    .wavefront_size: 32
    .workgroup_processor_mode: 1
  - .args:
      - .address_space:  global
        .offset:         0
        .size:           8
        .value_kind:     global_buffer
      - .address_space:  global
        .offset:         8
        .size:           8
        .value_kind:     global_buffer
      - .address_space:  global
        .offset:         16
        .size:           8
        .value_kind:     global_buffer
      - .offset:         24
        .size:           32
        .value_kind:     by_value
      - .address_space:  global
        .offset:         56
        .size:           8
        .value_kind:     global_buffer
      - .offset:         64
        .size:           4
        .value_kind:     by_value
      - .offset:         68
        .size:           12
        .value_kind:     by_value
      - .offset:         80
        .size:           4
        .value_kind:     by_value
      - .offset:         84
        .size:           4
        .value_kind:     by_value
      - .offset:         88
        .size:           4
        .value_kind:     by_value
      - .offset:         92
        .size:           12
        .value_kind:     by_value
      - .offset:         104
        .size:           4
        .value_kind:     by_value
      - .offset:         108
        .size:           4
        .value_kind:     by_value
      - .offset:         112
        .size:           4
        .value_kind:     by_value
      - .offset:         116
        .size:           12
        .value_kind:     by_value
      - .offset:         128
        .size:           4
        .value_kind:     by_value
      - .offset:         132
        .size:           4
        .value_kind:     by_value
      - .offset:         136
        .size:           4
        .value_kind:     by_value
      - .offset:         140
        .size:           4
        .value_kind:     by_value
    .group_segment_fixed_size: 0
    .kernarg_segment_align: 8
    .kernarg_segment_size: 144
    .language:       OpenCL C
    .language_version:
      - 2
      - 0
    .max_flat_workgroup_size: 1024
    .name:           _ZL13mul_mat_vec_fI6__halffLi3ELi96ELb0ELb0EEvPKT_PKfPKi31ggml_cuda_mm_fusion_args_devicePfi15HIP_vector_typeIjLj3EEiiiSB_iiiSB_iiii
    .private_segment_fixed_size: 0
    .sgpr_count:     38
    .sgpr_spill_count: 0
    .symbol:         _ZL13mul_mat_vec_fI6__halffLi3ELi96ELb0ELb0EEvPKT_PKfPKi31ggml_cuda_mm_fusion_args_devicePfi15HIP_vector_typeIjLj3EEiiiSB_iiiSB_iiii.kd
    .uniform_work_group_size: 1
    .uses_dynamic_stack: false
    .vgpr_count:     17
    .vgpr_spill_count: 0
    .wavefront_size: 32
    .workgroup_processor_mode: 1
  - .args:
      - .address_space:  global
        .offset:         0
        .size:           8
        .value_kind:     global_buffer
      - .address_space:  global
        .offset:         8
        .size:           8
        .value_kind:     global_buffer
      - .address_space:  global
        .offset:         16
        .size:           8
        .value_kind:     global_buffer
      - .offset:         24
        .size:           32
        .value_kind:     by_value
      - .address_space:  global
        .offset:         56
        .size:           8
        .value_kind:     global_buffer
      - .offset:         64
        .size:           4
        .value_kind:     by_value
      - .offset:         68
        .size:           12
        .value_kind:     by_value
      - .offset:         80
        .size:           4
        .value_kind:     by_value
      - .offset:         84
        .size:           4
        .value_kind:     by_value
      - .offset:         88
        .size:           4
        .value_kind:     by_value
      - .offset:         92
        .size:           12
        .value_kind:     by_value
      - .offset:         104
        .size:           4
        .value_kind:     by_value
      - .offset:         108
        .size:           4
        .value_kind:     by_value
      - .offset:         112
        .size:           4
        .value_kind:     by_value
      - .offset:         116
        .size:           12
        .value_kind:     by_value
      - .offset:         128
        .size:           4
        .value_kind:     by_value
      - .offset:         132
        .size:           4
        .value_kind:     by_value
      - .offset:         136
        .size:           4
        .value_kind:     by_value
      - .offset:         140
        .size:           4
        .value_kind:     by_value
    .group_segment_fixed_size: 0
    .kernarg_segment_align: 8
    .kernarg_segment_size: 144
    .language:       OpenCL C
    .language_version:
      - 2
      - 0
    .max_flat_workgroup_size: 1024
    .name:           _ZL13mul_mat_vec_fI6__halffLi3ELi128ELb0ELb0EEvPKT_PKfPKi31ggml_cuda_mm_fusion_args_devicePfi15HIP_vector_typeIjLj3EEiiiSB_iiiSB_iiii
    .private_segment_fixed_size: 0
    .sgpr_count:     38
    .sgpr_spill_count: 0
    .symbol:         _ZL13mul_mat_vec_fI6__halffLi3ELi128ELb0ELb0EEvPKT_PKfPKi31ggml_cuda_mm_fusion_args_devicePfi15HIP_vector_typeIjLj3EEiiiSB_iiiSB_iiii.kd
    .uniform_work_group_size: 1
    .uses_dynamic_stack: false
    .vgpr_count:     17
    .vgpr_spill_count: 0
    .wavefront_size: 32
    .workgroup_processor_mode: 1
  - .args:
      - .address_space:  global
        .offset:         0
        .size:           8
        .value_kind:     global_buffer
      - .address_space:  global
        .offset:         8
        .size:           8
        .value_kind:     global_buffer
      - .address_space:  global
        .offset:         16
        .size:           8
        .value_kind:     global_buffer
      - .offset:         24
        .size:           32
        .value_kind:     by_value
      - .address_space:  global
        .offset:         56
        .size:           8
        .value_kind:     global_buffer
      - .offset:         64
        .size:           4
        .value_kind:     by_value
      - .offset:         68
        .size:           12
        .value_kind:     by_value
      - .offset:         80
        .size:           4
        .value_kind:     by_value
      - .offset:         84
        .size:           4
        .value_kind:     by_value
      - .offset:         88
        .size:           4
        .value_kind:     by_value
      - .offset:         92
        .size:           12
        .value_kind:     by_value
      - .offset:         104
        .size:           4
        .value_kind:     by_value
      - .offset:         108
        .size:           4
        .value_kind:     by_value
      - .offset:         112
        .size:           4
        .value_kind:     by_value
      - .offset:         116
        .size:           12
        .value_kind:     by_value
      - .offset:         128
        .size:           4
        .value_kind:     by_value
      - .offset:         132
        .size:           4
        .value_kind:     by_value
      - .offset:         136
        .size:           4
        .value_kind:     by_value
      - .offset:         140
        .size:           4
        .value_kind:     by_value
    .group_segment_fixed_size: 0
    .kernarg_segment_align: 8
    .kernarg_segment_size: 144
    .language:       OpenCL C
    .language_version:
      - 2
      - 0
    .max_flat_workgroup_size: 1024
    .name:           _ZL13mul_mat_vec_fI6__halffLi3ELi160ELb0ELb0EEvPKT_PKfPKi31ggml_cuda_mm_fusion_args_devicePfi15HIP_vector_typeIjLj3EEiiiSB_iiiSB_iiii
    .private_segment_fixed_size: 0
    .sgpr_count:     38
    .sgpr_spill_count: 0
    .symbol:         _ZL13mul_mat_vec_fI6__halffLi3ELi160ELb0ELb0EEvPKT_PKfPKi31ggml_cuda_mm_fusion_args_devicePfi15HIP_vector_typeIjLj3EEiiiSB_iiiSB_iiii.kd
    .uniform_work_group_size: 1
    .uses_dynamic_stack: false
    .vgpr_count:     17
    .vgpr_spill_count: 0
    .wavefront_size: 32
    .workgroup_processor_mode: 1
  - .args:
      - .address_space:  global
        .offset:         0
        .size:           8
        .value_kind:     global_buffer
      - .address_space:  global
        .offset:         8
        .size:           8
        .value_kind:     global_buffer
      - .address_space:  global
        .offset:         16
        .size:           8
        .value_kind:     global_buffer
      - .offset:         24
        .size:           32
        .value_kind:     by_value
      - .address_space:  global
        .offset:         56
        .size:           8
        .value_kind:     global_buffer
      - .offset:         64
        .size:           4
        .value_kind:     by_value
      - .offset:         68
        .size:           12
        .value_kind:     by_value
      - .offset:         80
        .size:           4
        .value_kind:     by_value
      - .offset:         84
        .size:           4
        .value_kind:     by_value
      - .offset:         88
        .size:           4
        .value_kind:     by_value
      - .offset:         92
        .size:           12
        .value_kind:     by_value
      - .offset:         104
        .size:           4
        .value_kind:     by_value
      - .offset:         108
        .size:           4
        .value_kind:     by_value
      - .offset:         112
        .size:           4
        .value_kind:     by_value
      - .offset:         116
        .size:           12
        .value_kind:     by_value
      - .offset:         128
        .size:           4
        .value_kind:     by_value
      - .offset:         132
        .size:           4
        .value_kind:     by_value
      - .offset:         136
        .size:           4
        .value_kind:     by_value
      - .offset:         140
        .size:           4
        .value_kind:     by_value
    .group_segment_fixed_size: 0
    .kernarg_segment_align: 8
    .kernarg_segment_size: 144
    .language:       OpenCL C
    .language_version:
      - 2
      - 0
    .max_flat_workgroup_size: 1024
    .name:           _ZL13mul_mat_vec_fI6__halffLi3ELi192ELb0ELb0EEvPKT_PKfPKi31ggml_cuda_mm_fusion_args_devicePfi15HIP_vector_typeIjLj3EEiiiSB_iiiSB_iiii
    .private_segment_fixed_size: 0
    .sgpr_count:     38
    .sgpr_spill_count: 0
    .symbol:         _ZL13mul_mat_vec_fI6__halffLi3ELi192ELb0ELb0EEvPKT_PKfPKi31ggml_cuda_mm_fusion_args_devicePfi15HIP_vector_typeIjLj3EEiiiSB_iiiSB_iiii.kd
    .uniform_work_group_size: 1
    .uses_dynamic_stack: false
    .vgpr_count:     17
    .vgpr_spill_count: 0
    .wavefront_size: 32
    .workgroup_processor_mode: 1
  - .args:
      - .address_space:  global
        .offset:         0
        .size:           8
        .value_kind:     global_buffer
      - .address_space:  global
        .offset:         8
        .size:           8
        .value_kind:     global_buffer
      - .address_space:  global
        .offset:         16
        .size:           8
        .value_kind:     global_buffer
      - .offset:         24
        .size:           32
        .value_kind:     by_value
      - .address_space:  global
        .offset:         56
        .size:           8
        .value_kind:     global_buffer
      - .offset:         64
        .size:           4
        .value_kind:     by_value
      - .offset:         68
        .size:           12
        .value_kind:     by_value
      - .offset:         80
        .size:           4
        .value_kind:     by_value
      - .offset:         84
        .size:           4
        .value_kind:     by_value
      - .offset:         88
        .size:           4
        .value_kind:     by_value
      - .offset:         92
        .size:           12
        .value_kind:     by_value
      - .offset:         104
        .size:           4
        .value_kind:     by_value
      - .offset:         108
        .size:           4
        .value_kind:     by_value
      - .offset:         112
        .size:           4
        .value_kind:     by_value
      - .offset:         116
        .size:           12
        .value_kind:     by_value
      - .offset:         128
        .size:           4
        .value_kind:     by_value
      - .offset:         132
        .size:           4
        .value_kind:     by_value
      - .offset:         136
        .size:           4
        .value_kind:     by_value
      - .offset:         140
        .size:           4
        .value_kind:     by_value
    .group_segment_fixed_size: 0
    .kernarg_segment_align: 8
    .kernarg_segment_size: 144
    .language:       OpenCL C
    .language_version:
      - 2
      - 0
    .max_flat_workgroup_size: 1024
    .name:           _ZL13mul_mat_vec_fI6__halffLi3ELi224ELb0ELb0EEvPKT_PKfPKi31ggml_cuda_mm_fusion_args_devicePfi15HIP_vector_typeIjLj3EEiiiSB_iiiSB_iiii
    .private_segment_fixed_size: 0
    .sgpr_count:     38
    .sgpr_spill_count: 0
    .symbol:         _ZL13mul_mat_vec_fI6__halffLi3ELi224ELb0ELb0EEvPKT_PKfPKi31ggml_cuda_mm_fusion_args_devicePfi15HIP_vector_typeIjLj3EEiiiSB_iiiSB_iiii.kd
    .uniform_work_group_size: 1
    .uses_dynamic_stack: false
    .vgpr_count:     17
    .vgpr_spill_count: 0
    .wavefront_size: 32
    .workgroup_processor_mode: 1
  - .args:
      - .address_space:  global
        .offset:         0
        .size:           8
        .value_kind:     global_buffer
      - .address_space:  global
        .offset:         8
        .size:           8
        .value_kind:     global_buffer
      - .address_space:  global
        .offset:         16
        .size:           8
        .value_kind:     global_buffer
      - .offset:         24
        .size:           32
        .value_kind:     by_value
      - .address_space:  global
        .offset:         56
        .size:           8
        .value_kind:     global_buffer
      - .offset:         64
        .size:           4
        .value_kind:     by_value
      - .offset:         68
        .size:           12
        .value_kind:     by_value
      - .offset:         80
        .size:           4
        .value_kind:     by_value
      - .offset:         84
        .size:           4
        .value_kind:     by_value
      - .offset:         88
        .size:           4
        .value_kind:     by_value
      - .offset:         92
        .size:           12
        .value_kind:     by_value
      - .offset:         104
        .size:           4
        .value_kind:     by_value
      - .offset:         108
        .size:           4
        .value_kind:     by_value
      - .offset:         112
        .size:           4
        .value_kind:     by_value
      - .offset:         116
        .size:           12
        .value_kind:     by_value
      - .offset:         128
        .size:           4
        .value_kind:     by_value
      - .offset:         132
        .size:           4
        .value_kind:     by_value
      - .offset:         136
        .size:           4
        .value_kind:     by_value
      - .offset:         140
        .size:           4
        .value_kind:     by_value
    .group_segment_fixed_size: 0
    .kernarg_segment_align: 8
    .kernarg_segment_size: 144
    .language:       OpenCL C
    .language_version:
      - 2
      - 0
    .max_flat_workgroup_size: 1024
    .name:           _ZL13mul_mat_vec_fI6__halffLi3ELi256ELb0ELb0EEvPKT_PKfPKi31ggml_cuda_mm_fusion_args_devicePfi15HIP_vector_typeIjLj3EEiiiSB_iiiSB_iiii
    .private_segment_fixed_size: 0
    .sgpr_count:     38
    .sgpr_spill_count: 0
    .symbol:         _ZL13mul_mat_vec_fI6__halffLi3ELi256ELb0ELb0EEvPKT_PKfPKi31ggml_cuda_mm_fusion_args_devicePfi15HIP_vector_typeIjLj3EEiiiSB_iiiSB_iiii.kd
    .uniform_work_group_size: 1
    .uses_dynamic_stack: false
    .vgpr_count:     17
    .vgpr_spill_count: 0
    .wavefront_size: 32
    .workgroup_processor_mode: 1
  - .args:
      - .address_space:  global
        .offset:         0
        .size:           8
        .value_kind:     global_buffer
      - .address_space:  global
        .offset:         8
        .size:           8
        .value_kind:     global_buffer
      - .address_space:  global
        .offset:         16
        .size:           8
        .value_kind:     global_buffer
      - .offset:         24
        .size:           32
        .value_kind:     by_value
      - .address_space:  global
        .offset:         56
        .size:           8
        .value_kind:     global_buffer
      - .offset:         64
        .size:           4
        .value_kind:     by_value
      - .offset:         68
        .size:           12
        .value_kind:     by_value
      - .offset:         80
        .size:           4
        .value_kind:     by_value
      - .offset:         84
        .size:           4
        .value_kind:     by_value
      - .offset:         88
        .size:           4
        .value_kind:     by_value
      - .offset:         92
        .size:           12
        .value_kind:     by_value
      - .offset:         104
        .size:           4
        .value_kind:     by_value
      - .offset:         108
        .size:           4
        .value_kind:     by_value
      - .offset:         112
        .size:           4
        .value_kind:     by_value
      - .offset:         116
        .size:           12
        .value_kind:     by_value
      - .offset:         128
        .size:           4
        .value_kind:     by_value
      - .offset:         132
        .size:           4
        .value_kind:     by_value
      - .offset:         136
        .size:           4
        .value_kind:     by_value
      - .offset:         140
        .size:           4
        .value_kind:     by_value
    .group_segment_fixed_size: 0
    .kernarg_segment_align: 8
    .kernarg_segment_size: 144
    .language:       OpenCL C
    .language_version:
      - 2
      - 0
    .max_flat_workgroup_size: 1024
    .name:           _ZL13mul_mat_vec_fI6__halffLi4ELi32ELb0ELb0EEvPKT_PKfPKi31ggml_cuda_mm_fusion_args_devicePfi15HIP_vector_typeIjLj3EEiiiSB_iiiSB_iiii
    .private_segment_fixed_size: 0
    .sgpr_count:     34
    .sgpr_spill_count: 0
    .symbol:         _ZL13mul_mat_vec_fI6__halffLi4ELi32ELb0ELb0EEvPKT_PKfPKi31ggml_cuda_mm_fusion_args_devicePfi15HIP_vector_typeIjLj3EEiiiSB_iiiSB_iiii.kd
    .uniform_work_group_size: 1
    .uses_dynamic_stack: false
    .vgpr_count:     19
    .vgpr_spill_count: 0
    .wavefront_size: 32
    .workgroup_processor_mode: 1
  - .args:
      - .address_space:  global
        .offset:         0
        .size:           8
        .value_kind:     global_buffer
      - .address_space:  global
        .offset:         8
        .size:           8
        .value_kind:     global_buffer
      - .address_space:  global
        .offset:         16
        .size:           8
        .value_kind:     global_buffer
      - .offset:         24
        .size:           32
        .value_kind:     by_value
      - .address_space:  global
        .offset:         56
        .size:           8
        .value_kind:     global_buffer
      - .offset:         64
        .size:           4
        .value_kind:     by_value
      - .offset:         68
        .size:           12
        .value_kind:     by_value
      - .offset:         80
        .size:           4
        .value_kind:     by_value
      - .offset:         84
        .size:           4
        .value_kind:     by_value
      - .offset:         88
        .size:           4
        .value_kind:     by_value
      - .offset:         92
        .size:           12
        .value_kind:     by_value
      - .offset:         104
        .size:           4
        .value_kind:     by_value
      - .offset:         108
        .size:           4
        .value_kind:     by_value
      - .offset:         112
        .size:           4
        .value_kind:     by_value
      - .offset:         116
        .size:           12
        .value_kind:     by_value
      - .offset:         128
        .size:           4
        .value_kind:     by_value
      - .offset:         132
        .size:           4
        .value_kind:     by_value
      - .offset:         136
        .size:           4
        .value_kind:     by_value
      - .offset:         140
        .size:           4
        .value_kind:     by_value
    .group_segment_fixed_size: 0
    .kernarg_segment_align: 8
    .kernarg_segment_size: 144
    .language:       OpenCL C
    .language_version:
      - 2
      - 0
    .max_flat_workgroup_size: 1024
    .name:           _ZL13mul_mat_vec_fI6__halffLi4ELi64ELb0ELb0EEvPKT_PKfPKi31ggml_cuda_mm_fusion_args_devicePfi15HIP_vector_typeIjLj3EEiiiSB_iiiSB_iiii
    .private_segment_fixed_size: 0
    .sgpr_count:     38
    .sgpr_spill_count: 0
    .symbol:         _ZL13mul_mat_vec_fI6__halffLi4ELi64ELb0ELb0EEvPKT_PKfPKi31ggml_cuda_mm_fusion_args_devicePfi15HIP_vector_typeIjLj3EEiiiSB_iiiSB_iiii.kd
    .uniform_work_group_size: 1
    .uses_dynamic_stack: false
    .vgpr_count:     20
    .vgpr_spill_count: 0
    .wavefront_size: 32
    .workgroup_processor_mode: 1
  - .args:
      - .address_space:  global
        .offset:         0
        .size:           8
        .value_kind:     global_buffer
      - .address_space:  global
        .offset:         8
        .size:           8
        .value_kind:     global_buffer
      - .address_space:  global
        .offset:         16
        .size:           8
        .value_kind:     global_buffer
      - .offset:         24
        .size:           32
        .value_kind:     by_value
      - .address_space:  global
        .offset:         56
        .size:           8
        .value_kind:     global_buffer
      - .offset:         64
        .size:           4
        .value_kind:     by_value
      - .offset:         68
        .size:           12
        .value_kind:     by_value
      - .offset:         80
        .size:           4
        .value_kind:     by_value
      - .offset:         84
        .size:           4
        .value_kind:     by_value
      - .offset:         88
        .size:           4
        .value_kind:     by_value
      - .offset:         92
        .size:           12
        .value_kind:     by_value
      - .offset:         104
        .size:           4
        .value_kind:     by_value
      - .offset:         108
        .size:           4
        .value_kind:     by_value
      - .offset:         112
        .size:           4
        .value_kind:     by_value
      - .offset:         116
        .size:           12
        .value_kind:     by_value
      - .offset:         128
        .size:           4
        .value_kind:     by_value
      - .offset:         132
        .size:           4
        .value_kind:     by_value
      - .offset:         136
        .size:           4
        .value_kind:     by_value
      - .offset:         140
        .size:           4
        .value_kind:     by_value
    .group_segment_fixed_size: 0
    .kernarg_segment_align: 8
    .kernarg_segment_size: 144
    .language:       OpenCL C
    .language_version:
      - 2
      - 0
    .max_flat_workgroup_size: 1024
    .name:           _ZL13mul_mat_vec_fI6__halffLi4ELi96ELb0ELb0EEvPKT_PKfPKi31ggml_cuda_mm_fusion_args_devicePfi15HIP_vector_typeIjLj3EEiiiSB_iiiSB_iiii
    .private_segment_fixed_size: 0
    .sgpr_count:     38
    .sgpr_spill_count: 0
    .symbol:         _ZL13mul_mat_vec_fI6__halffLi4ELi96ELb0ELb0EEvPKT_PKfPKi31ggml_cuda_mm_fusion_args_devicePfi15HIP_vector_typeIjLj3EEiiiSB_iiiSB_iiii.kd
    .uniform_work_group_size: 1
    .uses_dynamic_stack: false
    .vgpr_count:     20
    .vgpr_spill_count: 0
    .wavefront_size: 32
    .workgroup_processor_mode: 1
  - .args:
      - .address_space:  global
        .offset:         0
        .size:           8
        .value_kind:     global_buffer
      - .address_space:  global
        .offset:         8
        .size:           8
        .value_kind:     global_buffer
      - .address_space:  global
        .offset:         16
        .size:           8
        .value_kind:     global_buffer
      - .offset:         24
        .size:           32
        .value_kind:     by_value
      - .address_space:  global
        .offset:         56
        .size:           8
        .value_kind:     global_buffer
      - .offset:         64
        .size:           4
        .value_kind:     by_value
      - .offset:         68
        .size:           12
        .value_kind:     by_value
      - .offset:         80
        .size:           4
        .value_kind:     by_value
      - .offset:         84
        .size:           4
        .value_kind:     by_value
      - .offset:         88
        .size:           4
        .value_kind:     by_value
      - .offset:         92
        .size:           12
        .value_kind:     by_value
      - .offset:         104
        .size:           4
        .value_kind:     by_value
      - .offset:         108
        .size:           4
        .value_kind:     by_value
      - .offset:         112
        .size:           4
        .value_kind:     by_value
      - .offset:         116
        .size:           12
        .value_kind:     by_value
      - .offset:         128
        .size:           4
        .value_kind:     by_value
      - .offset:         132
        .size:           4
        .value_kind:     by_value
      - .offset:         136
        .size:           4
        .value_kind:     by_value
      - .offset:         140
        .size:           4
        .value_kind:     by_value
    .group_segment_fixed_size: 0
    .kernarg_segment_align: 8
    .kernarg_segment_size: 144
    .language:       OpenCL C
    .language_version:
      - 2
      - 0
    .max_flat_workgroup_size: 1024
    .name:           _ZL13mul_mat_vec_fI6__halffLi4ELi128ELb0ELb0EEvPKT_PKfPKi31ggml_cuda_mm_fusion_args_devicePfi15HIP_vector_typeIjLj3EEiiiSB_iiiSB_iiii
    .private_segment_fixed_size: 0
    .sgpr_count:     38
    .sgpr_spill_count: 0
    .symbol:         _ZL13mul_mat_vec_fI6__halffLi4ELi128ELb0ELb0EEvPKT_PKfPKi31ggml_cuda_mm_fusion_args_devicePfi15HIP_vector_typeIjLj3EEiiiSB_iiiSB_iiii.kd
    .uniform_work_group_size: 1
    .uses_dynamic_stack: false
    .vgpr_count:     20
    .vgpr_spill_count: 0
    .wavefront_size: 32
    .workgroup_processor_mode: 1
  - .args:
      - .address_space:  global
        .offset:         0
        .size:           8
        .value_kind:     global_buffer
      - .address_space:  global
        .offset:         8
        .size:           8
        .value_kind:     global_buffer
      - .address_space:  global
        .offset:         16
        .size:           8
        .value_kind:     global_buffer
      - .offset:         24
        .size:           32
        .value_kind:     by_value
      - .address_space:  global
        .offset:         56
        .size:           8
        .value_kind:     global_buffer
      - .offset:         64
        .size:           4
        .value_kind:     by_value
      - .offset:         68
        .size:           12
        .value_kind:     by_value
      - .offset:         80
        .size:           4
        .value_kind:     by_value
      - .offset:         84
        .size:           4
        .value_kind:     by_value
      - .offset:         88
        .size:           4
        .value_kind:     by_value
      - .offset:         92
        .size:           12
        .value_kind:     by_value
      - .offset:         104
        .size:           4
        .value_kind:     by_value
      - .offset:         108
        .size:           4
        .value_kind:     by_value
      - .offset:         112
        .size:           4
        .value_kind:     by_value
      - .offset:         116
        .size:           12
        .value_kind:     by_value
      - .offset:         128
        .size:           4
        .value_kind:     by_value
      - .offset:         132
        .size:           4
        .value_kind:     by_value
      - .offset:         136
        .size:           4
        .value_kind:     by_value
      - .offset:         140
        .size:           4
        .value_kind:     by_value
    .group_segment_fixed_size: 0
    .kernarg_segment_align: 8
    .kernarg_segment_size: 144
    .language:       OpenCL C
    .language_version:
      - 2
      - 0
    .max_flat_workgroup_size: 1024
    .name:           _ZL13mul_mat_vec_fI6__halffLi4ELi160ELb0ELb0EEvPKT_PKfPKi31ggml_cuda_mm_fusion_args_devicePfi15HIP_vector_typeIjLj3EEiiiSB_iiiSB_iiii
    .private_segment_fixed_size: 0
    .sgpr_count:     38
    .sgpr_spill_count: 0
    .symbol:         _ZL13mul_mat_vec_fI6__halffLi4ELi160ELb0ELb0EEvPKT_PKfPKi31ggml_cuda_mm_fusion_args_devicePfi15HIP_vector_typeIjLj3EEiiiSB_iiiSB_iiii.kd
    .uniform_work_group_size: 1
    .uses_dynamic_stack: false
    .vgpr_count:     20
    .vgpr_spill_count: 0
    .wavefront_size: 32
    .workgroup_processor_mode: 1
  - .args:
      - .address_space:  global
        .offset:         0
        .size:           8
        .value_kind:     global_buffer
      - .address_space:  global
        .offset:         8
        .size:           8
        .value_kind:     global_buffer
      - .address_space:  global
        .offset:         16
        .size:           8
        .value_kind:     global_buffer
      - .offset:         24
        .size:           32
        .value_kind:     by_value
      - .address_space:  global
        .offset:         56
        .size:           8
        .value_kind:     global_buffer
      - .offset:         64
        .size:           4
        .value_kind:     by_value
      - .offset:         68
        .size:           12
        .value_kind:     by_value
      - .offset:         80
        .size:           4
        .value_kind:     by_value
      - .offset:         84
        .size:           4
        .value_kind:     by_value
      - .offset:         88
        .size:           4
        .value_kind:     by_value
      - .offset:         92
        .size:           12
        .value_kind:     by_value
      - .offset:         104
        .size:           4
        .value_kind:     by_value
      - .offset:         108
        .size:           4
        .value_kind:     by_value
      - .offset:         112
        .size:           4
        .value_kind:     by_value
      - .offset:         116
        .size:           12
        .value_kind:     by_value
      - .offset:         128
        .size:           4
        .value_kind:     by_value
      - .offset:         132
        .size:           4
        .value_kind:     by_value
      - .offset:         136
        .size:           4
        .value_kind:     by_value
      - .offset:         140
        .size:           4
        .value_kind:     by_value
    .group_segment_fixed_size: 0
    .kernarg_segment_align: 8
    .kernarg_segment_size: 144
    .language:       OpenCL C
    .language_version:
      - 2
      - 0
    .max_flat_workgroup_size: 1024
    .name:           _ZL13mul_mat_vec_fI6__halffLi4ELi192ELb0ELb0EEvPKT_PKfPKi31ggml_cuda_mm_fusion_args_devicePfi15HIP_vector_typeIjLj3EEiiiSB_iiiSB_iiii
    .private_segment_fixed_size: 0
    .sgpr_count:     38
    .sgpr_spill_count: 0
    .symbol:         _ZL13mul_mat_vec_fI6__halffLi4ELi192ELb0ELb0EEvPKT_PKfPKi31ggml_cuda_mm_fusion_args_devicePfi15HIP_vector_typeIjLj3EEiiiSB_iiiSB_iiii.kd
    .uniform_work_group_size: 1
    .uses_dynamic_stack: false
    .vgpr_count:     20
    .vgpr_spill_count: 0
    .wavefront_size: 32
    .workgroup_processor_mode: 1
  - .args:
      - .address_space:  global
        .offset:         0
        .size:           8
        .value_kind:     global_buffer
      - .address_space:  global
        .offset:         8
        .size:           8
        .value_kind:     global_buffer
      - .address_space:  global
        .offset:         16
        .size:           8
        .value_kind:     global_buffer
      - .offset:         24
        .size:           32
        .value_kind:     by_value
      - .address_space:  global
        .offset:         56
        .size:           8
        .value_kind:     global_buffer
      - .offset:         64
        .size:           4
        .value_kind:     by_value
      - .offset:         68
        .size:           12
        .value_kind:     by_value
      - .offset:         80
        .size:           4
        .value_kind:     by_value
      - .offset:         84
        .size:           4
        .value_kind:     by_value
      - .offset:         88
        .size:           4
        .value_kind:     by_value
      - .offset:         92
        .size:           12
        .value_kind:     by_value
      - .offset:         104
        .size:           4
        .value_kind:     by_value
      - .offset:         108
        .size:           4
        .value_kind:     by_value
      - .offset:         112
        .size:           4
        .value_kind:     by_value
      - .offset:         116
        .size:           12
        .value_kind:     by_value
      - .offset:         128
        .size:           4
        .value_kind:     by_value
      - .offset:         132
        .size:           4
        .value_kind:     by_value
      - .offset:         136
        .size:           4
        .value_kind:     by_value
      - .offset:         140
        .size:           4
        .value_kind:     by_value
    .group_segment_fixed_size: 0
    .kernarg_segment_align: 8
    .kernarg_segment_size: 144
    .language:       OpenCL C
    .language_version:
      - 2
      - 0
    .max_flat_workgroup_size: 1024
    .name:           _ZL13mul_mat_vec_fI6__halffLi4ELi224ELb0ELb0EEvPKT_PKfPKi31ggml_cuda_mm_fusion_args_devicePfi15HIP_vector_typeIjLj3EEiiiSB_iiiSB_iiii
    .private_segment_fixed_size: 0
    .sgpr_count:     38
    .sgpr_spill_count: 0
    .symbol:         _ZL13mul_mat_vec_fI6__halffLi4ELi224ELb0ELb0EEvPKT_PKfPKi31ggml_cuda_mm_fusion_args_devicePfi15HIP_vector_typeIjLj3EEiiiSB_iiiSB_iiii.kd
    .uniform_work_group_size: 1
    .uses_dynamic_stack: false
    .vgpr_count:     20
    .vgpr_spill_count: 0
    .wavefront_size: 32
    .workgroup_processor_mode: 1
  - .args:
      - .address_space:  global
        .offset:         0
        .size:           8
        .value_kind:     global_buffer
      - .address_space:  global
        .offset:         8
        .size:           8
        .value_kind:     global_buffer
      - .address_space:  global
        .offset:         16
        .size:           8
        .value_kind:     global_buffer
      - .offset:         24
        .size:           32
        .value_kind:     by_value
      - .address_space:  global
        .offset:         56
        .size:           8
        .value_kind:     global_buffer
      - .offset:         64
        .size:           4
        .value_kind:     by_value
      - .offset:         68
        .size:           12
        .value_kind:     by_value
      - .offset:         80
        .size:           4
        .value_kind:     by_value
      - .offset:         84
        .size:           4
        .value_kind:     by_value
      - .offset:         88
        .size:           4
        .value_kind:     by_value
      - .offset:         92
        .size:           12
        .value_kind:     by_value
      - .offset:         104
        .size:           4
        .value_kind:     by_value
      - .offset:         108
        .size:           4
        .value_kind:     by_value
      - .offset:         112
        .size:           4
        .value_kind:     by_value
      - .offset:         116
        .size:           12
        .value_kind:     by_value
      - .offset:         128
        .size:           4
        .value_kind:     by_value
      - .offset:         132
        .size:           4
        .value_kind:     by_value
      - .offset:         136
        .size:           4
        .value_kind:     by_value
      - .offset:         140
        .size:           4
        .value_kind:     by_value
    .group_segment_fixed_size: 0
    .kernarg_segment_align: 8
    .kernarg_segment_size: 144
    .language:       OpenCL C
    .language_version:
      - 2
      - 0
    .max_flat_workgroup_size: 1024
    .name:           _ZL13mul_mat_vec_fI6__halffLi4ELi256ELb0ELb0EEvPKT_PKfPKi31ggml_cuda_mm_fusion_args_devicePfi15HIP_vector_typeIjLj3EEiiiSB_iiiSB_iiii
    .private_segment_fixed_size: 0
    .sgpr_count:     38
    .sgpr_spill_count: 0
    .symbol:         _ZL13mul_mat_vec_fI6__halffLi4ELi256ELb0ELb0EEvPKT_PKfPKi31ggml_cuda_mm_fusion_args_devicePfi15HIP_vector_typeIjLj3EEiiiSB_iiiSB_iiii.kd
    .uniform_work_group_size: 1
    .uses_dynamic_stack: false
    .vgpr_count:     20
    .vgpr_spill_count: 0
    .wavefront_size: 32
    .workgroup_processor_mode: 1
  - .args:
      - .address_space:  global
        .offset:         0
        .size:           8
        .value_kind:     global_buffer
      - .address_space:  global
        .offset:         8
        .size:           8
        .value_kind:     global_buffer
      - .address_space:  global
        .offset:         16
        .size:           8
        .value_kind:     global_buffer
      - .offset:         24
        .size:           32
        .value_kind:     by_value
      - .address_space:  global
        .offset:         56
        .size:           8
        .value_kind:     global_buffer
      - .offset:         64
        .size:           4
        .value_kind:     by_value
      - .offset:         68
        .size:           12
        .value_kind:     by_value
      - .offset:         80
        .size:           4
        .value_kind:     by_value
      - .offset:         84
        .size:           4
        .value_kind:     by_value
      - .offset:         88
        .size:           4
        .value_kind:     by_value
      - .offset:         92
        .size:           12
        .value_kind:     by_value
      - .offset:         104
        .size:           4
        .value_kind:     by_value
      - .offset:         108
        .size:           4
        .value_kind:     by_value
      - .offset:         112
        .size:           4
        .value_kind:     by_value
      - .offset:         116
        .size:           12
        .value_kind:     by_value
      - .offset:         128
        .size:           4
        .value_kind:     by_value
      - .offset:         132
        .size:           4
        .value_kind:     by_value
      - .offset:         136
        .size:           4
        .value_kind:     by_value
      - .offset:         140
        .size:           4
        .value_kind:     by_value
    .group_segment_fixed_size: 0
    .kernarg_segment_align: 8
    .kernarg_segment_size: 144
    .language:       OpenCL C
    .language_version:
      - 2
      - 0
    .max_flat_workgroup_size: 1024
    .name:           _ZL13mul_mat_vec_fI6__halffLi5ELi32ELb0ELb0EEvPKT_PKfPKi31ggml_cuda_mm_fusion_args_devicePfi15HIP_vector_typeIjLj3EEiiiSB_iiiSB_iiii
    .private_segment_fixed_size: 0
    .sgpr_count:     38
    .sgpr_spill_count: 0
    .symbol:         _ZL13mul_mat_vec_fI6__halffLi5ELi32ELb0ELb0EEvPKT_PKfPKi31ggml_cuda_mm_fusion_args_devicePfi15HIP_vector_typeIjLj3EEiiiSB_iiiSB_iiii.kd
    .uniform_work_group_size: 1
    .uses_dynamic_stack: false
    .vgpr_count:     22
    .vgpr_spill_count: 0
    .wavefront_size: 32
    .workgroup_processor_mode: 1
  - .args:
      - .address_space:  global
        .offset:         0
        .size:           8
        .value_kind:     global_buffer
      - .address_space:  global
        .offset:         8
        .size:           8
        .value_kind:     global_buffer
      - .address_space:  global
        .offset:         16
        .size:           8
        .value_kind:     global_buffer
      - .offset:         24
        .size:           32
        .value_kind:     by_value
      - .address_space:  global
        .offset:         56
        .size:           8
        .value_kind:     global_buffer
      - .offset:         64
        .size:           4
        .value_kind:     by_value
      - .offset:         68
        .size:           12
        .value_kind:     by_value
      - .offset:         80
        .size:           4
        .value_kind:     by_value
      - .offset:         84
        .size:           4
        .value_kind:     by_value
      - .offset:         88
        .size:           4
        .value_kind:     by_value
      - .offset:         92
        .size:           12
        .value_kind:     by_value
      - .offset:         104
        .size:           4
        .value_kind:     by_value
      - .offset:         108
        .size:           4
        .value_kind:     by_value
      - .offset:         112
        .size:           4
        .value_kind:     by_value
      - .offset:         116
        .size:           12
        .value_kind:     by_value
      - .offset:         128
        .size:           4
        .value_kind:     by_value
      - .offset:         132
        .size:           4
        .value_kind:     by_value
      - .offset:         136
        .size:           4
        .value_kind:     by_value
      - .offset:         140
        .size:           4
        .value_kind:     by_value
    .group_segment_fixed_size: 0
    .kernarg_segment_align: 8
    .kernarg_segment_size: 144
    .language:       OpenCL C
    .language_version:
      - 2
      - 0
    .max_flat_workgroup_size: 1024
    .name:           _ZL13mul_mat_vec_fI6__halffLi5ELi64ELb0ELb0EEvPKT_PKfPKi31ggml_cuda_mm_fusion_args_devicePfi15HIP_vector_typeIjLj3EEiiiSB_iiiSB_iiii
    .private_segment_fixed_size: 0
    .sgpr_count:     38
    .sgpr_spill_count: 0
    .symbol:         _ZL13mul_mat_vec_fI6__halffLi5ELi64ELb0ELb0EEvPKT_PKfPKi31ggml_cuda_mm_fusion_args_devicePfi15HIP_vector_typeIjLj3EEiiiSB_iiiSB_iiii.kd
    .uniform_work_group_size: 1
    .uses_dynamic_stack: false
    .vgpr_count:     23
    .vgpr_spill_count: 0
    .wavefront_size: 32
    .workgroup_processor_mode: 1
  - .args:
      - .address_space:  global
        .offset:         0
        .size:           8
        .value_kind:     global_buffer
      - .address_space:  global
        .offset:         8
        .size:           8
        .value_kind:     global_buffer
      - .address_space:  global
        .offset:         16
        .size:           8
        .value_kind:     global_buffer
      - .offset:         24
        .size:           32
        .value_kind:     by_value
      - .address_space:  global
        .offset:         56
        .size:           8
        .value_kind:     global_buffer
      - .offset:         64
        .size:           4
        .value_kind:     by_value
      - .offset:         68
        .size:           12
        .value_kind:     by_value
      - .offset:         80
        .size:           4
        .value_kind:     by_value
      - .offset:         84
        .size:           4
        .value_kind:     by_value
      - .offset:         88
        .size:           4
        .value_kind:     by_value
      - .offset:         92
        .size:           12
        .value_kind:     by_value
      - .offset:         104
        .size:           4
        .value_kind:     by_value
      - .offset:         108
        .size:           4
        .value_kind:     by_value
      - .offset:         112
        .size:           4
        .value_kind:     by_value
      - .offset:         116
        .size:           12
        .value_kind:     by_value
      - .offset:         128
        .size:           4
        .value_kind:     by_value
      - .offset:         132
        .size:           4
        .value_kind:     by_value
      - .offset:         136
        .size:           4
        .value_kind:     by_value
      - .offset:         140
        .size:           4
        .value_kind:     by_value
    .group_segment_fixed_size: 0
    .kernarg_segment_align: 8
    .kernarg_segment_size: 144
    .language:       OpenCL C
    .language_version:
      - 2
      - 0
    .max_flat_workgroup_size: 1024
    .name:           _ZL13mul_mat_vec_fI6__halffLi5ELi96ELb0ELb0EEvPKT_PKfPKi31ggml_cuda_mm_fusion_args_devicePfi15HIP_vector_typeIjLj3EEiiiSB_iiiSB_iiii
    .private_segment_fixed_size: 0
    .sgpr_count:     38
    .sgpr_spill_count: 0
    .symbol:         _ZL13mul_mat_vec_fI6__halffLi5ELi96ELb0ELb0EEvPKT_PKfPKi31ggml_cuda_mm_fusion_args_devicePfi15HIP_vector_typeIjLj3EEiiiSB_iiiSB_iiii.kd
    .uniform_work_group_size: 1
    .uses_dynamic_stack: false
    .vgpr_count:     23
    .vgpr_spill_count: 0
    .wavefront_size: 32
    .workgroup_processor_mode: 1
  - .args:
      - .address_space:  global
        .offset:         0
        .size:           8
        .value_kind:     global_buffer
      - .address_space:  global
        .offset:         8
        .size:           8
        .value_kind:     global_buffer
      - .address_space:  global
        .offset:         16
        .size:           8
        .value_kind:     global_buffer
      - .offset:         24
        .size:           32
        .value_kind:     by_value
      - .address_space:  global
        .offset:         56
        .size:           8
        .value_kind:     global_buffer
      - .offset:         64
        .size:           4
        .value_kind:     by_value
      - .offset:         68
        .size:           12
        .value_kind:     by_value
      - .offset:         80
        .size:           4
        .value_kind:     by_value
      - .offset:         84
        .size:           4
        .value_kind:     by_value
      - .offset:         88
        .size:           4
        .value_kind:     by_value
      - .offset:         92
        .size:           12
        .value_kind:     by_value
      - .offset:         104
        .size:           4
        .value_kind:     by_value
      - .offset:         108
        .size:           4
        .value_kind:     by_value
      - .offset:         112
        .size:           4
        .value_kind:     by_value
      - .offset:         116
        .size:           12
        .value_kind:     by_value
      - .offset:         128
        .size:           4
        .value_kind:     by_value
      - .offset:         132
        .size:           4
        .value_kind:     by_value
      - .offset:         136
        .size:           4
        .value_kind:     by_value
      - .offset:         140
        .size:           4
        .value_kind:     by_value
    .group_segment_fixed_size: 0
    .kernarg_segment_align: 8
    .kernarg_segment_size: 144
    .language:       OpenCL C
    .language_version:
      - 2
      - 0
    .max_flat_workgroup_size: 1024
    .name:           _ZL13mul_mat_vec_fI6__halffLi5ELi128ELb0ELb0EEvPKT_PKfPKi31ggml_cuda_mm_fusion_args_devicePfi15HIP_vector_typeIjLj3EEiiiSB_iiiSB_iiii
    .private_segment_fixed_size: 0
    .sgpr_count:     38
    .sgpr_spill_count: 0
    .symbol:         _ZL13mul_mat_vec_fI6__halffLi5ELi128ELb0ELb0EEvPKT_PKfPKi31ggml_cuda_mm_fusion_args_devicePfi15HIP_vector_typeIjLj3EEiiiSB_iiiSB_iiii.kd
    .uniform_work_group_size: 1
    .uses_dynamic_stack: false
    .vgpr_count:     23
    .vgpr_spill_count: 0
    .wavefront_size: 32
    .workgroup_processor_mode: 1
  - .args:
      - .address_space:  global
        .offset:         0
        .size:           8
        .value_kind:     global_buffer
      - .address_space:  global
        .offset:         8
        .size:           8
        .value_kind:     global_buffer
      - .address_space:  global
        .offset:         16
        .size:           8
        .value_kind:     global_buffer
      - .offset:         24
        .size:           32
        .value_kind:     by_value
      - .address_space:  global
        .offset:         56
        .size:           8
        .value_kind:     global_buffer
      - .offset:         64
        .size:           4
        .value_kind:     by_value
      - .offset:         68
        .size:           12
        .value_kind:     by_value
      - .offset:         80
        .size:           4
        .value_kind:     by_value
      - .offset:         84
        .size:           4
        .value_kind:     by_value
      - .offset:         88
        .size:           4
        .value_kind:     by_value
      - .offset:         92
        .size:           12
        .value_kind:     by_value
      - .offset:         104
        .size:           4
        .value_kind:     by_value
      - .offset:         108
        .size:           4
        .value_kind:     by_value
      - .offset:         112
        .size:           4
        .value_kind:     by_value
      - .offset:         116
        .size:           12
        .value_kind:     by_value
      - .offset:         128
        .size:           4
        .value_kind:     by_value
      - .offset:         132
        .size:           4
        .value_kind:     by_value
      - .offset:         136
        .size:           4
        .value_kind:     by_value
      - .offset:         140
        .size:           4
        .value_kind:     by_value
    .group_segment_fixed_size: 0
    .kernarg_segment_align: 8
    .kernarg_segment_size: 144
    .language:       OpenCL C
    .language_version:
      - 2
      - 0
    .max_flat_workgroup_size: 1024
    .name:           _ZL13mul_mat_vec_fI6__halffLi5ELi160ELb0ELb0EEvPKT_PKfPKi31ggml_cuda_mm_fusion_args_devicePfi15HIP_vector_typeIjLj3EEiiiSB_iiiSB_iiii
    .private_segment_fixed_size: 0
    .sgpr_count:     38
    .sgpr_spill_count: 0
    .symbol:         _ZL13mul_mat_vec_fI6__halffLi5ELi160ELb0ELb0EEvPKT_PKfPKi31ggml_cuda_mm_fusion_args_devicePfi15HIP_vector_typeIjLj3EEiiiSB_iiiSB_iiii.kd
    .uniform_work_group_size: 1
    .uses_dynamic_stack: false
    .vgpr_count:     23
    .vgpr_spill_count: 0
    .wavefront_size: 32
    .workgroup_processor_mode: 1
  - .args:
      - .address_space:  global
        .offset:         0
        .size:           8
        .value_kind:     global_buffer
      - .address_space:  global
        .offset:         8
        .size:           8
        .value_kind:     global_buffer
      - .address_space:  global
        .offset:         16
        .size:           8
        .value_kind:     global_buffer
      - .offset:         24
        .size:           32
        .value_kind:     by_value
      - .address_space:  global
        .offset:         56
        .size:           8
        .value_kind:     global_buffer
      - .offset:         64
        .size:           4
        .value_kind:     by_value
      - .offset:         68
        .size:           12
        .value_kind:     by_value
      - .offset:         80
        .size:           4
        .value_kind:     by_value
      - .offset:         84
        .size:           4
        .value_kind:     by_value
      - .offset:         88
        .size:           4
        .value_kind:     by_value
      - .offset:         92
        .size:           12
        .value_kind:     by_value
      - .offset:         104
        .size:           4
        .value_kind:     by_value
      - .offset:         108
        .size:           4
        .value_kind:     by_value
      - .offset:         112
        .size:           4
        .value_kind:     by_value
      - .offset:         116
        .size:           12
        .value_kind:     by_value
      - .offset:         128
        .size:           4
        .value_kind:     by_value
      - .offset:         132
        .size:           4
        .value_kind:     by_value
      - .offset:         136
        .size:           4
        .value_kind:     by_value
      - .offset:         140
        .size:           4
        .value_kind:     by_value
    .group_segment_fixed_size: 0
    .kernarg_segment_align: 8
    .kernarg_segment_size: 144
    .language:       OpenCL C
    .language_version:
      - 2
      - 0
    .max_flat_workgroup_size: 1024
    .name:           _ZL13mul_mat_vec_fI6__halffLi5ELi192ELb0ELb0EEvPKT_PKfPKi31ggml_cuda_mm_fusion_args_devicePfi15HIP_vector_typeIjLj3EEiiiSB_iiiSB_iiii
    .private_segment_fixed_size: 0
    .sgpr_count:     38
    .sgpr_spill_count: 0
    .symbol:         _ZL13mul_mat_vec_fI6__halffLi5ELi192ELb0ELb0EEvPKT_PKfPKi31ggml_cuda_mm_fusion_args_devicePfi15HIP_vector_typeIjLj3EEiiiSB_iiiSB_iiii.kd
    .uniform_work_group_size: 1
    .uses_dynamic_stack: false
    .vgpr_count:     23
    .vgpr_spill_count: 0
    .wavefront_size: 32
    .workgroup_processor_mode: 1
  - .args:
      - .address_space:  global
        .offset:         0
        .size:           8
        .value_kind:     global_buffer
      - .address_space:  global
        .offset:         8
        .size:           8
        .value_kind:     global_buffer
      - .address_space:  global
        .offset:         16
        .size:           8
        .value_kind:     global_buffer
      - .offset:         24
        .size:           32
        .value_kind:     by_value
      - .address_space:  global
        .offset:         56
        .size:           8
        .value_kind:     global_buffer
      - .offset:         64
        .size:           4
        .value_kind:     by_value
      - .offset:         68
        .size:           12
        .value_kind:     by_value
      - .offset:         80
        .size:           4
        .value_kind:     by_value
      - .offset:         84
        .size:           4
        .value_kind:     by_value
      - .offset:         88
        .size:           4
        .value_kind:     by_value
      - .offset:         92
        .size:           12
        .value_kind:     by_value
      - .offset:         104
        .size:           4
        .value_kind:     by_value
      - .offset:         108
        .size:           4
        .value_kind:     by_value
      - .offset:         112
        .size:           4
        .value_kind:     by_value
      - .offset:         116
        .size:           12
        .value_kind:     by_value
      - .offset:         128
        .size:           4
        .value_kind:     by_value
      - .offset:         132
        .size:           4
        .value_kind:     by_value
      - .offset:         136
        .size:           4
        .value_kind:     by_value
      - .offset:         140
        .size:           4
        .value_kind:     by_value
    .group_segment_fixed_size: 0
    .kernarg_segment_align: 8
    .kernarg_segment_size: 144
    .language:       OpenCL C
    .language_version:
      - 2
      - 0
    .max_flat_workgroup_size: 1024
    .name:           _ZL13mul_mat_vec_fI6__halffLi5ELi224ELb0ELb0EEvPKT_PKfPKi31ggml_cuda_mm_fusion_args_devicePfi15HIP_vector_typeIjLj3EEiiiSB_iiiSB_iiii
    .private_segment_fixed_size: 0
    .sgpr_count:     38
    .sgpr_spill_count: 0
    .symbol:         _ZL13mul_mat_vec_fI6__halffLi5ELi224ELb0ELb0EEvPKT_PKfPKi31ggml_cuda_mm_fusion_args_devicePfi15HIP_vector_typeIjLj3EEiiiSB_iiiSB_iiii.kd
    .uniform_work_group_size: 1
    .uses_dynamic_stack: false
    .vgpr_count:     23
    .vgpr_spill_count: 0
    .wavefront_size: 32
    .workgroup_processor_mode: 1
  - .args:
      - .address_space:  global
        .offset:         0
        .size:           8
        .value_kind:     global_buffer
      - .address_space:  global
        .offset:         8
        .size:           8
        .value_kind:     global_buffer
      - .address_space:  global
        .offset:         16
        .size:           8
        .value_kind:     global_buffer
      - .offset:         24
        .size:           32
        .value_kind:     by_value
      - .address_space:  global
        .offset:         56
        .size:           8
        .value_kind:     global_buffer
      - .offset:         64
        .size:           4
        .value_kind:     by_value
      - .offset:         68
        .size:           12
        .value_kind:     by_value
      - .offset:         80
        .size:           4
        .value_kind:     by_value
      - .offset:         84
        .size:           4
        .value_kind:     by_value
      - .offset:         88
        .size:           4
        .value_kind:     by_value
      - .offset:         92
        .size:           12
        .value_kind:     by_value
      - .offset:         104
        .size:           4
        .value_kind:     by_value
      - .offset:         108
        .size:           4
        .value_kind:     by_value
      - .offset:         112
        .size:           4
        .value_kind:     by_value
      - .offset:         116
        .size:           12
        .value_kind:     by_value
      - .offset:         128
        .size:           4
        .value_kind:     by_value
      - .offset:         132
        .size:           4
        .value_kind:     by_value
      - .offset:         136
        .size:           4
        .value_kind:     by_value
      - .offset:         140
        .size:           4
        .value_kind:     by_value
    .group_segment_fixed_size: 0
    .kernarg_segment_align: 8
    .kernarg_segment_size: 144
    .language:       OpenCL C
    .language_version:
      - 2
      - 0
    .max_flat_workgroup_size: 1024
    .name:           _ZL13mul_mat_vec_fI6__halffLi5ELi256ELb0ELb0EEvPKT_PKfPKi31ggml_cuda_mm_fusion_args_devicePfi15HIP_vector_typeIjLj3EEiiiSB_iiiSB_iiii
    .private_segment_fixed_size: 0
    .sgpr_count:     38
    .sgpr_spill_count: 0
    .symbol:         _ZL13mul_mat_vec_fI6__halffLi5ELi256ELb0ELb0EEvPKT_PKfPKi31ggml_cuda_mm_fusion_args_devicePfi15HIP_vector_typeIjLj3EEiiiSB_iiiSB_iiii.kd
    .uniform_work_group_size: 1
    .uses_dynamic_stack: false
    .vgpr_count:     23
    .vgpr_spill_count: 0
    .wavefront_size: 32
    .workgroup_processor_mode: 1
  - .args:
      - .address_space:  global
        .offset:         0
        .size:           8
        .value_kind:     global_buffer
      - .address_space:  global
        .offset:         8
        .size:           8
        .value_kind:     global_buffer
      - .address_space:  global
        .offset:         16
        .size:           8
        .value_kind:     global_buffer
      - .offset:         24
        .size:           32
        .value_kind:     by_value
      - .address_space:  global
        .offset:         56
        .size:           8
        .value_kind:     global_buffer
      - .offset:         64
        .size:           4
        .value_kind:     by_value
      - .offset:         68
        .size:           12
        .value_kind:     by_value
      - .offset:         80
        .size:           4
        .value_kind:     by_value
      - .offset:         84
        .size:           4
        .value_kind:     by_value
      - .offset:         88
        .size:           4
        .value_kind:     by_value
      - .offset:         92
        .size:           12
        .value_kind:     by_value
      - .offset:         104
        .size:           4
        .value_kind:     by_value
      - .offset:         108
        .size:           4
        .value_kind:     by_value
      - .offset:         112
        .size:           4
        .value_kind:     by_value
      - .offset:         116
        .size:           12
        .value_kind:     by_value
      - .offset:         128
        .size:           4
        .value_kind:     by_value
      - .offset:         132
        .size:           4
        .value_kind:     by_value
      - .offset:         136
        .size:           4
        .value_kind:     by_value
      - .offset:         140
        .size:           4
        .value_kind:     by_value
    .group_segment_fixed_size: 0
    .kernarg_segment_align: 8
    .kernarg_segment_size: 144
    .language:       OpenCL C
    .language_version:
      - 2
      - 0
    .max_flat_workgroup_size: 1024
    .name:           _ZL13mul_mat_vec_fI6__halffLi6ELi32ELb0ELb0EEvPKT_PKfPKi31ggml_cuda_mm_fusion_args_devicePfi15HIP_vector_typeIjLj3EEiiiSB_iiiSB_iiii
    .private_segment_fixed_size: 0
    .sgpr_count:     38
    .sgpr_spill_count: 0
    .symbol:         _ZL13mul_mat_vec_fI6__halffLi6ELi32ELb0ELb0EEvPKT_PKfPKi31ggml_cuda_mm_fusion_args_devicePfi15HIP_vector_typeIjLj3EEiiiSB_iiiSB_iiii.kd
    .uniform_work_group_size: 1
    .uses_dynamic_stack: false
    .vgpr_count:     25
    .vgpr_spill_count: 0
    .wavefront_size: 32
    .workgroup_processor_mode: 1
  - .args:
      - .address_space:  global
        .offset:         0
        .size:           8
        .value_kind:     global_buffer
      - .address_space:  global
        .offset:         8
        .size:           8
        .value_kind:     global_buffer
      - .address_space:  global
        .offset:         16
        .size:           8
        .value_kind:     global_buffer
      - .offset:         24
        .size:           32
        .value_kind:     by_value
      - .address_space:  global
        .offset:         56
        .size:           8
        .value_kind:     global_buffer
      - .offset:         64
        .size:           4
        .value_kind:     by_value
      - .offset:         68
        .size:           12
        .value_kind:     by_value
      - .offset:         80
        .size:           4
        .value_kind:     by_value
      - .offset:         84
        .size:           4
        .value_kind:     by_value
      - .offset:         88
        .size:           4
        .value_kind:     by_value
      - .offset:         92
        .size:           12
        .value_kind:     by_value
      - .offset:         104
        .size:           4
        .value_kind:     by_value
      - .offset:         108
        .size:           4
        .value_kind:     by_value
      - .offset:         112
        .size:           4
        .value_kind:     by_value
      - .offset:         116
        .size:           12
        .value_kind:     by_value
      - .offset:         128
        .size:           4
        .value_kind:     by_value
      - .offset:         132
        .size:           4
        .value_kind:     by_value
      - .offset:         136
        .size:           4
        .value_kind:     by_value
      - .offset:         140
        .size:           4
        .value_kind:     by_value
    .group_segment_fixed_size: 0
    .kernarg_segment_align: 8
    .kernarg_segment_size: 144
    .language:       OpenCL C
    .language_version:
      - 2
      - 0
    .max_flat_workgroup_size: 1024
    .name:           _ZL13mul_mat_vec_fI6__halffLi6ELi64ELb0ELb0EEvPKT_PKfPKi31ggml_cuda_mm_fusion_args_devicePfi15HIP_vector_typeIjLj3EEiiiSB_iiiSB_iiii
    .private_segment_fixed_size: 0
    .sgpr_count:     38
    .sgpr_spill_count: 0
    .symbol:         _ZL13mul_mat_vec_fI6__halffLi6ELi64ELb0ELb0EEvPKT_PKfPKi31ggml_cuda_mm_fusion_args_devicePfi15HIP_vector_typeIjLj3EEiiiSB_iiiSB_iiii.kd
    .uniform_work_group_size: 1
    .uses_dynamic_stack: false
    .vgpr_count:     26
    .vgpr_spill_count: 0
    .wavefront_size: 32
    .workgroup_processor_mode: 1
  - .args:
      - .address_space:  global
        .offset:         0
        .size:           8
        .value_kind:     global_buffer
      - .address_space:  global
        .offset:         8
        .size:           8
        .value_kind:     global_buffer
      - .address_space:  global
        .offset:         16
        .size:           8
        .value_kind:     global_buffer
      - .offset:         24
        .size:           32
        .value_kind:     by_value
      - .address_space:  global
        .offset:         56
        .size:           8
        .value_kind:     global_buffer
      - .offset:         64
        .size:           4
        .value_kind:     by_value
      - .offset:         68
        .size:           12
        .value_kind:     by_value
      - .offset:         80
        .size:           4
        .value_kind:     by_value
      - .offset:         84
        .size:           4
        .value_kind:     by_value
      - .offset:         88
        .size:           4
        .value_kind:     by_value
      - .offset:         92
        .size:           12
        .value_kind:     by_value
      - .offset:         104
        .size:           4
        .value_kind:     by_value
      - .offset:         108
        .size:           4
        .value_kind:     by_value
      - .offset:         112
        .size:           4
        .value_kind:     by_value
      - .offset:         116
        .size:           12
        .value_kind:     by_value
      - .offset:         128
        .size:           4
        .value_kind:     by_value
      - .offset:         132
        .size:           4
        .value_kind:     by_value
      - .offset:         136
        .size:           4
        .value_kind:     by_value
      - .offset:         140
        .size:           4
        .value_kind:     by_value
    .group_segment_fixed_size: 0
    .kernarg_segment_align: 8
    .kernarg_segment_size: 144
    .language:       OpenCL C
    .language_version:
      - 2
      - 0
    .max_flat_workgroup_size: 1024
    .name:           _ZL13mul_mat_vec_fI6__halffLi6ELi96ELb0ELb0EEvPKT_PKfPKi31ggml_cuda_mm_fusion_args_devicePfi15HIP_vector_typeIjLj3EEiiiSB_iiiSB_iiii
    .private_segment_fixed_size: 0
    .sgpr_count:     38
    .sgpr_spill_count: 0
    .symbol:         _ZL13mul_mat_vec_fI6__halffLi6ELi96ELb0ELb0EEvPKT_PKfPKi31ggml_cuda_mm_fusion_args_devicePfi15HIP_vector_typeIjLj3EEiiiSB_iiiSB_iiii.kd
    .uniform_work_group_size: 1
    .uses_dynamic_stack: false
    .vgpr_count:     26
    .vgpr_spill_count: 0
    .wavefront_size: 32
    .workgroup_processor_mode: 1
  - .args:
      - .address_space:  global
        .offset:         0
        .size:           8
        .value_kind:     global_buffer
      - .address_space:  global
        .offset:         8
        .size:           8
        .value_kind:     global_buffer
      - .address_space:  global
        .offset:         16
        .size:           8
        .value_kind:     global_buffer
      - .offset:         24
        .size:           32
        .value_kind:     by_value
      - .address_space:  global
        .offset:         56
        .size:           8
        .value_kind:     global_buffer
      - .offset:         64
        .size:           4
        .value_kind:     by_value
      - .offset:         68
        .size:           12
        .value_kind:     by_value
      - .offset:         80
        .size:           4
        .value_kind:     by_value
      - .offset:         84
        .size:           4
        .value_kind:     by_value
      - .offset:         88
        .size:           4
        .value_kind:     by_value
      - .offset:         92
        .size:           12
        .value_kind:     by_value
      - .offset:         104
        .size:           4
        .value_kind:     by_value
      - .offset:         108
        .size:           4
        .value_kind:     by_value
      - .offset:         112
        .size:           4
        .value_kind:     by_value
      - .offset:         116
        .size:           12
        .value_kind:     by_value
      - .offset:         128
        .size:           4
        .value_kind:     by_value
      - .offset:         132
        .size:           4
        .value_kind:     by_value
      - .offset:         136
        .size:           4
        .value_kind:     by_value
      - .offset:         140
        .size:           4
        .value_kind:     by_value
    .group_segment_fixed_size: 0
    .kernarg_segment_align: 8
    .kernarg_segment_size: 144
    .language:       OpenCL C
    .language_version:
      - 2
      - 0
    .max_flat_workgroup_size: 1024
    .name:           _ZL13mul_mat_vec_fI6__halffLi6ELi128ELb0ELb0EEvPKT_PKfPKi31ggml_cuda_mm_fusion_args_devicePfi15HIP_vector_typeIjLj3EEiiiSB_iiiSB_iiii
    .private_segment_fixed_size: 0
    .sgpr_count:     38
    .sgpr_spill_count: 0
    .symbol:         _ZL13mul_mat_vec_fI6__halffLi6ELi128ELb0ELb0EEvPKT_PKfPKi31ggml_cuda_mm_fusion_args_devicePfi15HIP_vector_typeIjLj3EEiiiSB_iiiSB_iiii.kd
    .uniform_work_group_size: 1
    .uses_dynamic_stack: false
    .vgpr_count:     26
    .vgpr_spill_count: 0
    .wavefront_size: 32
    .workgroup_processor_mode: 1
  - .args:
      - .address_space:  global
        .offset:         0
        .size:           8
        .value_kind:     global_buffer
      - .address_space:  global
        .offset:         8
        .size:           8
        .value_kind:     global_buffer
      - .address_space:  global
        .offset:         16
        .size:           8
        .value_kind:     global_buffer
      - .offset:         24
        .size:           32
        .value_kind:     by_value
      - .address_space:  global
        .offset:         56
        .size:           8
        .value_kind:     global_buffer
      - .offset:         64
        .size:           4
        .value_kind:     by_value
      - .offset:         68
        .size:           12
        .value_kind:     by_value
      - .offset:         80
        .size:           4
        .value_kind:     by_value
      - .offset:         84
        .size:           4
        .value_kind:     by_value
      - .offset:         88
        .size:           4
        .value_kind:     by_value
      - .offset:         92
        .size:           12
        .value_kind:     by_value
      - .offset:         104
        .size:           4
        .value_kind:     by_value
      - .offset:         108
        .size:           4
        .value_kind:     by_value
      - .offset:         112
        .size:           4
        .value_kind:     by_value
      - .offset:         116
        .size:           12
        .value_kind:     by_value
      - .offset:         128
        .size:           4
        .value_kind:     by_value
      - .offset:         132
        .size:           4
        .value_kind:     by_value
      - .offset:         136
        .size:           4
        .value_kind:     by_value
      - .offset:         140
        .size:           4
        .value_kind:     by_value
    .group_segment_fixed_size: 0
    .kernarg_segment_align: 8
    .kernarg_segment_size: 144
    .language:       OpenCL C
    .language_version:
      - 2
      - 0
    .max_flat_workgroup_size: 1024
    .name:           _ZL13mul_mat_vec_fI6__halffLi6ELi160ELb0ELb0EEvPKT_PKfPKi31ggml_cuda_mm_fusion_args_devicePfi15HIP_vector_typeIjLj3EEiiiSB_iiiSB_iiii
    .private_segment_fixed_size: 0
    .sgpr_count:     38
    .sgpr_spill_count: 0
    .symbol:         _ZL13mul_mat_vec_fI6__halffLi6ELi160ELb0ELb0EEvPKT_PKfPKi31ggml_cuda_mm_fusion_args_devicePfi15HIP_vector_typeIjLj3EEiiiSB_iiiSB_iiii.kd
    .uniform_work_group_size: 1
    .uses_dynamic_stack: false
    .vgpr_count:     26
    .vgpr_spill_count: 0
    .wavefront_size: 32
    .workgroup_processor_mode: 1
  - .args:
      - .address_space:  global
        .offset:         0
        .size:           8
        .value_kind:     global_buffer
      - .address_space:  global
        .offset:         8
        .size:           8
        .value_kind:     global_buffer
      - .address_space:  global
        .offset:         16
        .size:           8
        .value_kind:     global_buffer
      - .offset:         24
        .size:           32
        .value_kind:     by_value
      - .address_space:  global
        .offset:         56
        .size:           8
        .value_kind:     global_buffer
      - .offset:         64
        .size:           4
        .value_kind:     by_value
      - .offset:         68
        .size:           12
        .value_kind:     by_value
      - .offset:         80
        .size:           4
        .value_kind:     by_value
      - .offset:         84
        .size:           4
        .value_kind:     by_value
      - .offset:         88
        .size:           4
        .value_kind:     by_value
      - .offset:         92
        .size:           12
        .value_kind:     by_value
      - .offset:         104
        .size:           4
        .value_kind:     by_value
      - .offset:         108
        .size:           4
        .value_kind:     by_value
      - .offset:         112
        .size:           4
        .value_kind:     by_value
      - .offset:         116
        .size:           12
        .value_kind:     by_value
      - .offset:         128
        .size:           4
        .value_kind:     by_value
      - .offset:         132
        .size:           4
        .value_kind:     by_value
      - .offset:         136
        .size:           4
        .value_kind:     by_value
      - .offset:         140
        .size:           4
        .value_kind:     by_value
    .group_segment_fixed_size: 0
    .kernarg_segment_align: 8
    .kernarg_segment_size: 144
    .language:       OpenCL C
    .language_version:
      - 2
      - 0
    .max_flat_workgroup_size: 1024
    .name:           _ZL13mul_mat_vec_fI6__halffLi6ELi192ELb0ELb0EEvPKT_PKfPKi31ggml_cuda_mm_fusion_args_devicePfi15HIP_vector_typeIjLj3EEiiiSB_iiiSB_iiii
    .private_segment_fixed_size: 0
    .sgpr_count:     38
    .sgpr_spill_count: 0
    .symbol:         _ZL13mul_mat_vec_fI6__halffLi6ELi192ELb0ELb0EEvPKT_PKfPKi31ggml_cuda_mm_fusion_args_devicePfi15HIP_vector_typeIjLj3EEiiiSB_iiiSB_iiii.kd
    .uniform_work_group_size: 1
    .uses_dynamic_stack: false
    .vgpr_count:     26
    .vgpr_spill_count: 0
    .wavefront_size: 32
    .workgroup_processor_mode: 1
  - .args:
      - .address_space:  global
        .offset:         0
        .size:           8
        .value_kind:     global_buffer
      - .address_space:  global
        .offset:         8
        .size:           8
        .value_kind:     global_buffer
      - .address_space:  global
        .offset:         16
        .size:           8
        .value_kind:     global_buffer
      - .offset:         24
        .size:           32
        .value_kind:     by_value
      - .address_space:  global
        .offset:         56
        .size:           8
        .value_kind:     global_buffer
      - .offset:         64
        .size:           4
        .value_kind:     by_value
      - .offset:         68
        .size:           12
        .value_kind:     by_value
      - .offset:         80
        .size:           4
        .value_kind:     by_value
      - .offset:         84
        .size:           4
        .value_kind:     by_value
      - .offset:         88
        .size:           4
        .value_kind:     by_value
      - .offset:         92
        .size:           12
        .value_kind:     by_value
      - .offset:         104
        .size:           4
        .value_kind:     by_value
      - .offset:         108
        .size:           4
        .value_kind:     by_value
      - .offset:         112
        .size:           4
        .value_kind:     by_value
      - .offset:         116
        .size:           12
        .value_kind:     by_value
      - .offset:         128
        .size:           4
        .value_kind:     by_value
      - .offset:         132
        .size:           4
        .value_kind:     by_value
      - .offset:         136
        .size:           4
        .value_kind:     by_value
      - .offset:         140
        .size:           4
        .value_kind:     by_value
    .group_segment_fixed_size: 0
    .kernarg_segment_align: 8
    .kernarg_segment_size: 144
    .language:       OpenCL C
    .language_version:
      - 2
      - 0
    .max_flat_workgroup_size: 1024
    .name:           _ZL13mul_mat_vec_fI6__halffLi6ELi224ELb0ELb0EEvPKT_PKfPKi31ggml_cuda_mm_fusion_args_devicePfi15HIP_vector_typeIjLj3EEiiiSB_iiiSB_iiii
    .private_segment_fixed_size: 0
    .sgpr_count:     38
    .sgpr_spill_count: 0
    .symbol:         _ZL13mul_mat_vec_fI6__halffLi6ELi224ELb0ELb0EEvPKT_PKfPKi31ggml_cuda_mm_fusion_args_devicePfi15HIP_vector_typeIjLj3EEiiiSB_iiiSB_iiii.kd
    .uniform_work_group_size: 1
    .uses_dynamic_stack: false
    .vgpr_count:     26
    .vgpr_spill_count: 0
    .wavefront_size: 32
    .workgroup_processor_mode: 1
  - .args:
      - .address_space:  global
        .offset:         0
        .size:           8
        .value_kind:     global_buffer
      - .address_space:  global
        .offset:         8
        .size:           8
        .value_kind:     global_buffer
      - .address_space:  global
        .offset:         16
        .size:           8
        .value_kind:     global_buffer
      - .offset:         24
        .size:           32
        .value_kind:     by_value
      - .address_space:  global
        .offset:         56
        .size:           8
        .value_kind:     global_buffer
      - .offset:         64
        .size:           4
        .value_kind:     by_value
      - .offset:         68
        .size:           12
        .value_kind:     by_value
      - .offset:         80
        .size:           4
        .value_kind:     by_value
      - .offset:         84
        .size:           4
        .value_kind:     by_value
      - .offset:         88
        .size:           4
        .value_kind:     by_value
      - .offset:         92
        .size:           12
        .value_kind:     by_value
      - .offset:         104
        .size:           4
        .value_kind:     by_value
      - .offset:         108
        .size:           4
        .value_kind:     by_value
      - .offset:         112
        .size:           4
        .value_kind:     by_value
      - .offset:         116
        .size:           12
        .value_kind:     by_value
      - .offset:         128
        .size:           4
        .value_kind:     by_value
      - .offset:         132
        .size:           4
        .value_kind:     by_value
      - .offset:         136
        .size:           4
        .value_kind:     by_value
      - .offset:         140
        .size:           4
        .value_kind:     by_value
    .group_segment_fixed_size: 0
    .kernarg_segment_align: 8
    .kernarg_segment_size: 144
    .language:       OpenCL C
    .language_version:
      - 2
      - 0
    .max_flat_workgroup_size: 1024
    .name:           _ZL13mul_mat_vec_fI6__halffLi6ELi256ELb0ELb0EEvPKT_PKfPKi31ggml_cuda_mm_fusion_args_devicePfi15HIP_vector_typeIjLj3EEiiiSB_iiiSB_iiii
    .private_segment_fixed_size: 0
    .sgpr_count:     38
    .sgpr_spill_count: 0
    .symbol:         _ZL13mul_mat_vec_fI6__halffLi6ELi256ELb0ELb0EEvPKT_PKfPKi31ggml_cuda_mm_fusion_args_devicePfi15HIP_vector_typeIjLj3EEiiiSB_iiiSB_iiii.kd
    .uniform_work_group_size: 1
    .uses_dynamic_stack: false
    .vgpr_count:     26
    .vgpr_spill_count: 0
    .wavefront_size: 32
    .workgroup_processor_mode: 1
  - .args:
      - .address_space:  global
        .offset:         0
        .size:           8
        .value_kind:     global_buffer
      - .address_space:  global
        .offset:         8
        .size:           8
        .value_kind:     global_buffer
      - .address_space:  global
        .offset:         16
        .size:           8
        .value_kind:     global_buffer
      - .offset:         24
        .size:           32
        .value_kind:     by_value
      - .address_space:  global
        .offset:         56
        .size:           8
        .value_kind:     global_buffer
      - .offset:         64
        .size:           4
        .value_kind:     by_value
      - .offset:         68
        .size:           12
        .value_kind:     by_value
      - .offset:         80
        .size:           4
        .value_kind:     by_value
      - .offset:         84
        .size:           4
        .value_kind:     by_value
      - .offset:         88
        .size:           4
        .value_kind:     by_value
      - .offset:         92
        .size:           12
        .value_kind:     by_value
      - .offset:         104
        .size:           4
        .value_kind:     by_value
      - .offset:         108
        .size:           4
        .value_kind:     by_value
      - .offset:         112
        .size:           4
        .value_kind:     by_value
      - .offset:         116
        .size:           12
        .value_kind:     by_value
      - .offset:         128
        .size:           4
        .value_kind:     by_value
      - .offset:         132
        .size:           4
        .value_kind:     by_value
      - .offset:         136
        .size:           4
        .value_kind:     by_value
      - .offset:         140
        .size:           4
        .value_kind:     by_value
    .group_segment_fixed_size: 0
    .kernarg_segment_align: 8
    .kernarg_segment_size: 144
    .language:       OpenCL C
    .language_version:
      - 2
      - 0
    .max_flat_workgroup_size: 1024
    .name:           _ZL13mul_mat_vec_fI6__halffLi7ELi32ELb0ELb0EEvPKT_PKfPKi31ggml_cuda_mm_fusion_args_devicePfi15HIP_vector_typeIjLj3EEiiiSB_iiiSB_iiii
    .private_segment_fixed_size: 0
    .sgpr_count:     38
    .sgpr_spill_count: 0
    .symbol:         _ZL13mul_mat_vec_fI6__halffLi7ELi32ELb0ELb0EEvPKT_PKfPKi31ggml_cuda_mm_fusion_args_devicePfi15HIP_vector_typeIjLj3EEiiiSB_iiiSB_iiii.kd
    .uniform_work_group_size: 1
    .uses_dynamic_stack: false
    .vgpr_count:     28
    .vgpr_spill_count: 0
    .wavefront_size: 32
    .workgroup_processor_mode: 1
  - .args:
      - .address_space:  global
        .offset:         0
        .size:           8
        .value_kind:     global_buffer
      - .address_space:  global
        .offset:         8
        .size:           8
        .value_kind:     global_buffer
      - .address_space:  global
        .offset:         16
        .size:           8
        .value_kind:     global_buffer
      - .offset:         24
        .size:           32
        .value_kind:     by_value
      - .address_space:  global
        .offset:         56
        .size:           8
        .value_kind:     global_buffer
      - .offset:         64
        .size:           4
        .value_kind:     by_value
      - .offset:         68
        .size:           12
        .value_kind:     by_value
      - .offset:         80
        .size:           4
        .value_kind:     by_value
      - .offset:         84
        .size:           4
        .value_kind:     by_value
      - .offset:         88
        .size:           4
        .value_kind:     by_value
      - .offset:         92
        .size:           12
        .value_kind:     by_value
      - .offset:         104
        .size:           4
        .value_kind:     by_value
      - .offset:         108
        .size:           4
        .value_kind:     by_value
      - .offset:         112
        .size:           4
        .value_kind:     by_value
      - .offset:         116
        .size:           12
        .value_kind:     by_value
      - .offset:         128
        .size:           4
        .value_kind:     by_value
      - .offset:         132
        .size:           4
        .value_kind:     by_value
      - .offset:         136
        .size:           4
        .value_kind:     by_value
      - .offset:         140
        .size:           4
        .value_kind:     by_value
    .group_segment_fixed_size: 0
    .kernarg_segment_align: 8
    .kernarg_segment_size: 144
    .language:       OpenCL C
    .language_version:
      - 2
      - 0
    .max_flat_workgroup_size: 1024
    .name:           _ZL13mul_mat_vec_fI6__halffLi7ELi64ELb0ELb0EEvPKT_PKfPKi31ggml_cuda_mm_fusion_args_devicePfi15HIP_vector_typeIjLj3EEiiiSB_iiiSB_iiii
    .private_segment_fixed_size: 0
    .sgpr_count:     38
    .sgpr_spill_count: 0
    .symbol:         _ZL13mul_mat_vec_fI6__halffLi7ELi64ELb0ELb0EEvPKT_PKfPKi31ggml_cuda_mm_fusion_args_devicePfi15HIP_vector_typeIjLj3EEiiiSB_iiiSB_iiii.kd
    .uniform_work_group_size: 1
    .uses_dynamic_stack: false
    .vgpr_count:     29
    .vgpr_spill_count: 0
    .wavefront_size: 32
    .workgroup_processor_mode: 1
  - .args:
      - .address_space:  global
        .offset:         0
        .size:           8
        .value_kind:     global_buffer
      - .address_space:  global
        .offset:         8
        .size:           8
        .value_kind:     global_buffer
      - .address_space:  global
        .offset:         16
        .size:           8
        .value_kind:     global_buffer
      - .offset:         24
        .size:           32
        .value_kind:     by_value
      - .address_space:  global
        .offset:         56
        .size:           8
        .value_kind:     global_buffer
      - .offset:         64
        .size:           4
        .value_kind:     by_value
      - .offset:         68
        .size:           12
        .value_kind:     by_value
      - .offset:         80
        .size:           4
        .value_kind:     by_value
      - .offset:         84
        .size:           4
        .value_kind:     by_value
      - .offset:         88
        .size:           4
        .value_kind:     by_value
      - .offset:         92
        .size:           12
        .value_kind:     by_value
      - .offset:         104
        .size:           4
        .value_kind:     by_value
      - .offset:         108
        .size:           4
        .value_kind:     by_value
      - .offset:         112
        .size:           4
        .value_kind:     by_value
      - .offset:         116
        .size:           12
        .value_kind:     by_value
      - .offset:         128
        .size:           4
        .value_kind:     by_value
      - .offset:         132
        .size:           4
        .value_kind:     by_value
      - .offset:         136
        .size:           4
        .value_kind:     by_value
      - .offset:         140
        .size:           4
        .value_kind:     by_value
    .group_segment_fixed_size: 0
    .kernarg_segment_align: 8
    .kernarg_segment_size: 144
    .language:       OpenCL C
    .language_version:
      - 2
      - 0
    .max_flat_workgroup_size: 1024
    .name:           _ZL13mul_mat_vec_fI6__halffLi7ELi96ELb0ELb0EEvPKT_PKfPKi31ggml_cuda_mm_fusion_args_devicePfi15HIP_vector_typeIjLj3EEiiiSB_iiiSB_iiii
    .private_segment_fixed_size: 0
    .sgpr_count:     38
    .sgpr_spill_count: 0
    .symbol:         _ZL13mul_mat_vec_fI6__halffLi7ELi96ELb0ELb0EEvPKT_PKfPKi31ggml_cuda_mm_fusion_args_devicePfi15HIP_vector_typeIjLj3EEiiiSB_iiiSB_iiii.kd
    .uniform_work_group_size: 1
    .uses_dynamic_stack: false
    .vgpr_count:     29
    .vgpr_spill_count: 0
    .wavefront_size: 32
    .workgroup_processor_mode: 1
  - .args:
      - .address_space:  global
        .offset:         0
        .size:           8
        .value_kind:     global_buffer
      - .address_space:  global
        .offset:         8
        .size:           8
        .value_kind:     global_buffer
      - .address_space:  global
        .offset:         16
        .size:           8
        .value_kind:     global_buffer
      - .offset:         24
        .size:           32
        .value_kind:     by_value
      - .address_space:  global
        .offset:         56
        .size:           8
        .value_kind:     global_buffer
      - .offset:         64
        .size:           4
        .value_kind:     by_value
      - .offset:         68
        .size:           12
        .value_kind:     by_value
      - .offset:         80
        .size:           4
        .value_kind:     by_value
      - .offset:         84
        .size:           4
        .value_kind:     by_value
      - .offset:         88
        .size:           4
        .value_kind:     by_value
      - .offset:         92
        .size:           12
        .value_kind:     by_value
      - .offset:         104
        .size:           4
        .value_kind:     by_value
      - .offset:         108
        .size:           4
        .value_kind:     by_value
      - .offset:         112
        .size:           4
        .value_kind:     by_value
      - .offset:         116
        .size:           12
        .value_kind:     by_value
      - .offset:         128
        .size:           4
        .value_kind:     by_value
      - .offset:         132
        .size:           4
        .value_kind:     by_value
      - .offset:         136
        .size:           4
        .value_kind:     by_value
      - .offset:         140
        .size:           4
        .value_kind:     by_value
    .group_segment_fixed_size: 0
    .kernarg_segment_align: 8
    .kernarg_segment_size: 144
    .language:       OpenCL C
    .language_version:
      - 2
      - 0
    .max_flat_workgroup_size: 1024
    .name:           _ZL13mul_mat_vec_fI6__halffLi7ELi128ELb0ELb0EEvPKT_PKfPKi31ggml_cuda_mm_fusion_args_devicePfi15HIP_vector_typeIjLj3EEiiiSB_iiiSB_iiii
    .private_segment_fixed_size: 0
    .sgpr_count:     38
    .sgpr_spill_count: 0
    .symbol:         _ZL13mul_mat_vec_fI6__halffLi7ELi128ELb0ELb0EEvPKT_PKfPKi31ggml_cuda_mm_fusion_args_devicePfi15HIP_vector_typeIjLj3EEiiiSB_iiiSB_iiii.kd
    .uniform_work_group_size: 1
    .uses_dynamic_stack: false
    .vgpr_count:     29
    .vgpr_spill_count: 0
    .wavefront_size: 32
    .workgroup_processor_mode: 1
  - .args:
      - .address_space:  global
        .offset:         0
        .size:           8
        .value_kind:     global_buffer
      - .address_space:  global
        .offset:         8
        .size:           8
        .value_kind:     global_buffer
      - .address_space:  global
        .offset:         16
        .size:           8
        .value_kind:     global_buffer
      - .offset:         24
        .size:           32
        .value_kind:     by_value
      - .address_space:  global
        .offset:         56
        .size:           8
        .value_kind:     global_buffer
      - .offset:         64
        .size:           4
        .value_kind:     by_value
      - .offset:         68
        .size:           12
        .value_kind:     by_value
      - .offset:         80
        .size:           4
        .value_kind:     by_value
      - .offset:         84
        .size:           4
        .value_kind:     by_value
      - .offset:         88
        .size:           4
        .value_kind:     by_value
      - .offset:         92
        .size:           12
        .value_kind:     by_value
      - .offset:         104
        .size:           4
        .value_kind:     by_value
      - .offset:         108
        .size:           4
        .value_kind:     by_value
      - .offset:         112
        .size:           4
        .value_kind:     by_value
      - .offset:         116
        .size:           12
        .value_kind:     by_value
      - .offset:         128
        .size:           4
        .value_kind:     by_value
      - .offset:         132
        .size:           4
        .value_kind:     by_value
      - .offset:         136
        .size:           4
        .value_kind:     by_value
      - .offset:         140
        .size:           4
        .value_kind:     by_value
    .group_segment_fixed_size: 0
    .kernarg_segment_align: 8
    .kernarg_segment_size: 144
    .language:       OpenCL C
    .language_version:
      - 2
      - 0
    .max_flat_workgroup_size: 1024
    .name:           _ZL13mul_mat_vec_fI6__halffLi7ELi160ELb0ELb0EEvPKT_PKfPKi31ggml_cuda_mm_fusion_args_devicePfi15HIP_vector_typeIjLj3EEiiiSB_iiiSB_iiii
    .private_segment_fixed_size: 0
    .sgpr_count:     38
    .sgpr_spill_count: 0
    .symbol:         _ZL13mul_mat_vec_fI6__halffLi7ELi160ELb0ELb0EEvPKT_PKfPKi31ggml_cuda_mm_fusion_args_devicePfi15HIP_vector_typeIjLj3EEiiiSB_iiiSB_iiii.kd
    .uniform_work_group_size: 1
    .uses_dynamic_stack: false
    .vgpr_count:     29
    .vgpr_spill_count: 0
    .wavefront_size: 32
    .workgroup_processor_mode: 1
  - .args:
      - .address_space:  global
        .offset:         0
        .size:           8
        .value_kind:     global_buffer
      - .address_space:  global
        .offset:         8
        .size:           8
        .value_kind:     global_buffer
      - .address_space:  global
        .offset:         16
        .size:           8
        .value_kind:     global_buffer
      - .offset:         24
        .size:           32
        .value_kind:     by_value
      - .address_space:  global
        .offset:         56
        .size:           8
        .value_kind:     global_buffer
      - .offset:         64
        .size:           4
        .value_kind:     by_value
      - .offset:         68
        .size:           12
        .value_kind:     by_value
      - .offset:         80
        .size:           4
        .value_kind:     by_value
      - .offset:         84
        .size:           4
        .value_kind:     by_value
      - .offset:         88
        .size:           4
        .value_kind:     by_value
      - .offset:         92
        .size:           12
        .value_kind:     by_value
      - .offset:         104
        .size:           4
        .value_kind:     by_value
      - .offset:         108
        .size:           4
        .value_kind:     by_value
      - .offset:         112
        .size:           4
        .value_kind:     by_value
      - .offset:         116
        .size:           12
        .value_kind:     by_value
      - .offset:         128
        .size:           4
        .value_kind:     by_value
      - .offset:         132
        .size:           4
        .value_kind:     by_value
      - .offset:         136
        .size:           4
        .value_kind:     by_value
      - .offset:         140
        .size:           4
        .value_kind:     by_value
    .group_segment_fixed_size: 0
    .kernarg_segment_align: 8
    .kernarg_segment_size: 144
    .language:       OpenCL C
    .language_version:
      - 2
      - 0
    .max_flat_workgroup_size: 1024
    .name:           _ZL13mul_mat_vec_fI6__halffLi7ELi192ELb0ELb0EEvPKT_PKfPKi31ggml_cuda_mm_fusion_args_devicePfi15HIP_vector_typeIjLj3EEiiiSB_iiiSB_iiii
    .private_segment_fixed_size: 0
    .sgpr_count:     38
    .sgpr_spill_count: 0
    .symbol:         _ZL13mul_mat_vec_fI6__halffLi7ELi192ELb0ELb0EEvPKT_PKfPKi31ggml_cuda_mm_fusion_args_devicePfi15HIP_vector_typeIjLj3EEiiiSB_iiiSB_iiii.kd
    .uniform_work_group_size: 1
    .uses_dynamic_stack: false
    .vgpr_count:     29
    .vgpr_spill_count: 0
    .wavefront_size: 32
    .workgroup_processor_mode: 1
  - .args:
      - .address_space:  global
        .offset:         0
        .size:           8
        .value_kind:     global_buffer
      - .address_space:  global
        .offset:         8
        .size:           8
        .value_kind:     global_buffer
      - .address_space:  global
        .offset:         16
        .size:           8
        .value_kind:     global_buffer
      - .offset:         24
        .size:           32
        .value_kind:     by_value
      - .address_space:  global
        .offset:         56
        .size:           8
        .value_kind:     global_buffer
      - .offset:         64
        .size:           4
        .value_kind:     by_value
      - .offset:         68
        .size:           12
        .value_kind:     by_value
      - .offset:         80
        .size:           4
        .value_kind:     by_value
      - .offset:         84
        .size:           4
        .value_kind:     by_value
      - .offset:         88
        .size:           4
        .value_kind:     by_value
      - .offset:         92
        .size:           12
        .value_kind:     by_value
      - .offset:         104
        .size:           4
        .value_kind:     by_value
      - .offset:         108
        .size:           4
        .value_kind:     by_value
      - .offset:         112
        .size:           4
        .value_kind:     by_value
      - .offset:         116
        .size:           12
        .value_kind:     by_value
      - .offset:         128
        .size:           4
        .value_kind:     by_value
      - .offset:         132
        .size:           4
        .value_kind:     by_value
      - .offset:         136
        .size:           4
        .value_kind:     by_value
      - .offset:         140
        .size:           4
        .value_kind:     by_value
    .group_segment_fixed_size: 0
    .kernarg_segment_align: 8
    .kernarg_segment_size: 144
    .language:       OpenCL C
    .language_version:
      - 2
      - 0
    .max_flat_workgroup_size: 1024
    .name:           _ZL13mul_mat_vec_fI6__halffLi7ELi224ELb0ELb0EEvPKT_PKfPKi31ggml_cuda_mm_fusion_args_devicePfi15HIP_vector_typeIjLj3EEiiiSB_iiiSB_iiii
    .private_segment_fixed_size: 0
    .sgpr_count:     38
    .sgpr_spill_count: 0
    .symbol:         _ZL13mul_mat_vec_fI6__halffLi7ELi224ELb0ELb0EEvPKT_PKfPKi31ggml_cuda_mm_fusion_args_devicePfi15HIP_vector_typeIjLj3EEiiiSB_iiiSB_iiii.kd
    .uniform_work_group_size: 1
    .uses_dynamic_stack: false
    .vgpr_count:     29
    .vgpr_spill_count: 0
    .wavefront_size: 32
    .workgroup_processor_mode: 1
  - .args:
      - .address_space:  global
        .offset:         0
        .size:           8
        .value_kind:     global_buffer
      - .address_space:  global
        .offset:         8
        .size:           8
        .value_kind:     global_buffer
      - .address_space:  global
        .offset:         16
        .size:           8
        .value_kind:     global_buffer
      - .offset:         24
        .size:           32
        .value_kind:     by_value
      - .address_space:  global
        .offset:         56
        .size:           8
        .value_kind:     global_buffer
      - .offset:         64
        .size:           4
        .value_kind:     by_value
      - .offset:         68
        .size:           12
        .value_kind:     by_value
      - .offset:         80
        .size:           4
        .value_kind:     by_value
      - .offset:         84
        .size:           4
        .value_kind:     by_value
      - .offset:         88
        .size:           4
        .value_kind:     by_value
      - .offset:         92
        .size:           12
        .value_kind:     by_value
      - .offset:         104
        .size:           4
        .value_kind:     by_value
      - .offset:         108
        .size:           4
        .value_kind:     by_value
      - .offset:         112
        .size:           4
        .value_kind:     by_value
      - .offset:         116
        .size:           12
        .value_kind:     by_value
      - .offset:         128
        .size:           4
        .value_kind:     by_value
      - .offset:         132
        .size:           4
        .value_kind:     by_value
      - .offset:         136
        .size:           4
        .value_kind:     by_value
      - .offset:         140
        .size:           4
        .value_kind:     by_value
    .group_segment_fixed_size: 0
    .kernarg_segment_align: 8
    .kernarg_segment_size: 144
    .language:       OpenCL C
    .language_version:
      - 2
      - 0
    .max_flat_workgroup_size: 1024
    .name:           _ZL13mul_mat_vec_fI6__halffLi7ELi256ELb0ELb0EEvPKT_PKfPKi31ggml_cuda_mm_fusion_args_devicePfi15HIP_vector_typeIjLj3EEiiiSB_iiiSB_iiii
    .private_segment_fixed_size: 0
    .sgpr_count:     38
    .sgpr_spill_count: 0
    .symbol:         _ZL13mul_mat_vec_fI6__halffLi7ELi256ELb0ELb0EEvPKT_PKfPKi31ggml_cuda_mm_fusion_args_devicePfi15HIP_vector_typeIjLj3EEiiiSB_iiiSB_iiii.kd
    .uniform_work_group_size: 1
    .uses_dynamic_stack: false
    .vgpr_count:     29
    .vgpr_spill_count: 0
    .wavefront_size: 32
    .workgroup_processor_mode: 1
  - .args:
      - .address_space:  global
        .offset:         0
        .size:           8
        .value_kind:     global_buffer
      - .address_space:  global
        .offset:         8
        .size:           8
        .value_kind:     global_buffer
      - .address_space:  global
        .offset:         16
        .size:           8
        .value_kind:     global_buffer
      - .offset:         24
        .size:           32
        .value_kind:     by_value
      - .address_space:  global
        .offset:         56
        .size:           8
        .value_kind:     global_buffer
      - .offset:         64
        .size:           4
        .value_kind:     by_value
      - .offset:         68
        .size:           12
        .value_kind:     by_value
      - .offset:         80
        .size:           4
        .value_kind:     by_value
      - .offset:         84
        .size:           4
        .value_kind:     by_value
      - .offset:         88
        .size:           4
        .value_kind:     by_value
      - .offset:         92
        .size:           12
        .value_kind:     by_value
      - .offset:         104
        .size:           4
        .value_kind:     by_value
      - .offset:         108
        .size:           4
        .value_kind:     by_value
      - .offset:         112
        .size:           4
        .value_kind:     by_value
      - .offset:         116
        .size:           12
        .value_kind:     by_value
      - .offset:         128
        .size:           4
        .value_kind:     by_value
      - .offset:         132
        .size:           4
        .value_kind:     by_value
      - .offset:         136
        .size:           4
        .value_kind:     by_value
      - .offset:         140
        .size:           4
        .value_kind:     by_value
    .group_segment_fixed_size: 0
    .kernarg_segment_align: 8
    .kernarg_segment_size: 144
    .language:       OpenCL C
    .language_version:
      - 2
      - 0
    .max_flat_workgroup_size: 1024
    .name:           _ZL13mul_mat_vec_fI6__halffLi8ELi32ELb0ELb0EEvPKT_PKfPKi31ggml_cuda_mm_fusion_args_devicePfi15HIP_vector_typeIjLj3EEiiiSB_iiiSB_iiii
    .private_segment_fixed_size: 0
    .sgpr_count:     38
    .sgpr_spill_count: 0
    .symbol:         _ZL13mul_mat_vec_fI6__halffLi8ELi32ELb0ELb0EEvPKT_PKfPKi31ggml_cuda_mm_fusion_args_devicePfi15HIP_vector_typeIjLj3EEiiiSB_iiiSB_iiii.kd
    .uniform_work_group_size: 1
    .uses_dynamic_stack: false
    .vgpr_count:     31
    .vgpr_spill_count: 0
    .wavefront_size: 32
    .workgroup_processor_mode: 1
  - .args:
      - .address_space:  global
        .offset:         0
        .size:           8
        .value_kind:     global_buffer
      - .address_space:  global
        .offset:         8
        .size:           8
        .value_kind:     global_buffer
      - .address_space:  global
        .offset:         16
        .size:           8
        .value_kind:     global_buffer
      - .offset:         24
        .size:           32
        .value_kind:     by_value
      - .address_space:  global
        .offset:         56
        .size:           8
        .value_kind:     global_buffer
      - .offset:         64
        .size:           4
        .value_kind:     by_value
      - .offset:         68
        .size:           12
        .value_kind:     by_value
      - .offset:         80
        .size:           4
        .value_kind:     by_value
      - .offset:         84
        .size:           4
        .value_kind:     by_value
      - .offset:         88
        .size:           4
        .value_kind:     by_value
      - .offset:         92
        .size:           12
        .value_kind:     by_value
      - .offset:         104
        .size:           4
        .value_kind:     by_value
      - .offset:         108
        .size:           4
        .value_kind:     by_value
      - .offset:         112
        .size:           4
        .value_kind:     by_value
      - .offset:         116
        .size:           12
        .value_kind:     by_value
      - .offset:         128
        .size:           4
        .value_kind:     by_value
      - .offset:         132
        .size:           4
        .value_kind:     by_value
      - .offset:         136
        .size:           4
        .value_kind:     by_value
      - .offset:         140
        .size:           4
        .value_kind:     by_value
    .group_segment_fixed_size: 0
    .kernarg_segment_align: 8
    .kernarg_segment_size: 144
    .language:       OpenCL C
    .language_version:
      - 2
      - 0
    .max_flat_workgroup_size: 1024
    .name:           _ZL13mul_mat_vec_fI6__halffLi8ELi64ELb0ELb0EEvPKT_PKfPKi31ggml_cuda_mm_fusion_args_devicePfi15HIP_vector_typeIjLj3EEiiiSB_iiiSB_iiii
    .private_segment_fixed_size: 0
    .sgpr_count:     40
    .sgpr_spill_count: 0
    .symbol:         _ZL13mul_mat_vec_fI6__halffLi8ELi64ELb0ELb0EEvPKT_PKfPKi31ggml_cuda_mm_fusion_args_devicePfi15HIP_vector_typeIjLj3EEiiiSB_iiiSB_iiii.kd
    .uniform_work_group_size: 1
    .uses_dynamic_stack: false
    .vgpr_count:     32
    .vgpr_spill_count: 0
    .wavefront_size: 32
    .workgroup_processor_mode: 1
  - .args:
      - .address_space:  global
        .offset:         0
        .size:           8
        .value_kind:     global_buffer
      - .address_space:  global
        .offset:         8
        .size:           8
        .value_kind:     global_buffer
      - .address_space:  global
        .offset:         16
        .size:           8
        .value_kind:     global_buffer
      - .offset:         24
        .size:           32
        .value_kind:     by_value
      - .address_space:  global
        .offset:         56
        .size:           8
        .value_kind:     global_buffer
      - .offset:         64
        .size:           4
        .value_kind:     by_value
      - .offset:         68
        .size:           12
        .value_kind:     by_value
      - .offset:         80
        .size:           4
        .value_kind:     by_value
      - .offset:         84
        .size:           4
        .value_kind:     by_value
      - .offset:         88
        .size:           4
        .value_kind:     by_value
      - .offset:         92
        .size:           12
        .value_kind:     by_value
      - .offset:         104
        .size:           4
        .value_kind:     by_value
      - .offset:         108
        .size:           4
        .value_kind:     by_value
      - .offset:         112
        .size:           4
        .value_kind:     by_value
      - .offset:         116
        .size:           12
        .value_kind:     by_value
      - .offset:         128
        .size:           4
        .value_kind:     by_value
      - .offset:         132
        .size:           4
        .value_kind:     by_value
      - .offset:         136
        .size:           4
        .value_kind:     by_value
      - .offset:         140
        .size:           4
        .value_kind:     by_value
    .group_segment_fixed_size: 0
    .kernarg_segment_align: 8
    .kernarg_segment_size: 144
    .language:       OpenCL C
    .language_version:
      - 2
      - 0
    .max_flat_workgroup_size: 1024
    .name:           _ZL13mul_mat_vec_fI6__halffLi8ELi96ELb0ELb0EEvPKT_PKfPKi31ggml_cuda_mm_fusion_args_devicePfi15HIP_vector_typeIjLj3EEiiiSB_iiiSB_iiii
    .private_segment_fixed_size: 0
    .sgpr_count:     40
    .sgpr_spill_count: 0
    .symbol:         _ZL13mul_mat_vec_fI6__halffLi8ELi96ELb0ELb0EEvPKT_PKfPKi31ggml_cuda_mm_fusion_args_devicePfi15HIP_vector_typeIjLj3EEiiiSB_iiiSB_iiii.kd
    .uniform_work_group_size: 1
    .uses_dynamic_stack: false
    .vgpr_count:     32
    .vgpr_spill_count: 0
    .wavefront_size: 32
    .workgroup_processor_mode: 1
  - .args:
      - .address_space:  global
        .offset:         0
        .size:           8
        .value_kind:     global_buffer
      - .address_space:  global
        .offset:         8
        .size:           8
        .value_kind:     global_buffer
      - .address_space:  global
        .offset:         16
        .size:           8
        .value_kind:     global_buffer
      - .offset:         24
        .size:           32
        .value_kind:     by_value
      - .address_space:  global
        .offset:         56
        .size:           8
        .value_kind:     global_buffer
      - .offset:         64
        .size:           4
        .value_kind:     by_value
      - .offset:         68
        .size:           12
        .value_kind:     by_value
      - .offset:         80
        .size:           4
        .value_kind:     by_value
      - .offset:         84
        .size:           4
        .value_kind:     by_value
      - .offset:         88
        .size:           4
        .value_kind:     by_value
      - .offset:         92
        .size:           12
        .value_kind:     by_value
      - .offset:         104
        .size:           4
        .value_kind:     by_value
      - .offset:         108
        .size:           4
        .value_kind:     by_value
      - .offset:         112
        .size:           4
        .value_kind:     by_value
      - .offset:         116
        .size:           12
        .value_kind:     by_value
      - .offset:         128
        .size:           4
        .value_kind:     by_value
      - .offset:         132
        .size:           4
        .value_kind:     by_value
      - .offset:         136
        .size:           4
        .value_kind:     by_value
      - .offset:         140
        .size:           4
        .value_kind:     by_value
    .group_segment_fixed_size: 0
    .kernarg_segment_align: 8
    .kernarg_segment_size: 144
    .language:       OpenCL C
    .language_version:
      - 2
      - 0
    .max_flat_workgroup_size: 1024
    .name:           _ZL13mul_mat_vec_fI6__halffLi8ELi128ELb0ELb0EEvPKT_PKfPKi31ggml_cuda_mm_fusion_args_devicePfi15HIP_vector_typeIjLj3EEiiiSB_iiiSB_iiii
    .private_segment_fixed_size: 0
    .sgpr_count:     40
    .sgpr_spill_count: 0
    .symbol:         _ZL13mul_mat_vec_fI6__halffLi8ELi128ELb0ELb0EEvPKT_PKfPKi31ggml_cuda_mm_fusion_args_devicePfi15HIP_vector_typeIjLj3EEiiiSB_iiiSB_iiii.kd
    .uniform_work_group_size: 1
    .uses_dynamic_stack: false
    .vgpr_count:     32
    .vgpr_spill_count: 0
    .wavefront_size: 32
    .workgroup_processor_mode: 1
  - .args:
      - .address_space:  global
        .offset:         0
        .size:           8
        .value_kind:     global_buffer
      - .address_space:  global
        .offset:         8
        .size:           8
        .value_kind:     global_buffer
      - .address_space:  global
        .offset:         16
        .size:           8
        .value_kind:     global_buffer
      - .offset:         24
        .size:           32
        .value_kind:     by_value
      - .address_space:  global
        .offset:         56
        .size:           8
        .value_kind:     global_buffer
      - .offset:         64
        .size:           4
        .value_kind:     by_value
      - .offset:         68
        .size:           12
        .value_kind:     by_value
      - .offset:         80
        .size:           4
        .value_kind:     by_value
      - .offset:         84
        .size:           4
        .value_kind:     by_value
      - .offset:         88
        .size:           4
        .value_kind:     by_value
      - .offset:         92
        .size:           12
        .value_kind:     by_value
      - .offset:         104
        .size:           4
        .value_kind:     by_value
      - .offset:         108
        .size:           4
        .value_kind:     by_value
      - .offset:         112
        .size:           4
        .value_kind:     by_value
      - .offset:         116
        .size:           12
        .value_kind:     by_value
      - .offset:         128
        .size:           4
        .value_kind:     by_value
      - .offset:         132
        .size:           4
        .value_kind:     by_value
      - .offset:         136
        .size:           4
        .value_kind:     by_value
      - .offset:         140
        .size:           4
        .value_kind:     by_value
    .group_segment_fixed_size: 0
    .kernarg_segment_align: 8
    .kernarg_segment_size: 144
    .language:       OpenCL C
    .language_version:
      - 2
      - 0
    .max_flat_workgroup_size: 1024
    .name:           _ZL13mul_mat_vec_fI6__halffLi8ELi160ELb0ELb0EEvPKT_PKfPKi31ggml_cuda_mm_fusion_args_devicePfi15HIP_vector_typeIjLj3EEiiiSB_iiiSB_iiii
    .private_segment_fixed_size: 0
    .sgpr_count:     40
    .sgpr_spill_count: 0
    .symbol:         _ZL13mul_mat_vec_fI6__halffLi8ELi160ELb0ELb0EEvPKT_PKfPKi31ggml_cuda_mm_fusion_args_devicePfi15HIP_vector_typeIjLj3EEiiiSB_iiiSB_iiii.kd
    .uniform_work_group_size: 1
    .uses_dynamic_stack: false
    .vgpr_count:     32
    .vgpr_spill_count: 0
    .wavefront_size: 32
    .workgroup_processor_mode: 1
  - .args:
      - .address_space:  global
        .offset:         0
        .size:           8
        .value_kind:     global_buffer
      - .address_space:  global
        .offset:         8
        .size:           8
        .value_kind:     global_buffer
      - .address_space:  global
        .offset:         16
        .size:           8
        .value_kind:     global_buffer
      - .offset:         24
        .size:           32
        .value_kind:     by_value
      - .address_space:  global
        .offset:         56
        .size:           8
        .value_kind:     global_buffer
      - .offset:         64
        .size:           4
        .value_kind:     by_value
      - .offset:         68
        .size:           12
        .value_kind:     by_value
      - .offset:         80
        .size:           4
        .value_kind:     by_value
      - .offset:         84
        .size:           4
        .value_kind:     by_value
      - .offset:         88
        .size:           4
        .value_kind:     by_value
      - .offset:         92
        .size:           12
        .value_kind:     by_value
      - .offset:         104
        .size:           4
        .value_kind:     by_value
      - .offset:         108
        .size:           4
        .value_kind:     by_value
      - .offset:         112
        .size:           4
        .value_kind:     by_value
      - .offset:         116
        .size:           12
        .value_kind:     by_value
      - .offset:         128
        .size:           4
        .value_kind:     by_value
      - .offset:         132
        .size:           4
        .value_kind:     by_value
      - .offset:         136
        .size:           4
        .value_kind:     by_value
      - .offset:         140
        .size:           4
        .value_kind:     by_value
    .group_segment_fixed_size: 0
    .kernarg_segment_align: 8
    .kernarg_segment_size: 144
    .language:       OpenCL C
    .language_version:
      - 2
      - 0
    .max_flat_workgroup_size: 1024
    .name:           _ZL13mul_mat_vec_fI6__halffLi8ELi192ELb0ELb0EEvPKT_PKfPKi31ggml_cuda_mm_fusion_args_devicePfi15HIP_vector_typeIjLj3EEiiiSB_iiiSB_iiii
    .private_segment_fixed_size: 0
    .sgpr_count:     40
    .sgpr_spill_count: 0
    .symbol:         _ZL13mul_mat_vec_fI6__halffLi8ELi192ELb0ELb0EEvPKT_PKfPKi31ggml_cuda_mm_fusion_args_devicePfi15HIP_vector_typeIjLj3EEiiiSB_iiiSB_iiii.kd
    .uniform_work_group_size: 1
    .uses_dynamic_stack: false
    .vgpr_count:     32
    .vgpr_spill_count: 0
    .wavefront_size: 32
    .workgroup_processor_mode: 1
  - .args:
      - .address_space:  global
        .offset:         0
        .size:           8
        .value_kind:     global_buffer
      - .address_space:  global
        .offset:         8
        .size:           8
        .value_kind:     global_buffer
      - .address_space:  global
        .offset:         16
        .size:           8
        .value_kind:     global_buffer
      - .offset:         24
        .size:           32
        .value_kind:     by_value
      - .address_space:  global
        .offset:         56
        .size:           8
        .value_kind:     global_buffer
      - .offset:         64
        .size:           4
        .value_kind:     by_value
      - .offset:         68
        .size:           12
        .value_kind:     by_value
      - .offset:         80
        .size:           4
        .value_kind:     by_value
      - .offset:         84
        .size:           4
        .value_kind:     by_value
      - .offset:         88
        .size:           4
        .value_kind:     by_value
      - .offset:         92
        .size:           12
        .value_kind:     by_value
      - .offset:         104
        .size:           4
        .value_kind:     by_value
      - .offset:         108
        .size:           4
        .value_kind:     by_value
      - .offset:         112
        .size:           4
        .value_kind:     by_value
      - .offset:         116
        .size:           12
        .value_kind:     by_value
      - .offset:         128
        .size:           4
        .value_kind:     by_value
      - .offset:         132
        .size:           4
        .value_kind:     by_value
      - .offset:         136
        .size:           4
        .value_kind:     by_value
      - .offset:         140
        .size:           4
        .value_kind:     by_value
    .group_segment_fixed_size: 0
    .kernarg_segment_align: 8
    .kernarg_segment_size: 144
    .language:       OpenCL C
    .language_version:
      - 2
      - 0
    .max_flat_workgroup_size: 1024
    .name:           _ZL13mul_mat_vec_fI6__halffLi8ELi224ELb0ELb0EEvPKT_PKfPKi31ggml_cuda_mm_fusion_args_devicePfi15HIP_vector_typeIjLj3EEiiiSB_iiiSB_iiii
    .private_segment_fixed_size: 0
    .sgpr_count:     40
    .sgpr_spill_count: 0
    .symbol:         _ZL13mul_mat_vec_fI6__halffLi8ELi224ELb0ELb0EEvPKT_PKfPKi31ggml_cuda_mm_fusion_args_devicePfi15HIP_vector_typeIjLj3EEiiiSB_iiiSB_iiii.kd
    .uniform_work_group_size: 1
    .uses_dynamic_stack: false
    .vgpr_count:     32
    .vgpr_spill_count: 0
    .wavefront_size: 32
    .workgroup_processor_mode: 1
  - .args:
      - .address_space:  global
        .offset:         0
        .size:           8
        .value_kind:     global_buffer
      - .address_space:  global
        .offset:         8
        .size:           8
        .value_kind:     global_buffer
      - .address_space:  global
        .offset:         16
        .size:           8
        .value_kind:     global_buffer
      - .offset:         24
        .size:           32
        .value_kind:     by_value
      - .address_space:  global
        .offset:         56
        .size:           8
        .value_kind:     global_buffer
      - .offset:         64
        .size:           4
        .value_kind:     by_value
      - .offset:         68
        .size:           12
        .value_kind:     by_value
      - .offset:         80
        .size:           4
        .value_kind:     by_value
      - .offset:         84
        .size:           4
        .value_kind:     by_value
      - .offset:         88
        .size:           4
        .value_kind:     by_value
      - .offset:         92
        .size:           12
        .value_kind:     by_value
      - .offset:         104
        .size:           4
        .value_kind:     by_value
      - .offset:         108
        .size:           4
        .value_kind:     by_value
      - .offset:         112
        .size:           4
        .value_kind:     by_value
      - .offset:         116
        .size:           12
        .value_kind:     by_value
      - .offset:         128
        .size:           4
        .value_kind:     by_value
      - .offset:         132
        .size:           4
        .value_kind:     by_value
      - .offset:         136
        .size:           4
        .value_kind:     by_value
      - .offset:         140
        .size:           4
        .value_kind:     by_value
    .group_segment_fixed_size: 0
    .kernarg_segment_align: 8
    .kernarg_segment_size: 144
    .language:       OpenCL C
    .language_version:
      - 2
      - 0
    .max_flat_workgroup_size: 1024
    .name:           _ZL13mul_mat_vec_fI6__halffLi8ELi256ELb0ELb0EEvPKT_PKfPKi31ggml_cuda_mm_fusion_args_devicePfi15HIP_vector_typeIjLj3EEiiiSB_iiiSB_iiii
    .private_segment_fixed_size: 0
    .sgpr_count:     40
    .sgpr_spill_count: 0
    .symbol:         _ZL13mul_mat_vec_fI6__halffLi8ELi256ELb0ELb0EEvPKT_PKfPKi31ggml_cuda_mm_fusion_args_devicePfi15HIP_vector_typeIjLj3EEiiiSB_iiiSB_iiii.kd
    .uniform_work_group_size: 1
    .uses_dynamic_stack: false
    .vgpr_count:     32
    .vgpr_spill_count: 0
    .wavefront_size: 32
    .workgroup_processor_mode: 1
  - .args:
      - .address_space:  global
        .offset:         0
        .size:           8
        .value_kind:     global_buffer
      - .address_space:  global
        .offset:         8
        .size:           8
        .value_kind:     global_buffer
      - .address_space:  global
        .offset:         16
        .size:           8
        .value_kind:     global_buffer
      - .offset:         24
        .size:           32
        .value_kind:     by_value
      - .address_space:  global
        .offset:         56
        .size:           8
        .value_kind:     global_buffer
      - .offset:         64
        .size:           4
        .value_kind:     by_value
      - .offset:         68
        .size:           12
        .value_kind:     by_value
      - .offset:         80
        .size:           4
        .value_kind:     by_value
      - .offset:         84
        .size:           4
        .value_kind:     by_value
      - .offset:         88
        .size:           4
        .value_kind:     by_value
      - .offset:         92
        .size:           12
        .value_kind:     by_value
      - .offset:         104
        .size:           4
        .value_kind:     by_value
      - .offset:         108
        .size:           4
        .value_kind:     by_value
      - .offset:         112
        .size:           4
        .value_kind:     by_value
      - .offset:         116
        .size:           12
        .value_kind:     by_value
      - .offset:         128
        .size:           4
        .value_kind:     by_value
      - .offset:         132
        .size:           4
        .value_kind:     by_value
      - .offset:         136
        .size:           4
        .value_kind:     by_value
      - .offset:         140
        .size:           4
        .value_kind:     by_value
    .group_segment_fixed_size: 0
    .kernarg_segment_align: 8
    .kernarg_segment_size: 144
    .language:       OpenCL C
    .language_version:
      - 2
      - 0
    .max_flat_workgroup_size: 1024
    .name:           _ZL13mul_mat_vec_fI14__hip_bfloat16fLi1ELi32ELb1ELb1EEvPKT_PKfPKi31ggml_cuda_mm_fusion_args_devicePfi15HIP_vector_typeIjLj3EEiiiSB_iiiSB_iiii
    .private_segment_fixed_size: 0
    .sgpr_count:     42
    .sgpr_spill_count: 0
    .symbol:         _ZL13mul_mat_vec_fI14__hip_bfloat16fLi1ELi32ELb1ELb1EEvPKT_PKfPKi31ggml_cuda_mm_fusion_args_devicePfi15HIP_vector_typeIjLj3EEiiiSB_iiiSB_iiii.kd
    .uniform_work_group_size: 1
    .uses_dynamic_stack: false
    .vgpr_count:     16
    .vgpr_spill_count: 0
    .wavefront_size: 32
    .workgroup_processor_mode: 1
  - .args:
      - .address_space:  global
        .offset:         0
        .size:           8
        .value_kind:     global_buffer
      - .address_space:  global
        .offset:         8
        .size:           8
        .value_kind:     global_buffer
      - .address_space:  global
        .offset:         16
        .size:           8
        .value_kind:     global_buffer
      - .offset:         24
        .size:           32
        .value_kind:     by_value
      - .address_space:  global
        .offset:         56
        .size:           8
        .value_kind:     global_buffer
      - .offset:         64
        .size:           4
        .value_kind:     by_value
      - .offset:         68
        .size:           12
        .value_kind:     by_value
      - .offset:         80
        .size:           4
        .value_kind:     by_value
      - .offset:         84
        .size:           4
        .value_kind:     by_value
      - .offset:         88
        .size:           4
        .value_kind:     by_value
      - .offset:         92
        .size:           12
        .value_kind:     by_value
      - .offset:         104
        .size:           4
        .value_kind:     by_value
      - .offset:         108
        .size:           4
        .value_kind:     by_value
      - .offset:         112
        .size:           4
        .value_kind:     by_value
      - .offset:         116
        .size:           12
        .value_kind:     by_value
      - .offset:         128
        .size:           4
        .value_kind:     by_value
      - .offset:         132
        .size:           4
        .value_kind:     by_value
      - .offset:         136
        .size:           4
        .value_kind:     by_value
      - .offset:         140
        .size:           4
        .value_kind:     by_value
    .group_segment_fixed_size: 0
    .kernarg_segment_align: 8
    .kernarg_segment_size: 144
    .language:       OpenCL C
    .language_version:
      - 2
      - 0
    .max_flat_workgroup_size: 1024
    .name:           _ZL13mul_mat_vec_fI14__hip_bfloat16fLi1ELi32ELb0ELb1EEvPKT_PKfPKi31ggml_cuda_mm_fusion_args_devicePfi15HIP_vector_typeIjLj3EEiiiSB_iiiSB_iiii
    .private_segment_fixed_size: 0
    .sgpr_count:     26
    .sgpr_spill_count: 0
    .symbol:         _ZL13mul_mat_vec_fI14__hip_bfloat16fLi1ELi32ELb0ELb1EEvPKT_PKfPKi31ggml_cuda_mm_fusion_args_devicePfi15HIP_vector_typeIjLj3EEiiiSB_iiiSB_iiii.kd
    .uniform_work_group_size: 1
    .uses_dynamic_stack: false
    .vgpr_count:     11
    .vgpr_spill_count: 0
    .wavefront_size: 32
    .workgroup_processor_mode: 1
  - .args:
      - .address_space:  global
        .offset:         0
        .size:           8
        .value_kind:     global_buffer
      - .address_space:  global
        .offset:         8
        .size:           8
        .value_kind:     global_buffer
      - .address_space:  global
        .offset:         16
        .size:           8
        .value_kind:     global_buffer
      - .offset:         24
        .size:           32
        .value_kind:     by_value
      - .address_space:  global
        .offset:         56
        .size:           8
        .value_kind:     global_buffer
      - .offset:         64
        .size:           4
        .value_kind:     by_value
      - .offset:         68
        .size:           12
        .value_kind:     by_value
      - .offset:         80
        .size:           4
        .value_kind:     by_value
      - .offset:         84
        .size:           4
        .value_kind:     by_value
      - .offset:         88
        .size:           4
        .value_kind:     by_value
      - .offset:         92
        .size:           12
        .value_kind:     by_value
      - .offset:         104
        .size:           4
        .value_kind:     by_value
      - .offset:         108
        .size:           4
        .value_kind:     by_value
      - .offset:         112
        .size:           4
        .value_kind:     by_value
      - .offset:         116
        .size:           12
        .value_kind:     by_value
      - .offset:         128
        .size:           4
        .value_kind:     by_value
      - .offset:         132
        .size:           4
        .value_kind:     by_value
      - .offset:         136
        .size:           4
        .value_kind:     by_value
      - .offset:         140
        .size:           4
        .value_kind:     by_value
    .group_segment_fixed_size: 0
    .kernarg_segment_align: 8
    .kernarg_segment_size: 144
    .language:       OpenCL C
    .language_version:
      - 2
      - 0
    .max_flat_workgroup_size: 1024
    .name:           _ZL13mul_mat_vec_fI14__hip_bfloat16fLi1ELi64ELb1ELb1EEvPKT_PKfPKi31ggml_cuda_mm_fusion_args_devicePfi15HIP_vector_typeIjLj3EEiiiSB_iiiSB_iiii
    .private_segment_fixed_size: 0
    .sgpr_count:     42
    .sgpr_spill_count: 0
    .symbol:         _ZL13mul_mat_vec_fI14__hip_bfloat16fLi1ELi64ELb1ELb1EEvPKT_PKfPKi31ggml_cuda_mm_fusion_args_devicePfi15HIP_vector_typeIjLj3EEiiiSB_iiiSB_iiii.kd
    .uniform_work_group_size: 1
    .uses_dynamic_stack: false
    .vgpr_count:     17
    .vgpr_spill_count: 0
    .wavefront_size: 32
    .workgroup_processor_mode: 1
  - .args:
      - .address_space:  global
        .offset:         0
        .size:           8
        .value_kind:     global_buffer
      - .address_space:  global
        .offset:         8
        .size:           8
        .value_kind:     global_buffer
      - .address_space:  global
        .offset:         16
        .size:           8
        .value_kind:     global_buffer
      - .offset:         24
        .size:           32
        .value_kind:     by_value
      - .address_space:  global
        .offset:         56
        .size:           8
        .value_kind:     global_buffer
      - .offset:         64
        .size:           4
        .value_kind:     by_value
      - .offset:         68
        .size:           12
        .value_kind:     by_value
      - .offset:         80
        .size:           4
        .value_kind:     by_value
      - .offset:         84
        .size:           4
        .value_kind:     by_value
      - .offset:         88
        .size:           4
        .value_kind:     by_value
      - .offset:         92
        .size:           12
        .value_kind:     by_value
      - .offset:         104
        .size:           4
        .value_kind:     by_value
      - .offset:         108
        .size:           4
        .value_kind:     by_value
      - .offset:         112
        .size:           4
        .value_kind:     by_value
      - .offset:         116
        .size:           12
        .value_kind:     by_value
      - .offset:         128
        .size:           4
        .value_kind:     by_value
      - .offset:         132
        .size:           4
        .value_kind:     by_value
      - .offset:         136
        .size:           4
        .value_kind:     by_value
      - .offset:         140
        .size:           4
        .value_kind:     by_value
    .group_segment_fixed_size: 0
    .kernarg_segment_align: 8
    .kernarg_segment_size: 144
    .language:       OpenCL C
    .language_version:
      - 2
      - 0
    .max_flat_workgroup_size: 1024
    .name:           _ZL13mul_mat_vec_fI14__hip_bfloat16fLi1ELi64ELb0ELb1EEvPKT_PKfPKi31ggml_cuda_mm_fusion_args_devicePfi15HIP_vector_typeIjLj3EEiiiSB_iiiSB_iiii
    .private_segment_fixed_size: 0
    .sgpr_count:     30
    .sgpr_spill_count: 0
    .symbol:         _ZL13mul_mat_vec_fI14__hip_bfloat16fLi1ELi64ELb0ELb1EEvPKT_PKfPKi31ggml_cuda_mm_fusion_args_devicePfi15HIP_vector_typeIjLj3EEiiiSB_iiiSB_iiii.kd
    .uniform_work_group_size: 1
    .uses_dynamic_stack: false
    .vgpr_count:     12
    .vgpr_spill_count: 0
    .wavefront_size: 32
    .workgroup_processor_mode: 1
  - .args:
      - .address_space:  global
        .offset:         0
        .size:           8
        .value_kind:     global_buffer
      - .address_space:  global
        .offset:         8
        .size:           8
        .value_kind:     global_buffer
      - .address_space:  global
        .offset:         16
        .size:           8
        .value_kind:     global_buffer
      - .offset:         24
        .size:           32
        .value_kind:     by_value
      - .address_space:  global
        .offset:         56
        .size:           8
        .value_kind:     global_buffer
      - .offset:         64
        .size:           4
        .value_kind:     by_value
      - .offset:         68
        .size:           12
        .value_kind:     by_value
      - .offset:         80
        .size:           4
        .value_kind:     by_value
      - .offset:         84
        .size:           4
        .value_kind:     by_value
      - .offset:         88
        .size:           4
        .value_kind:     by_value
      - .offset:         92
        .size:           12
        .value_kind:     by_value
      - .offset:         104
        .size:           4
        .value_kind:     by_value
      - .offset:         108
        .size:           4
        .value_kind:     by_value
      - .offset:         112
        .size:           4
        .value_kind:     by_value
      - .offset:         116
        .size:           12
        .value_kind:     by_value
      - .offset:         128
        .size:           4
        .value_kind:     by_value
      - .offset:         132
        .size:           4
        .value_kind:     by_value
      - .offset:         136
        .size:           4
        .value_kind:     by_value
      - .offset:         140
        .size:           4
        .value_kind:     by_value
    .group_segment_fixed_size: 0
    .kernarg_segment_align: 8
    .kernarg_segment_size: 144
    .language:       OpenCL C
    .language_version:
      - 2
      - 0
    .max_flat_workgroup_size: 1024
    .name:           _ZL13mul_mat_vec_fI14__hip_bfloat16fLi1ELi96ELb1ELb1EEvPKT_PKfPKi31ggml_cuda_mm_fusion_args_devicePfi15HIP_vector_typeIjLj3EEiiiSB_iiiSB_iiii
    .private_segment_fixed_size: 0
    .sgpr_count:     42
    .sgpr_spill_count: 0
    .symbol:         _ZL13mul_mat_vec_fI14__hip_bfloat16fLi1ELi96ELb1ELb1EEvPKT_PKfPKi31ggml_cuda_mm_fusion_args_devicePfi15HIP_vector_typeIjLj3EEiiiSB_iiiSB_iiii.kd
    .uniform_work_group_size: 1
    .uses_dynamic_stack: false
    .vgpr_count:     17
    .vgpr_spill_count: 0
    .wavefront_size: 32
    .workgroup_processor_mode: 1
  - .args:
      - .address_space:  global
        .offset:         0
        .size:           8
        .value_kind:     global_buffer
      - .address_space:  global
        .offset:         8
        .size:           8
        .value_kind:     global_buffer
      - .address_space:  global
        .offset:         16
        .size:           8
        .value_kind:     global_buffer
      - .offset:         24
        .size:           32
        .value_kind:     by_value
      - .address_space:  global
        .offset:         56
        .size:           8
        .value_kind:     global_buffer
      - .offset:         64
        .size:           4
        .value_kind:     by_value
      - .offset:         68
        .size:           12
        .value_kind:     by_value
      - .offset:         80
        .size:           4
        .value_kind:     by_value
      - .offset:         84
        .size:           4
        .value_kind:     by_value
      - .offset:         88
        .size:           4
        .value_kind:     by_value
      - .offset:         92
        .size:           12
        .value_kind:     by_value
      - .offset:         104
        .size:           4
        .value_kind:     by_value
      - .offset:         108
        .size:           4
        .value_kind:     by_value
      - .offset:         112
        .size:           4
        .value_kind:     by_value
      - .offset:         116
        .size:           12
        .value_kind:     by_value
      - .offset:         128
        .size:           4
        .value_kind:     by_value
      - .offset:         132
        .size:           4
        .value_kind:     by_value
      - .offset:         136
        .size:           4
        .value_kind:     by_value
      - .offset:         140
        .size:           4
        .value_kind:     by_value
    .group_segment_fixed_size: 0
    .kernarg_segment_align: 8
    .kernarg_segment_size: 144
    .language:       OpenCL C
    .language_version:
      - 2
      - 0
    .max_flat_workgroup_size: 1024
    .name:           _ZL13mul_mat_vec_fI14__hip_bfloat16fLi1ELi96ELb0ELb1EEvPKT_PKfPKi31ggml_cuda_mm_fusion_args_devicePfi15HIP_vector_typeIjLj3EEiiiSB_iiiSB_iiii
    .private_segment_fixed_size: 0
    .sgpr_count:     30
    .sgpr_spill_count: 0
    .symbol:         _ZL13mul_mat_vec_fI14__hip_bfloat16fLi1ELi96ELb0ELb1EEvPKT_PKfPKi31ggml_cuda_mm_fusion_args_devicePfi15HIP_vector_typeIjLj3EEiiiSB_iiiSB_iiii.kd
    .uniform_work_group_size: 1
    .uses_dynamic_stack: false
    .vgpr_count:     12
    .vgpr_spill_count: 0
    .wavefront_size: 32
    .workgroup_processor_mode: 1
  - .args:
      - .address_space:  global
        .offset:         0
        .size:           8
        .value_kind:     global_buffer
      - .address_space:  global
        .offset:         8
        .size:           8
        .value_kind:     global_buffer
      - .address_space:  global
        .offset:         16
        .size:           8
        .value_kind:     global_buffer
      - .offset:         24
        .size:           32
        .value_kind:     by_value
      - .address_space:  global
        .offset:         56
        .size:           8
        .value_kind:     global_buffer
      - .offset:         64
        .size:           4
        .value_kind:     by_value
      - .offset:         68
        .size:           12
        .value_kind:     by_value
      - .offset:         80
        .size:           4
        .value_kind:     by_value
      - .offset:         84
        .size:           4
        .value_kind:     by_value
      - .offset:         88
        .size:           4
        .value_kind:     by_value
      - .offset:         92
        .size:           12
        .value_kind:     by_value
      - .offset:         104
        .size:           4
        .value_kind:     by_value
      - .offset:         108
        .size:           4
        .value_kind:     by_value
      - .offset:         112
        .size:           4
        .value_kind:     by_value
      - .offset:         116
        .size:           12
        .value_kind:     by_value
      - .offset:         128
        .size:           4
        .value_kind:     by_value
      - .offset:         132
        .size:           4
        .value_kind:     by_value
      - .offset:         136
        .size:           4
        .value_kind:     by_value
      - .offset:         140
        .size:           4
        .value_kind:     by_value
    .group_segment_fixed_size: 0
    .kernarg_segment_align: 8
    .kernarg_segment_size: 144
    .language:       OpenCL C
    .language_version:
      - 2
      - 0
    .max_flat_workgroup_size: 1024
    .name:           _ZL13mul_mat_vec_fI14__hip_bfloat16fLi1ELi128ELb1ELb1EEvPKT_PKfPKi31ggml_cuda_mm_fusion_args_devicePfi15HIP_vector_typeIjLj3EEiiiSB_iiiSB_iiii
    .private_segment_fixed_size: 0
    .sgpr_count:     42
    .sgpr_spill_count: 0
    .symbol:         _ZL13mul_mat_vec_fI14__hip_bfloat16fLi1ELi128ELb1ELb1EEvPKT_PKfPKi31ggml_cuda_mm_fusion_args_devicePfi15HIP_vector_typeIjLj3EEiiiSB_iiiSB_iiii.kd
    .uniform_work_group_size: 1
    .uses_dynamic_stack: false
    .vgpr_count:     17
    .vgpr_spill_count: 0
    .wavefront_size: 32
    .workgroup_processor_mode: 1
  - .args:
      - .address_space:  global
        .offset:         0
        .size:           8
        .value_kind:     global_buffer
      - .address_space:  global
        .offset:         8
        .size:           8
        .value_kind:     global_buffer
      - .address_space:  global
        .offset:         16
        .size:           8
        .value_kind:     global_buffer
      - .offset:         24
        .size:           32
        .value_kind:     by_value
      - .address_space:  global
        .offset:         56
        .size:           8
        .value_kind:     global_buffer
      - .offset:         64
        .size:           4
        .value_kind:     by_value
      - .offset:         68
        .size:           12
        .value_kind:     by_value
      - .offset:         80
        .size:           4
        .value_kind:     by_value
      - .offset:         84
        .size:           4
        .value_kind:     by_value
      - .offset:         88
        .size:           4
        .value_kind:     by_value
      - .offset:         92
        .size:           12
        .value_kind:     by_value
      - .offset:         104
        .size:           4
        .value_kind:     by_value
      - .offset:         108
        .size:           4
        .value_kind:     by_value
      - .offset:         112
        .size:           4
        .value_kind:     by_value
      - .offset:         116
        .size:           12
        .value_kind:     by_value
      - .offset:         128
        .size:           4
        .value_kind:     by_value
      - .offset:         132
        .size:           4
        .value_kind:     by_value
      - .offset:         136
        .size:           4
        .value_kind:     by_value
      - .offset:         140
        .size:           4
        .value_kind:     by_value
    .group_segment_fixed_size: 0
    .kernarg_segment_align: 8
    .kernarg_segment_size: 144
    .language:       OpenCL C
    .language_version:
      - 2
      - 0
    .max_flat_workgroup_size: 1024
    .name:           _ZL13mul_mat_vec_fI14__hip_bfloat16fLi1ELi128ELb0ELb1EEvPKT_PKfPKi31ggml_cuda_mm_fusion_args_devicePfi15HIP_vector_typeIjLj3EEiiiSB_iiiSB_iiii
    .private_segment_fixed_size: 0
    .sgpr_count:     30
    .sgpr_spill_count: 0
    .symbol:         _ZL13mul_mat_vec_fI14__hip_bfloat16fLi1ELi128ELb0ELb1EEvPKT_PKfPKi31ggml_cuda_mm_fusion_args_devicePfi15HIP_vector_typeIjLj3EEiiiSB_iiiSB_iiii.kd
    .uniform_work_group_size: 1
    .uses_dynamic_stack: false
    .vgpr_count:     12
    .vgpr_spill_count: 0
    .wavefront_size: 32
    .workgroup_processor_mode: 1
  - .args:
      - .address_space:  global
        .offset:         0
        .size:           8
        .value_kind:     global_buffer
      - .address_space:  global
        .offset:         8
        .size:           8
        .value_kind:     global_buffer
      - .address_space:  global
        .offset:         16
        .size:           8
        .value_kind:     global_buffer
      - .offset:         24
        .size:           32
        .value_kind:     by_value
      - .address_space:  global
        .offset:         56
        .size:           8
        .value_kind:     global_buffer
      - .offset:         64
        .size:           4
        .value_kind:     by_value
      - .offset:         68
        .size:           12
        .value_kind:     by_value
      - .offset:         80
        .size:           4
        .value_kind:     by_value
      - .offset:         84
        .size:           4
        .value_kind:     by_value
      - .offset:         88
        .size:           4
        .value_kind:     by_value
      - .offset:         92
        .size:           12
        .value_kind:     by_value
      - .offset:         104
        .size:           4
        .value_kind:     by_value
      - .offset:         108
        .size:           4
        .value_kind:     by_value
      - .offset:         112
        .size:           4
        .value_kind:     by_value
      - .offset:         116
        .size:           12
        .value_kind:     by_value
      - .offset:         128
        .size:           4
        .value_kind:     by_value
      - .offset:         132
        .size:           4
        .value_kind:     by_value
      - .offset:         136
        .size:           4
        .value_kind:     by_value
      - .offset:         140
        .size:           4
        .value_kind:     by_value
    .group_segment_fixed_size: 0
    .kernarg_segment_align: 8
    .kernarg_segment_size: 144
    .language:       OpenCL C
    .language_version:
      - 2
      - 0
    .max_flat_workgroup_size: 1024
    .name:           _ZL13mul_mat_vec_fI14__hip_bfloat16fLi1ELi160ELb1ELb1EEvPKT_PKfPKi31ggml_cuda_mm_fusion_args_devicePfi15HIP_vector_typeIjLj3EEiiiSB_iiiSB_iiii
    .private_segment_fixed_size: 0
    .sgpr_count:     42
    .sgpr_spill_count: 0
    .symbol:         _ZL13mul_mat_vec_fI14__hip_bfloat16fLi1ELi160ELb1ELb1EEvPKT_PKfPKi31ggml_cuda_mm_fusion_args_devicePfi15HIP_vector_typeIjLj3EEiiiSB_iiiSB_iiii.kd
    .uniform_work_group_size: 1
    .uses_dynamic_stack: false
    .vgpr_count:     17
    .vgpr_spill_count: 0
    .wavefront_size: 32
    .workgroup_processor_mode: 1
  - .args:
      - .address_space:  global
        .offset:         0
        .size:           8
        .value_kind:     global_buffer
      - .address_space:  global
        .offset:         8
        .size:           8
        .value_kind:     global_buffer
      - .address_space:  global
        .offset:         16
        .size:           8
        .value_kind:     global_buffer
      - .offset:         24
        .size:           32
        .value_kind:     by_value
      - .address_space:  global
        .offset:         56
        .size:           8
        .value_kind:     global_buffer
      - .offset:         64
        .size:           4
        .value_kind:     by_value
      - .offset:         68
        .size:           12
        .value_kind:     by_value
      - .offset:         80
        .size:           4
        .value_kind:     by_value
      - .offset:         84
        .size:           4
        .value_kind:     by_value
      - .offset:         88
        .size:           4
        .value_kind:     by_value
      - .offset:         92
        .size:           12
        .value_kind:     by_value
      - .offset:         104
        .size:           4
        .value_kind:     by_value
      - .offset:         108
        .size:           4
        .value_kind:     by_value
      - .offset:         112
        .size:           4
        .value_kind:     by_value
      - .offset:         116
        .size:           12
        .value_kind:     by_value
      - .offset:         128
        .size:           4
        .value_kind:     by_value
      - .offset:         132
        .size:           4
        .value_kind:     by_value
      - .offset:         136
        .size:           4
        .value_kind:     by_value
      - .offset:         140
        .size:           4
        .value_kind:     by_value
    .group_segment_fixed_size: 0
    .kernarg_segment_align: 8
    .kernarg_segment_size: 144
    .language:       OpenCL C
    .language_version:
      - 2
      - 0
    .max_flat_workgroup_size: 1024
    .name:           _ZL13mul_mat_vec_fI14__hip_bfloat16fLi1ELi160ELb0ELb1EEvPKT_PKfPKi31ggml_cuda_mm_fusion_args_devicePfi15HIP_vector_typeIjLj3EEiiiSB_iiiSB_iiii
    .private_segment_fixed_size: 0
    .sgpr_count:     30
    .sgpr_spill_count: 0
    .symbol:         _ZL13mul_mat_vec_fI14__hip_bfloat16fLi1ELi160ELb0ELb1EEvPKT_PKfPKi31ggml_cuda_mm_fusion_args_devicePfi15HIP_vector_typeIjLj3EEiiiSB_iiiSB_iiii.kd
    .uniform_work_group_size: 1
    .uses_dynamic_stack: false
    .vgpr_count:     12
    .vgpr_spill_count: 0
    .wavefront_size: 32
    .workgroup_processor_mode: 1
  - .args:
      - .address_space:  global
        .offset:         0
        .size:           8
        .value_kind:     global_buffer
      - .address_space:  global
        .offset:         8
        .size:           8
        .value_kind:     global_buffer
      - .address_space:  global
        .offset:         16
        .size:           8
        .value_kind:     global_buffer
      - .offset:         24
        .size:           32
        .value_kind:     by_value
      - .address_space:  global
        .offset:         56
        .size:           8
        .value_kind:     global_buffer
      - .offset:         64
        .size:           4
        .value_kind:     by_value
      - .offset:         68
        .size:           12
        .value_kind:     by_value
      - .offset:         80
        .size:           4
        .value_kind:     by_value
      - .offset:         84
        .size:           4
        .value_kind:     by_value
      - .offset:         88
        .size:           4
        .value_kind:     by_value
      - .offset:         92
        .size:           12
        .value_kind:     by_value
      - .offset:         104
        .size:           4
        .value_kind:     by_value
      - .offset:         108
        .size:           4
        .value_kind:     by_value
      - .offset:         112
        .size:           4
        .value_kind:     by_value
      - .offset:         116
        .size:           12
        .value_kind:     by_value
      - .offset:         128
        .size:           4
        .value_kind:     by_value
      - .offset:         132
        .size:           4
        .value_kind:     by_value
      - .offset:         136
        .size:           4
        .value_kind:     by_value
      - .offset:         140
        .size:           4
        .value_kind:     by_value
    .group_segment_fixed_size: 0
    .kernarg_segment_align: 8
    .kernarg_segment_size: 144
    .language:       OpenCL C
    .language_version:
      - 2
      - 0
    .max_flat_workgroup_size: 1024
    .name:           _ZL13mul_mat_vec_fI14__hip_bfloat16fLi1ELi192ELb1ELb1EEvPKT_PKfPKi31ggml_cuda_mm_fusion_args_devicePfi15HIP_vector_typeIjLj3EEiiiSB_iiiSB_iiii
    .private_segment_fixed_size: 0
    .sgpr_count:     42
    .sgpr_spill_count: 0
    .symbol:         _ZL13mul_mat_vec_fI14__hip_bfloat16fLi1ELi192ELb1ELb1EEvPKT_PKfPKi31ggml_cuda_mm_fusion_args_devicePfi15HIP_vector_typeIjLj3EEiiiSB_iiiSB_iiii.kd
    .uniform_work_group_size: 1
    .uses_dynamic_stack: false
    .vgpr_count:     17
    .vgpr_spill_count: 0
    .wavefront_size: 32
    .workgroup_processor_mode: 1
  - .args:
      - .address_space:  global
        .offset:         0
        .size:           8
        .value_kind:     global_buffer
      - .address_space:  global
        .offset:         8
        .size:           8
        .value_kind:     global_buffer
      - .address_space:  global
        .offset:         16
        .size:           8
        .value_kind:     global_buffer
      - .offset:         24
        .size:           32
        .value_kind:     by_value
      - .address_space:  global
        .offset:         56
        .size:           8
        .value_kind:     global_buffer
      - .offset:         64
        .size:           4
        .value_kind:     by_value
      - .offset:         68
        .size:           12
        .value_kind:     by_value
      - .offset:         80
        .size:           4
        .value_kind:     by_value
      - .offset:         84
        .size:           4
        .value_kind:     by_value
      - .offset:         88
        .size:           4
        .value_kind:     by_value
      - .offset:         92
        .size:           12
        .value_kind:     by_value
      - .offset:         104
        .size:           4
        .value_kind:     by_value
      - .offset:         108
        .size:           4
        .value_kind:     by_value
      - .offset:         112
        .size:           4
        .value_kind:     by_value
      - .offset:         116
        .size:           12
        .value_kind:     by_value
      - .offset:         128
        .size:           4
        .value_kind:     by_value
      - .offset:         132
        .size:           4
        .value_kind:     by_value
      - .offset:         136
        .size:           4
        .value_kind:     by_value
      - .offset:         140
        .size:           4
        .value_kind:     by_value
    .group_segment_fixed_size: 0
    .kernarg_segment_align: 8
    .kernarg_segment_size: 144
    .language:       OpenCL C
    .language_version:
      - 2
      - 0
    .max_flat_workgroup_size: 1024
    .name:           _ZL13mul_mat_vec_fI14__hip_bfloat16fLi1ELi192ELb0ELb1EEvPKT_PKfPKi31ggml_cuda_mm_fusion_args_devicePfi15HIP_vector_typeIjLj3EEiiiSB_iiiSB_iiii
    .private_segment_fixed_size: 0
    .sgpr_count:     30
    .sgpr_spill_count: 0
    .symbol:         _ZL13mul_mat_vec_fI14__hip_bfloat16fLi1ELi192ELb0ELb1EEvPKT_PKfPKi31ggml_cuda_mm_fusion_args_devicePfi15HIP_vector_typeIjLj3EEiiiSB_iiiSB_iiii.kd
    .uniform_work_group_size: 1
    .uses_dynamic_stack: false
    .vgpr_count:     12
    .vgpr_spill_count: 0
    .wavefront_size: 32
    .workgroup_processor_mode: 1
  - .args:
      - .address_space:  global
        .offset:         0
        .size:           8
        .value_kind:     global_buffer
      - .address_space:  global
        .offset:         8
        .size:           8
        .value_kind:     global_buffer
      - .address_space:  global
        .offset:         16
        .size:           8
        .value_kind:     global_buffer
      - .offset:         24
        .size:           32
        .value_kind:     by_value
      - .address_space:  global
        .offset:         56
        .size:           8
        .value_kind:     global_buffer
      - .offset:         64
        .size:           4
        .value_kind:     by_value
      - .offset:         68
        .size:           12
        .value_kind:     by_value
      - .offset:         80
        .size:           4
        .value_kind:     by_value
      - .offset:         84
        .size:           4
        .value_kind:     by_value
      - .offset:         88
        .size:           4
        .value_kind:     by_value
      - .offset:         92
        .size:           12
        .value_kind:     by_value
      - .offset:         104
        .size:           4
        .value_kind:     by_value
      - .offset:         108
        .size:           4
        .value_kind:     by_value
      - .offset:         112
        .size:           4
        .value_kind:     by_value
      - .offset:         116
        .size:           12
        .value_kind:     by_value
      - .offset:         128
        .size:           4
        .value_kind:     by_value
      - .offset:         132
        .size:           4
        .value_kind:     by_value
      - .offset:         136
        .size:           4
        .value_kind:     by_value
      - .offset:         140
        .size:           4
        .value_kind:     by_value
    .group_segment_fixed_size: 0
    .kernarg_segment_align: 8
    .kernarg_segment_size: 144
    .language:       OpenCL C
    .language_version:
      - 2
      - 0
    .max_flat_workgroup_size: 1024
    .name:           _ZL13mul_mat_vec_fI14__hip_bfloat16fLi1ELi224ELb1ELb1EEvPKT_PKfPKi31ggml_cuda_mm_fusion_args_devicePfi15HIP_vector_typeIjLj3EEiiiSB_iiiSB_iiii
    .private_segment_fixed_size: 0
    .sgpr_count:     42
    .sgpr_spill_count: 0
    .symbol:         _ZL13mul_mat_vec_fI14__hip_bfloat16fLi1ELi224ELb1ELb1EEvPKT_PKfPKi31ggml_cuda_mm_fusion_args_devicePfi15HIP_vector_typeIjLj3EEiiiSB_iiiSB_iiii.kd
    .uniform_work_group_size: 1
    .uses_dynamic_stack: false
    .vgpr_count:     17
    .vgpr_spill_count: 0
    .wavefront_size: 32
    .workgroup_processor_mode: 1
  - .args:
      - .address_space:  global
        .offset:         0
        .size:           8
        .value_kind:     global_buffer
      - .address_space:  global
        .offset:         8
        .size:           8
        .value_kind:     global_buffer
      - .address_space:  global
        .offset:         16
        .size:           8
        .value_kind:     global_buffer
      - .offset:         24
        .size:           32
        .value_kind:     by_value
      - .address_space:  global
        .offset:         56
        .size:           8
        .value_kind:     global_buffer
      - .offset:         64
        .size:           4
        .value_kind:     by_value
      - .offset:         68
        .size:           12
        .value_kind:     by_value
      - .offset:         80
        .size:           4
        .value_kind:     by_value
      - .offset:         84
        .size:           4
        .value_kind:     by_value
      - .offset:         88
        .size:           4
        .value_kind:     by_value
      - .offset:         92
        .size:           12
        .value_kind:     by_value
      - .offset:         104
        .size:           4
        .value_kind:     by_value
      - .offset:         108
        .size:           4
        .value_kind:     by_value
      - .offset:         112
        .size:           4
        .value_kind:     by_value
      - .offset:         116
        .size:           12
        .value_kind:     by_value
      - .offset:         128
        .size:           4
        .value_kind:     by_value
      - .offset:         132
        .size:           4
        .value_kind:     by_value
      - .offset:         136
        .size:           4
        .value_kind:     by_value
      - .offset:         140
        .size:           4
        .value_kind:     by_value
    .group_segment_fixed_size: 0
    .kernarg_segment_align: 8
    .kernarg_segment_size: 144
    .language:       OpenCL C
    .language_version:
      - 2
      - 0
    .max_flat_workgroup_size: 1024
    .name:           _ZL13mul_mat_vec_fI14__hip_bfloat16fLi1ELi224ELb0ELb1EEvPKT_PKfPKi31ggml_cuda_mm_fusion_args_devicePfi15HIP_vector_typeIjLj3EEiiiSB_iiiSB_iiii
    .private_segment_fixed_size: 0
    .sgpr_count:     30
    .sgpr_spill_count: 0
    .symbol:         _ZL13mul_mat_vec_fI14__hip_bfloat16fLi1ELi224ELb0ELb1EEvPKT_PKfPKi31ggml_cuda_mm_fusion_args_devicePfi15HIP_vector_typeIjLj3EEiiiSB_iiiSB_iiii.kd
    .uniform_work_group_size: 1
    .uses_dynamic_stack: false
    .vgpr_count:     12
    .vgpr_spill_count: 0
    .wavefront_size: 32
    .workgroup_processor_mode: 1
  - .args:
      - .address_space:  global
        .offset:         0
        .size:           8
        .value_kind:     global_buffer
      - .address_space:  global
        .offset:         8
        .size:           8
        .value_kind:     global_buffer
      - .address_space:  global
        .offset:         16
        .size:           8
        .value_kind:     global_buffer
      - .offset:         24
        .size:           32
        .value_kind:     by_value
      - .address_space:  global
        .offset:         56
        .size:           8
        .value_kind:     global_buffer
      - .offset:         64
        .size:           4
        .value_kind:     by_value
      - .offset:         68
        .size:           12
        .value_kind:     by_value
      - .offset:         80
        .size:           4
        .value_kind:     by_value
      - .offset:         84
        .size:           4
        .value_kind:     by_value
      - .offset:         88
        .size:           4
        .value_kind:     by_value
      - .offset:         92
        .size:           12
        .value_kind:     by_value
      - .offset:         104
        .size:           4
        .value_kind:     by_value
      - .offset:         108
        .size:           4
        .value_kind:     by_value
      - .offset:         112
        .size:           4
        .value_kind:     by_value
      - .offset:         116
        .size:           12
        .value_kind:     by_value
      - .offset:         128
        .size:           4
        .value_kind:     by_value
      - .offset:         132
        .size:           4
        .value_kind:     by_value
      - .offset:         136
        .size:           4
        .value_kind:     by_value
      - .offset:         140
        .size:           4
        .value_kind:     by_value
    .group_segment_fixed_size: 0
    .kernarg_segment_align: 8
    .kernarg_segment_size: 144
    .language:       OpenCL C
    .language_version:
      - 2
      - 0
    .max_flat_workgroup_size: 1024
    .name:           _ZL13mul_mat_vec_fI14__hip_bfloat16fLi1ELi256ELb1ELb1EEvPKT_PKfPKi31ggml_cuda_mm_fusion_args_devicePfi15HIP_vector_typeIjLj3EEiiiSB_iiiSB_iiii
    .private_segment_fixed_size: 0
    .sgpr_count:     42
    .sgpr_spill_count: 0
    .symbol:         _ZL13mul_mat_vec_fI14__hip_bfloat16fLi1ELi256ELb1ELb1EEvPKT_PKfPKi31ggml_cuda_mm_fusion_args_devicePfi15HIP_vector_typeIjLj3EEiiiSB_iiiSB_iiii.kd
    .uniform_work_group_size: 1
    .uses_dynamic_stack: false
    .vgpr_count:     17
    .vgpr_spill_count: 0
    .wavefront_size: 32
    .workgroup_processor_mode: 1
  - .args:
      - .address_space:  global
        .offset:         0
        .size:           8
        .value_kind:     global_buffer
      - .address_space:  global
        .offset:         8
        .size:           8
        .value_kind:     global_buffer
      - .address_space:  global
        .offset:         16
        .size:           8
        .value_kind:     global_buffer
      - .offset:         24
        .size:           32
        .value_kind:     by_value
      - .address_space:  global
        .offset:         56
        .size:           8
        .value_kind:     global_buffer
      - .offset:         64
        .size:           4
        .value_kind:     by_value
      - .offset:         68
        .size:           12
        .value_kind:     by_value
      - .offset:         80
        .size:           4
        .value_kind:     by_value
      - .offset:         84
        .size:           4
        .value_kind:     by_value
      - .offset:         88
        .size:           4
        .value_kind:     by_value
      - .offset:         92
        .size:           12
        .value_kind:     by_value
      - .offset:         104
        .size:           4
        .value_kind:     by_value
      - .offset:         108
        .size:           4
        .value_kind:     by_value
      - .offset:         112
        .size:           4
        .value_kind:     by_value
      - .offset:         116
        .size:           12
        .value_kind:     by_value
      - .offset:         128
        .size:           4
        .value_kind:     by_value
      - .offset:         132
        .size:           4
        .value_kind:     by_value
      - .offset:         136
        .size:           4
        .value_kind:     by_value
      - .offset:         140
        .size:           4
        .value_kind:     by_value
    .group_segment_fixed_size: 0
    .kernarg_segment_align: 8
    .kernarg_segment_size: 144
    .language:       OpenCL C
    .language_version:
      - 2
      - 0
    .max_flat_workgroup_size: 1024
    .name:           _ZL13mul_mat_vec_fI14__hip_bfloat16fLi1ELi256ELb0ELb1EEvPKT_PKfPKi31ggml_cuda_mm_fusion_args_devicePfi15HIP_vector_typeIjLj3EEiiiSB_iiiSB_iiii
    .private_segment_fixed_size: 0
    .sgpr_count:     30
    .sgpr_spill_count: 0
    .symbol:         _ZL13mul_mat_vec_fI14__hip_bfloat16fLi1ELi256ELb0ELb1EEvPKT_PKfPKi31ggml_cuda_mm_fusion_args_devicePfi15HIP_vector_typeIjLj3EEiiiSB_iiiSB_iiii.kd
    .uniform_work_group_size: 1
    .uses_dynamic_stack: false
    .vgpr_count:     12
    .vgpr_spill_count: 0
    .wavefront_size: 32
    .workgroup_processor_mode: 1
  - .args:
      - .address_space:  global
        .offset:         0
        .size:           8
        .value_kind:     global_buffer
      - .address_space:  global
        .offset:         8
        .size:           8
        .value_kind:     global_buffer
      - .address_space:  global
        .offset:         16
        .size:           8
        .value_kind:     global_buffer
      - .offset:         24
        .size:           32
        .value_kind:     by_value
      - .address_space:  global
        .offset:         56
        .size:           8
        .value_kind:     global_buffer
      - .offset:         64
        .size:           4
        .value_kind:     by_value
      - .offset:         68
        .size:           12
        .value_kind:     by_value
      - .offset:         80
        .size:           4
        .value_kind:     by_value
      - .offset:         84
        .size:           4
        .value_kind:     by_value
      - .offset:         88
        .size:           4
        .value_kind:     by_value
      - .offset:         92
        .size:           12
        .value_kind:     by_value
      - .offset:         104
        .size:           4
        .value_kind:     by_value
      - .offset:         108
        .size:           4
        .value_kind:     by_value
      - .offset:         112
        .size:           4
        .value_kind:     by_value
      - .offset:         116
        .size:           12
        .value_kind:     by_value
      - .offset:         128
        .size:           4
        .value_kind:     by_value
      - .offset:         132
        .size:           4
        .value_kind:     by_value
      - .offset:         136
        .size:           4
        .value_kind:     by_value
      - .offset:         140
        .size:           4
        .value_kind:     by_value
    .group_segment_fixed_size: 0
    .kernarg_segment_align: 8
    .kernarg_segment_size: 144
    .language:       OpenCL C
    .language_version:
      - 2
      - 0
    .max_flat_workgroup_size: 1024
    .name:           _ZL13mul_mat_vec_fI14__hip_bfloat16fLi1ELi32ELb1ELb0EEvPKT_PKfPKi31ggml_cuda_mm_fusion_args_devicePfi15HIP_vector_typeIjLj3EEiiiSB_iiiSB_iiii
    .private_segment_fixed_size: 0
    .sgpr_count:     42
    .sgpr_spill_count: 0
    .symbol:         _ZL13mul_mat_vec_fI14__hip_bfloat16fLi1ELi32ELb1ELb0EEvPKT_PKfPKi31ggml_cuda_mm_fusion_args_devicePfi15HIP_vector_typeIjLj3EEiiiSB_iiiSB_iiii.kd
    .uniform_work_group_size: 1
    .uses_dynamic_stack: false
    .vgpr_count:     16
    .vgpr_spill_count: 0
    .wavefront_size: 32
    .workgroup_processor_mode: 1
  - .args:
      - .address_space:  global
        .offset:         0
        .size:           8
        .value_kind:     global_buffer
      - .address_space:  global
        .offset:         8
        .size:           8
        .value_kind:     global_buffer
      - .address_space:  global
        .offset:         16
        .size:           8
        .value_kind:     global_buffer
      - .offset:         24
        .size:           32
        .value_kind:     by_value
      - .address_space:  global
        .offset:         56
        .size:           8
        .value_kind:     global_buffer
      - .offset:         64
        .size:           4
        .value_kind:     by_value
      - .offset:         68
        .size:           12
        .value_kind:     by_value
      - .offset:         80
        .size:           4
        .value_kind:     by_value
      - .offset:         84
        .size:           4
        .value_kind:     by_value
      - .offset:         88
        .size:           4
        .value_kind:     by_value
      - .offset:         92
        .size:           12
        .value_kind:     by_value
      - .offset:         104
        .size:           4
        .value_kind:     by_value
      - .offset:         108
        .size:           4
        .value_kind:     by_value
      - .offset:         112
        .size:           4
        .value_kind:     by_value
      - .offset:         116
        .size:           12
        .value_kind:     by_value
      - .offset:         128
        .size:           4
        .value_kind:     by_value
      - .offset:         132
        .size:           4
        .value_kind:     by_value
      - .offset:         136
        .size:           4
        .value_kind:     by_value
      - .offset:         140
        .size:           4
        .value_kind:     by_value
    .group_segment_fixed_size: 0
    .kernarg_segment_align: 8
    .kernarg_segment_size: 144
    .language:       OpenCL C
    .language_version:
      - 2
      - 0
    .max_flat_workgroup_size: 1024
    .name:           _ZL13mul_mat_vec_fI14__hip_bfloat16fLi1ELi32ELb0ELb0EEvPKT_PKfPKi31ggml_cuda_mm_fusion_args_devicePfi15HIP_vector_typeIjLj3EEiiiSB_iiiSB_iiii
    .private_segment_fixed_size: 0
    .sgpr_count:     30
    .sgpr_spill_count: 0
    .symbol:         _ZL13mul_mat_vec_fI14__hip_bfloat16fLi1ELi32ELb0ELb0EEvPKT_PKfPKi31ggml_cuda_mm_fusion_args_devicePfi15HIP_vector_typeIjLj3EEiiiSB_iiiSB_iiii.kd
    .uniform_work_group_size: 1
    .uses_dynamic_stack: false
    .vgpr_count:     11
    .vgpr_spill_count: 0
    .wavefront_size: 32
    .workgroup_processor_mode: 1
  - .args:
      - .address_space:  global
        .offset:         0
        .size:           8
        .value_kind:     global_buffer
      - .address_space:  global
        .offset:         8
        .size:           8
        .value_kind:     global_buffer
      - .address_space:  global
        .offset:         16
        .size:           8
        .value_kind:     global_buffer
      - .offset:         24
        .size:           32
        .value_kind:     by_value
      - .address_space:  global
        .offset:         56
        .size:           8
        .value_kind:     global_buffer
      - .offset:         64
        .size:           4
        .value_kind:     by_value
      - .offset:         68
        .size:           12
        .value_kind:     by_value
      - .offset:         80
        .size:           4
        .value_kind:     by_value
      - .offset:         84
        .size:           4
        .value_kind:     by_value
      - .offset:         88
        .size:           4
        .value_kind:     by_value
      - .offset:         92
        .size:           12
        .value_kind:     by_value
      - .offset:         104
        .size:           4
        .value_kind:     by_value
      - .offset:         108
        .size:           4
        .value_kind:     by_value
      - .offset:         112
        .size:           4
        .value_kind:     by_value
      - .offset:         116
        .size:           12
        .value_kind:     by_value
      - .offset:         128
        .size:           4
        .value_kind:     by_value
      - .offset:         132
        .size:           4
        .value_kind:     by_value
      - .offset:         136
        .size:           4
        .value_kind:     by_value
      - .offset:         140
        .size:           4
        .value_kind:     by_value
    .group_segment_fixed_size: 0
    .kernarg_segment_align: 8
    .kernarg_segment_size: 144
    .language:       OpenCL C
    .language_version:
      - 2
      - 0
    .max_flat_workgroup_size: 1024
    .name:           _ZL13mul_mat_vec_fI14__hip_bfloat16fLi1ELi64ELb1ELb0EEvPKT_PKfPKi31ggml_cuda_mm_fusion_args_devicePfi15HIP_vector_typeIjLj3EEiiiSB_iiiSB_iiii
    .private_segment_fixed_size: 0
    .sgpr_count:     42
    .sgpr_spill_count: 0
    .symbol:         _ZL13mul_mat_vec_fI14__hip_bfloat16fLi1ELi64ELb1ELb0EEvPKT_PKfPKi31ggml_cuda_mm_fusion_args_devicePfi15HIP_vector_typeIjLj3EEiiiSB_iiiSB_iiii.kd
    .uniform_work_group_size: 1
    .uses_dynamic_stack: false
    .vgpr_count:     17
    .vgpr_spill_count: 0
    .wavefront_size: 32
    .workgroup_processor_mode: 1
  - .args:
      - .address_space:  global
        .offset:         0
        .size:           8
        .value_kind:     global_buffer
      - .address_space:  global
        .offset:         8
        .size:           8
        .value_kind:     global_buffer
      - .address_space:  global
        .offset:         16
        .size:           8
        .value_kind:     global_buffer
      - .offset:         24
        .size:           32
        .value_kind:     by_value
      - .address_space:  global
        .offset:         56
        .size:           8
        .value_kind:     global_buffer
      - .offset:         64
        .size:           4
        .value_kind:     by_value
      - .offset:         68
        .size:           12
        .value_kind:     by_value
      - .offset:         80
        .size:           4
        .value_kind:     by_value
      - .offset:         84
        .size:           4
        .value_kind:     by_value
      - .offset:         88
        .size:           4
        .value_kind:     by_value
      - .offset:         92
        .size:           12
        .value_kind:     by_value
      - .offset:         104
        .size:           4
        .value_kind:     by_value
      - .offset:         108
        .size:           4
        .value_kind:     by_value
      - .offset:         112
        .size:           4
        .value_kind:     by_value
      - .offset:         116
        .size:           12
        .value_kind:     by_value
      - .offset:         128
        .size:           4
        .value_kind:     by_value
      - .offset:         132
        .size:           4
        .value_kind:     by_value
      - .offset:         136
        .size:           4
        .value_kind:     by_value
      - .offset:         140
        .size:           4
        .value_kind:     by_value
    .group_segment_fixed_size: 0
    .kernarg_segment_align: 8
    .kernarg_segment_size: 144
    .language:       OpenCL C
    .language_version:
      - 2
      - 0
    .max_flat_workgroup_size: 1024
    .name:           _ZL13mul_mat_vec_fI14__hip_bfloat16fLi1ELi64ELb0ELb0EEvPKT_PKfPKi31ggml_cuda_mm_fusion_args_devicePfi15HIP_vector_typeIjLj3EEiiiSB_iiiSB_iiii
    .private_segment_fixed_size: 0
    .sgpr_count:     30
    .sgpr_spill_count: 0
    .symbol:         _ZL13mul_mat_vec_fI14__hip_bfloat16fLi1ELi64ELb0ELb0EEvPKT_PKfPKi31ggml_cuda_mm_fusion_args_devicePfi15HIP_vector_typeIjLj3EEiiiSB_iiiSB_iiii.kd
    .uniform_work_group_size: 1
    .uses_dynamic_stack: false
    .vgpr_count:     12
    .vgpr_spill_count: 0
    .wavefront_size: 32
    .workgroup_processor_mode: 1
  - .args:
      - .address_space:  global
        .offset:         0
        .size:           8
        .value_kind:     global_buffer
      - .address_space:  global
        .offset:         8
        .size:           8
        .value_kind:     global_buffer
      - .address_space:  global
        .offset:         16
        .size:           8
        .value_kind:     global_buffer
      - .offset:         24
        .size:           32
        .value_kind:     by_value
      - .address_space:  global
        .offset:         56
        .size:           8
        .value_kind:     global_buffer
      - .offset:         64
        .size:           4
        .value_kind:     by_value
      - .offset:         68
        .size:           12
        .value_kind:     by_value
      - .offset:         80
        .size:           4
        .value_kind:     by_value
      - .offset:         84
        .size:           4
        .value_kind:     by_value
      - .offset:         88
        .size:           4
        .value_kind:     by_value
      - .offset:         92
        .size:           12
        .value_kind:     by_value
      - .offset:         104
        .size:           4
        .value_kind:     by_value
      - .offset:         108
        .size:           4
        .value_kind:     by_value
      - .offset:         112
        .size:           4
        .value_kind:     by_value
      - .offset:         116
        .size:           12
        .value_kind:     by_value
      - .offset:         128
        .size:           4
        .value_kind:     by_value
      - .offset:         132
        .size:           4
        .value_kind:     by_value
      - .offset:         136
        .size:           4
        .value_kind:     by_value
      - .offset:         140
        .size:           4
        .value_kind:     by_value
    .group_segment_fixed_size: 0
    .kernarg_segment_align: 8
    .kernarg_segment_size: 144
    .language:       OpenCL C
    .language_version:
      - 2
      - 0
    .max_flat_workgroup_size: 1024
    .name:           _ZL13mul_mat_vec_fI14__hip_bfloat16fLi1ELi96ELb1ELb0EEvPKT_PKfPKi31ggml_cuda_mm_fusion_args_devicePfi15HIP_vector_typeIjLj3EEiiiSB_iiiSB_iiii
    .private_segment_fixed_size: 0
    .sgpr_count:     42
    .sgpr_spill_count: 0
    .symbol:         _ZL13mul_mat_vec_fI14__hip_bfloat16fLi1ELi96ELb1ELb0EEvPKT_PKfPKi31ggml_cuda_mm_fusion_args_devicePfi15HIP_vector_typeIjLj3EEiiiSB_iiiSB_iiii.kd
    .uniform_work_group_size: 1
    .uses_dynamic_stack: false
    .vgpr_count:     17
    .vgpr_spill_count: 0
    .wavefront_size: 32
    .workgroup_processor_mode: 1
  - .args:
      - .address_space:  global
        .offset:         0
        .size:           8
        .value_kind:     global_buffer
      - .address_space:  global
        .offset:         8
        .size:           8
        .value_kind:     global_buffer
      - .address_space:  global
        .offset:         16
        .size:           8
        .value_kind:     global_buffer
      - .offset:         24
        .size:           32
        .value_kind:     by_value
      - .address_space:  global
        .offset:         56
        .size:           8
        .value_kind:     global_buffer
      - .offset:         64
        .size:           4
        .value_kind:     by_value
      - .offset:         68
        .size:           12
        .value_kind:     by_value
      - .offset:         80
        .size:           4
        .value_kind:     by_value
      - .offset:         84
        .size:           4
        .value_kind:     by_value
      - .offset:         88
        .size:           4
        .value_kind:     by_value
      - .offset:         92
        .size:           12
        .value_kind:     by_value
      - .offset:         104
        .size:           4
        .value_kind:     by_value
      - .offset:         108
        .size:           4
        .value_kind:     by_value
      - .offset:         112
        .size:           4
        .value_kind:     by_value
      - .offset:         116
        .size:           12
        .value_kind:     by_value
      - .offset:         128
        .size:           4
        .value_kind:     by_value
      - .offset:         132
        .size:           4
        .value_kind:     by_value
      - .offset:         136
        .size:           4
        .value_kind:     by_value
      - .offset:         140
        .size:           4
        .value_kind:     by_value
    .group_segment_fixed_size: 0
    .kernarg_segment_align: 8
    .kernarg_segment_size: 144
    .language:       OpenCL C
    .language_version:
      - 2
      - 0
    .max_flat_workgroup_size: 1024
    .name:           _ZL13mul_mat_vec_fI14__hip_bfloat16fLi1ELi96ELb0ELb0EEvPKT_PKfPKi31ggml_cuda_mm_fusion_args_devicePfi15HIP_vector_typeIjLj3EEiiiSB_iiiSB_iiii
    .private_segment_fixed_size: 0
    .sgpr_count:     30
    .sgpr_spill_count: 0
    .symbol:         _ZL13mul_mat_vec_fI14__hip_bfloat16fLi1ELi96ELb0ELb0EEvPKT_PKfPKi31ggml_cuda_mm_fusion_args_devicePfi15HIP_vector_typeIjLj3EEiiiSB_iiiSB_iiii.kd
    .uniform_work_group_size: 1
    .uses_dynamic_stack: false
    .vgpr_count:     12
    .vgpr_spill_count: 0
    .wavefront_size: 32
    .workgroup_processor_mode: 1
  - .args:
      - .address_space:  global
        .offset:         0
        .size:           8
        .value_kind:     global_buffer
      - .address_space:  global
        .offset:         8
        .size:           8
        .value_kind:     global_buffer
      - .address_space:  global
        .offset:         16
        .size:           8
        .value_kind:     global_buffer
      - .offset:         24
        .size:           32
        .value_kind:     by_value
      - .address_space:  global
        .offset:         56
        .size:           8
        .value_kind:     global_buffer
      - .offset:         64
        .size:           4
        .value_kind:     by_value
      - .offset:         68
        .size:           12
        .value_kind:     by_value
      - .offset:         80
        .size:           4
        .value_kind:     by_value
      - .offset:         84
        .size:           4
        .value_kind:     by_value
      - .offset:         88
        .size:           4
        .value_kind:     by_value
      - .offset:         92
        .size:           12
        .value_kind:     by_value
      - .offset:         104
        .size:           4
        .value_kind:     by_value
      - .offset:         108
        .size:           4
        .value_kind:     by_value
      - .offset:         112
        .size:           4
        .value_kind:     by_value
      - .offset:         116
        .size:           12
        .value_kind:     by_value
      - .offset:         128
        .size:           4
        .value_kind:     by_value
      - .offset:         132
        .size:           4
        .value_kind:     by_value
      - .offset:         136
        .size:           4
        .value_kind:     by_value
      - .offset:         140
        .size:           4
        .value_kind:     by_value
    .group_segment_fixed_size: 0
    .kernarg_segment_align: 8
    .kernarg_segment_size: 144
    .language:       OpenCL C
    .language_version:
      - 2
      - 0
    .max_flat_workgroup_size: 1024
    .name:           _ZL13mul_mat_vec_fI14__hip_bfloat16fLi1ELi128ELb1ELb0EEvPKT_PKfPKi31ggml_cuda_mm_fusion_args_devicePfi15HIP_vector_typeIjLj3EEiiiSB_iiiSB_iiii
    .private_segment_fixed_size: 0
    .sgpr_count:     42
    .sgpr_spill_count: 0
    .symbol:         _ZL13mul_mat_vec_fI14__hip_bfloat16fLi1ELi128ELb1ELb0EEvPKT_PKfPKi31ggml_cuda_mm_fusion_args_devicePfi15HIP_vector_typeIjLj3EEiiiSB_iiiSB_iiii.kd
    .uniform_work_group_size: 1
    .uses_dynamic_stack: false
    .vgpr_count:     17
    .vgpr_spill_count: 0
    .wavefront_size: 32
    .workgroup_processor_mode: 1
  - .args:
      - .address_space:  global
        .offset:         0
        .size:           8
        .value_kind:     global_buffer
      - .address_space:  global
        .offset:         8
        .size:           8
        .value_kind:     global_buffer
      - .address_space:  global
        .offset:         16
        .size:           8
        .value_kind:     global_buffer
      - .offset:         24
        .size:           32
        .value_kind:     by_value
      - .address_space:  global
        .offset:         56
        .size:           8
        .value_kind:     global_buffer
      - .offset:         64
        .size:           4
        .value_kind:     by_value
      - .offset:         68
        .size:           12
        .value_kind:     by_value
      - .offset:         80
        .size:           4
        .value_kind:     by_value
      - .offset:         84
        .size:           4
        .value_kind:     by_value
      - .offset:         88
        .size:           4
        .value_kind:     by_value
      - .offset:         92
        .size:           12
        .value_kind:     by_value
      - .offset:         104
        .size:           4
        .value_kind:     by_value
      - .offset:         108
        .size:           4
        .value_kind:     by_value
      - .offset:         112
        .size:           4
        .value_kind:     by_value
      - .offset:         116
        .size:           12
        .value_kind:     by_value
      - .offset:         128
        .size:           4
        .value_kind:     by_value
      - .offset:         132
        .size:           4
        .value_kind:     by_value
      - .offset:         136
        .size:           4
        .value_kind:     by_value
      - .offset:         140
        .size:           4
        .value_kind:     by_value
    .group_segment_fixed_size: 0
    .kernarg_segment_align: 8
    .kernarg_segment_size: 144
    .language:       OpenCL C
    .language_version:
      - 2
      - 0
    .max_flat_workgroup_size: 1024
    .name:           _ZL13mul_mat_vec_fI14__hip_bfloat16fLi1ELi128ELb0ELb0EEvPKT_PKfPKi31ggml_cuda_mm_fusion_args_devicePfi15HIP_vector_typeIjLj3EEiiiSB_iiiSB_iiii
    .private_segment_fixed_size: 0
    .sgpr_count:     30
    .sgpr_spill_count: 0
    .symbol:         _ZL13mul_mat_vec_fI14__hip_bfloat16fLi1ELi128ELb0ELb0EEvPKT_PKfPKi31ggml_cuda_mm_fusion_args_devicePfi15HIP_vector_typeIjLj3EEiiiSB_iiiSB_iiii.kd
    .uniform_work_group_size: 1
    .uses_dynamic_stack: false
    .vgpr_count:     12
    .vgpr_spill_count: 0
    .wavefront_size: 32
    .workgroup_processor_mode: 1
  - .args:
      - .address_space:  global
        .offset:         0
        .size:           8
        .value_kind:     global_buffer
      - .address_space:  global
        .offset:         8
        .size:           8
        .value_kind:     global_buffer
      - .address_space:  global
        .offset:         16
        .size:           8
        .value_kind:     global_buffer
      - .offset:         24
        .size:           32
        .value_kind:     by_value
      - .address_space:  global
        .offset:         56
        .size:           8
        .value_kind:     global_buffer
      - .offset:         64
        .size:           4
        .value_kind:     by_value
      - .offset:         68
        .size:           12
        .value_kind:     by_value
      - .offset:         80
        .size:           4
        .value_kind:     by_value
      - .offset:         84
        .size:           4
        .value_kind:     by_value
      - .offset:         88
        .size:           4
        .value_kind:     by_value
      - .offset:         92
        .size:           12
        .value_kind:     by_value
      - .offset:         104
        .size:           4
        .value_kind:     by_value
      - .offset:         108
        .size:           4
        .value_kind:     by_value
      - .offset:         112
        .size:           4
        .value_kind:     by_value
      - .offset:         116
        .size:           12
        .value_kind:     by_value
      - .offset:         128
        .size:           4
        .value_kind:     by_value
      - .offset:         132
        .size:           4
        .value_kind:     by_value
      - .offset:         136
        .size:           4
        .value_kind:     by_value
      - .offset:         140
        .size:           4
        .value_kind:     by_value
    .group_segment_fixed_size: 0
    .kernarg_segment_align: 8
    .kernarg_segment_size: 144
    .language:       OpenCL C
    .language_version:
      - 2
      - 0
    .max_flat_workgroup_size: 1024
    .name:           _ZL13mul_mat_vec_fI14__hip_bfloat16fLi1ELi160ELb1ELb0EEvPKT_PKfPKi31ggml_cuda_mm_fusion_args_devicePfi15HIP_vector_typeIjLj3EEiiiSB_iiiSB_iiii
    .private_segment_fixed_size: 0
    .sgpr_count:     42
    .sgpr_spill_count: 0
    .symbol:         _ZL13mul_mat_vec_fI14__hip_bfloat16fLi1ELi160ELb1ELb0EEvPKT_PKfPKi31ggml_cuda_mm_fusion_args_devicePfi15HIP_vector_typeIjLj3EEiiiSB_iiiSB_iiii.kd
    .uniform_work_group_size: 1
    .uses_dynamic_stack: false
    .vgpr_count:     17
    .vgpr_spill_count: 0
    .wavefront_size: 32
    .workgroup_processor_mode: 1
  - .args:
      - .address_space:  global
        .offset:         0
        .size:           8
        .value_kind:     global_buffer
      - .address_space:  global
        .offset:         8
        .size:           8
        .value_kind:     global_buffer
      - .address_space:  global
        .offset:         16
        .size:           8
        .value_kind:     global_buffer
      - .offset:         24
        .size:           32
        .value_kind:     by_value
      - .address_space:  global
        .offset:         56
        .size:           8
        .value_kind:     global_buffer
      - .offset:         64
        .size:           4
        .value_kind:     by_value
      - .offset:         68
        .size:           12
        .value_kind:     by_value
      - .offset:         80
        .size:           4
        .value_kind:     by_value
      - .offset:         84
        .size:           4
        .value_kind:     by_value
      - .offset:         88
        .size:           4
        .value_kind:     by_value
      - .offset:         92
        .size:           12
        .value_kind:     by_value
      - .offset:         104
        .size:           4
        .value_kind:     by_value
      - .offset:         108
        .size:           4
        .value_kind:     by_value
      - .offset:         112
        .size:           4
        .value_kind:     by_value
      - .offset:         116
        .size:           12
        .value_kind:     by_value
      - .offset:         128
        .size:           4
        .value_kind:     by_value
      - .offset:         132
        .size:           4
        .value_kind:     by_value
      - .offset:         136
        .size:           4
        .value_kind:     by_value
      - .offset:         140
        .size:           4
        .value_kind:     by_value
    .group_segment_fixed_size: 0
    .kernarg_segment_align: 8
    .kernarg_segment_size: 144
    .language:       OpenCL C
    .language_version:
      - 2
      - 0
    .max_flat_workgroup_size: 1024
    .name:           _ZL13mul_mat_vec_fI14__hip_bfloat16fLi1ELi160ELb0ELb0EEvPKT_PKfPKi31ggml_cuda_mm_fusion_args_devicePfi15HIP_vector_typeIjLj3EEiiiSB_iiiSB_iiii
    .private_segment_fixed_size: 0
    .sgpr_count:     30
    .sgpr_spill_count: 0
    .symbol:         _ZL13mul_mat_vec_fI14__hip_bfloat16fLi1ELi160ELb0ELb0EEvPKT_PKfPKi31ggml_cuda_mm_fusion_args_devicePfi15HIP_vector_typeIjLj3EEiiiSB_iiiSB_iiii.kd
    .uniform_work_group_size: 1
    .uses_dynamic_stack: false
    .vgpr_count:     12
    .vgpr_spill_count: 0
    .wavefront_size: 32
    .workgroup_processor_mode: 1
  - .args:
      - .address_space:  global
        .offset:         0
        .size:           8
        .value_kind:     global_buffer
      - .address_space:  global
        .offset:         8
        .size:           8
        .value_kind:     global_buffer
      - .address_space:  global
        .offset:         16
        .size:           8
        .value_kind:     global_buffer
      - .offset:         24
        .size:           32
        .value_kind:     by_value
      - .address_space:  global
        .offset:         56
        .size:           8
        .value_kind:     global_buffer
      - .offset:         64
        .size:           4
        .value_kind:     by_value
      - .offset:         68
        .size:           12
        .value_kind:     by_value
      - .offset:         80
        .size:           4
        .value_kind:     by_value
      - .offset:         84
        .size:           4
        .value_kind:     by_value
      - .offset:         88
        .size:           4
        .value_kind:     by_value
      - .offset:         92
        .size:           12
        .value_kind:     by_value
      - .offset:         104
        .size:           4
        .value_kind:     by_value
      - .offset:         108
        .size:           4
        .value_kind:     by_value
      - .offset:         112
        .size:           4
        .value_kind:     by_value
      - .offset:         116
        .size:           12
        .value_kind:     by_value
      - .offset:         128
        .size:           4
        .value_kind:     by_value
      - .offset:         132
        .size:           4
        .value_kind:     by_value
      - .offset:         136
        .size:           4
        .value_kind:     by_value
      - .offset:         140
        .size:           4
        .value_kind:     by_value
    .group_segment_fixed_size: 0
    .kernarg_segment_align: 8
    .kernarg_segment_size: 144
    .language:       OpenCL C
    .language_version:
      - 2
      - 0
    .max_flat_workgroup_size: 1024
    .name:           _ZL13mul_mat_vec_fI14__hip_bfloat16fLi1ELi192ELb1ELb0EEvPKT_PKfPKi31ggml_cuda_mm_fusion_args_devicePfi15HIP_vector_typeIjLj3EEiiiSB_iiiSB_iiii
    .private_segment_fixed_size: 0
    .sgpr_count:     42
    .sgpr_spill_count: 0
    .symbol:         _ZL13mul_mat_vec_fI14__hip_bfloat16fLi1ELi192ELb1ELb0EEvPKT_PKfPKi31ggml_cuda_mm_fusion_args_devicePfi15HIP_vector_typeIjLj3EEiiiSB_iiiSB_iiii.kd
    .uniform_work_group_size: 1
    .uses_dynamic_stack: false
    .vgpr_count:     17
    .vgpr_spill_count: 0
    .wavefront_size: 32
    .workgroup_processor_mode: 1
  - .args:
      - .address_space:  global
        .offset:         0
        .size:           8
        .value_kind:     global_buffer
      - .address_space:  global
        .offset:         8
        .size:           8
        .value_kind:     global_buffer
      - .address_space:  global
        .offset:         16
        .size:           8
        .value_kind:     global_buffer
      - .offset:         24
        .size:           32
        .value_kind:     by_value
      - .address_space:  global
        .offset:         56
        .size:           8
        .value_kind:     global_buffer
      - .offset:         64
        .size:           4
        .value_kind:     by_value
      - .offset:         68
        .size:           12
        .value_kind:     by_value
      - .offset:         80
        .size:           4
        .value_kind:     by_value
      - .offset:         84
        .size:           4
        .value_kind:     by_value
      - .offset:         88
        .size:           4
        .value_kind:     by_value
      - .offset:         92
        .size:           12
        .value_kind:     by_value
      - .offset:         104
        .size:           4
        .value_kind:     by_value
      - .offset:         108
        .size:           4
        .value_kind:     by_value
      - .offset:         112
        .size:           4
        .value_kind:     by_value
      - .offset:         116
        .size:           12
        .value_kind:     by_value
      - .offset:         128
        .size:           4
        .value_kind:     by_value
      - .offset:         132
        .size:           4
        .value_kind:     by_value
      - .offset:         136
        .size:           4
        .value_kind:     by_value
      - .offset:         140
        .size:           4
        .value_kind:     by_value
    .group_segment_fixed_size: 0
    .kernarg_segment_align: 8
    .kernarg_segment_size: 144
    .language:       OpenCL C
    .language_version:
      - 2
      - 0
    .max_flat_workgroup_size: 1024
    .name:           _ZL13mul_mat_vec_fI14__hip_bfloat16fLi1ELi192ELb0ELb0EEvPKT_PKfPKi31ggml_cuda_mm_fusion_args_devicePfi15HIP_vector_typeIjLj3EEiiiSB_iiiSB_iiii
    .private_segment_fixed_size: 0
    .sgpr_count:     30
    .sgpr_spill_count: 0
    .symbol:         _ZL13mul_mat_vec_fI14__hip_bfloat16fLi1ELi192ELb0ELb0EEvPKT_PKfPKi31ggml_cuda_mm_fusion_args_devicePfi15HIP_vector_typeIjLj3EEiiiSB_iiiSB_iiii.kd
    .uniform_work_group_size: 1
    .uses_dynamic_stack: false
    .vgpr_count:     12
    .vgpr_spill_count: 0
    .wavefront_size: 32
    .workgroup_processor_mode: 1
  - .args:
      - .address_space:  global
        .offset:         0
        .size:           8
        .value_kind:     global_buffer
      - .address_space:  global
        .offset:         8
        .size:           8
        .value_kind:     global_buffer
      - .address_space:  global
        .offset:         16
        .size:           8
        .value_kind:     global_buffer
      - .offset:         24
        .size:           32
        .value_kind:     by_value
      - .address_space:  global
        .offset:         56
        .size:           8
        .value_kind:     global_buffer
      - .offset:         64
        .size:           4
        .value_kind:     by_value
      - .offset:         68
        .size:           12
        .value_kind:     by_value
      - .offset:         80
        .size:           4
        .value_kind:     by_value
      - .offset:         84
        .size:           4
        .value_kind:     by_value
      - .offset:         88
        .size:           4
        .value_kind:     by_value
      - .offset:         92
        .size:           12
        .value_kind:     by_value
      - .offset:         104
        .size:           4
        .value_kind:     by_value
      - .offset:         108
        .size:           4
        .value_kind:     by_value
      - .offset:         112
        .size:           4
        .value_kind:     by_value
      - .offset:         116
        .size:           12
        .value_kind:     by_value
      - .offset:         128
        .size:           4
        .value_kind:     by_value
      - .offset:         132
        .size:           4
        .value_kind:     by_value
      - .offset:         136
        .size:           4
        .value_kind:     by_value
      - .offset:         140
        .size:           4
        .value_kind:     by_value
    .group_segment_fixed_size: 0
    .kernarg_segment_align: 8
    .kernarg_segment_size: 144
    .language:       OpenCL C
    .language_version:
      - 2
      - 0
    .max_flat_workgroup_size: 1024
    .name:           _ZL13mul_mat_vec_fI14__hip_bfloat16fLi1ELi224ELb1ELb0EEvPKT_PKfPKi31ggml_cuda_mm_fusion_args_devicePfi15HIP_vector_typeIjLj3EEiiiSB_iiiSB_iiii
    .private_segment_fixed_size: 0
    .sgpr_count:     42
    .sgpr_spill_count: 0
    .symbol:         _ZL13mul_mat_vec_fI14__hip_bfloat16fLi1ELi224ELb1ELb0EEvPKT_PKfPKi31ggml_cuda_mm_fusion_args_devicePfi15HIP_vector_typeIjLj3EEiiiSB_iiiSB_iiii.kd
    .uniform_work_group_size: 1
    .uses_dynamic_stack: false
    .vgpr_count:     17
    .vgpr_spill_count: 0
    .wavefront_size: 32
    .workgroup_processor_mode: 1
  - .args:
      - .address_space:  global
        .offset:         0
        .size:           8
        .value_kind:     global_buffer
      - .address_space:  global
        .offset:         8
        .size:           8
        .value_kind:     global_buffer
      - .address_space:  global
        .offset:         16
        .size:           8
        .value_kind:     global_buffer
      - .offset:         24
        .size:           32
        .value_kind:     by_value
      - .address_space:  global
        .offset:         56
        .size:           8
        .value_kind:     global_buffer
      - .offset:         64
        .size:           4
        .value_kind:     by_value
      - .offset:         68
        .size:           12
        .value_kind:     by_value
      - .offset:         80
        .size:           4
        .value_kind:     by_value
      - .offset:         84
        .size:           4
        .value_kind:     by_value
      - .offset:         88
        .size:           4
        .value_kind:     by_value
      - .offset:         92
        .size:           12
        .value_kind:     by_value
      - .offset:         104
        .size:           4
        .value_kind:     by_value
      - .offset:         108
        .size:           4
        .value_kind:     by_value
      - .offset:         112
        .size:           4
        .value_kind:     by_value
      - .offset:         116
        .size:           12
        .value_kind:     by_value
      - .offset:         128
        .size:           4
        .value_kind:     by_value
      - .offset:         132
        .size:           4
        .value_kind:     by_value
      - .offset:         136
        .size:           4
        .value_kind:     by_value
      - .offset:         140
        .size:           4
        .value_kind:     by_value
    .group_segment_fixed_size: 0
    .kernarg_segment_align: 8
    .kernarg_segment_size: 144
    .language:       OpenCL C
    .language_version:
      - 2
      - 0
    .max_flat_workgroup_size: 1024
    .name:           _ZL13mul_mat_vec_fI14__hip_bfloat16fLi1ELi224ELb0ELb0EEvPKT_PKfPKi31ggml_cuda_mm_fusion_args_devicePfi15HIP_vector_typeIjLj3EEiiiSB_iiiSB_iiii
    .private_segment_fixed_size: 0
    .sgpr_count:     30
    .sgpr_spill_count: 0
    .symbol:         _ZL13mul_mat_vec_fI14__hip_bfloat16fLi1ELi224ELb0ELb0EEvPKT_PKfPKi31ggml_cuda_mm_fusion_args_devicePfi15HIP_vector_typeIjLj3EEiiiSB_iiiSB_iiii.kd
    .uniform_work_group_size: 1
    .uses_dynamic_stack: false
    .vgpr_count:     12
    .vgpr_spill_count: 0
    .wavefront_size: 32
    .workgroup_processor_mode: 1
  - .args:
      - .address_space:  global
        .offset:         0
        .size:           8
        .value_kind:     global_buffer
      - .address_space:  global
        .offset:         8
        .size:           8
        .value_kind:     global_buffer
      - .address_space:  global
        .offset:         16
        .size:           8
        .value_kind:     global_buffer
      - .offset:         24
        .size:           32
        .value_kind:     by_value
      - .address_space:  global
        .offset:         56
        .size:           8
        .value_kind:     global_buffer
      - .offset:         64
        .size:           4
        .value_kind:     by_value
      - .offset:         68
        .size:           12
        .value_kind:     by_value
      - .offset:         80
        .size:           4
        .value_kind:     by_value
      - .offset:         84
        .size:           4
        .value_kind:     by_value
      - .offset:         88
        .size:           4
        .value_kind:     by_value
      - .offset:         92
        .size:           12
        .value_kind:     by_value
      - .offset:         104
        .size:           4
        .value_kind:     by_value
      - .offset:         108
        .size:           4
        .value_kind:     by_value
      - .offset:         112
        .size:           4
        .value_kind:     by_value
      - .offset:         116
        .size:           12
        .value_kind:     by_value
      - .offset:         128
        .size:           4
        .value_kind:     by_value
      - .offset:         132
        .size:           4
        .value_kind:     by_value
      - .offset:         136
        .size:           4
        .value_kind:     by_value
      - .offset:         140
        .size:           4
        .value_kind:     by_value
    .group_segment_fixed_size: 0
    .kernarg_segment_align: 8
    .kernarg_segment_size: 144
    .language:       OpenCL C
    .language_version:
      - 2
      - 0
    .max_flat_workgroup_size: 1024
    .name:           _ZL13mul_mat_vec_fI14__hip_bfloat16fLi1ELi256ELb1ELb0EEvPKT_PKfPKi31ggml_cuda_mm_fusion_args_devicePfi15HIP_vector_typeIjLj3EEiiiSB_iiiSB_iiii
    .private_segment_fixed_size: 0
    .sgpr_count:     42
    .sgpr_spill_count: 0
    .symbol:         _ZL13mul_mat_vec_fI14__hip_bfloat16fLi1ELi256ELb1ELb0EEvPKT_PKfPKi31ggml_cuda_mm_fusion_args_devicePfi15HIP_vector_typeIjLj3EEiiiSB_iiiSB_iiii.kd
    .uniform_work_group_size: 1
    .uses_dynamic_stack: false
    .vgpr_count:     17
    .vgpr_spill_count: 0
    .wavefront_size: 32
    .workgroup_processor_mode: 1
  - .args:
      - .address_space:  global
        .offset:         0
        .size:           8
        .value_kind:     global_buffer
      - .address_space:  global
        .offset:         8
        .size:           8
        .value_kind:     global_buffer
      - .address_space:  global
        .offset:         16
        .size:           8
        .value_kind:     global_buffer
      - .offset:         24
        .size:           32
        .value_kind:     by_value
      - .address_space:  global
        .offset:         56
        .size:           8
        .value_kind:     global_buffer
      - .offset:         64
        .size:           4
        .value_kind:     by_value
      - .offset:         68
        .size:           12
        .value_kind:     by_value
      - .offset:         80
        .size:           4
        .value_kind:     by_value
      - .offset:         84
        .size:           4
        .value_kind:     by_value
      - .offset:         88
        .size:           4
        .value_kind:     by_value
      - .offset:         92
        .size:           12
        .value_kind:     by_value
      - .offset:         104
        .size:           4
        .value_kind:     by_value
      - .offset:         108
        .size:           4
        .value_kind:     by_value
      - .offset:         112
        .size:           4
        .value_kind:     by_value
      - .offset:         116
        .size:           12
        .value_kind:     by_value
      - .offset:         128
        .size:           4
        .value_kind:     by_value
      - .offset:         132
        .size:           4
        .value_kind:     by_value
      - .offset:         136
        .size:           4
        .value_kind:     by_value
      - .offset:         140
        .size:           4
        .value_kind:     by_value
    .group_segment_fixed_size: 0
    .kernarg_segment_align: 8
    .kernarg_segment_size: 144
    .language:       OpenCL C
    .language_version:
      - 2
      - 0
    .max_flat_workgroup_size: 1024
    .name:           _ZL13mul_mat_vec_fI14__hip_bfloat16fLi1ELi256ELb0ELb0EEvPKT_PKfPKi31ggml_cuda_mm_fusion_args_devicePfi15HIP_vector_typeIjLj3EEiiiSB_iiiSB_iiii
    .private_segment_fixed_size: 0
    .sgpr_count:     30
    .sgpr_spill_count: 0
    .symbol:         _ZL13mul_mat_vec_fI14__hip_bfloat16fLi1ELi256ELb0ELb0EEvPKT_PKfPKi31ggml_cuda_mm_fusion_args_devicePfi15HIP_vector_typeIjLj3EEiiiSB_iiiSB_iiii.kd
    .uniform_work_group_size: 1
    .uses_dynamic_stack: false
    .vgpr_count:     12
    .vgpr_spill_count: 0
    .wavefront_size: 32
    .workgroup_processor_mode: 1
  - .args:
      - .address_space:  global
        .offset:         0
        .size:           8
        .value_kind:     global_buffer
      - .address_space:  global
        .offset:         8
        .size:           8
        .value_kind:     global_buffer
      - .address_space:  global
        .offset:         16
        .size:           8
        .value_kind:     global_buffer
      - .offset:         24
        .size:           32
        .value_kind:     by_value
      - .address_space:  global
        .offset:         56
        .size:           8
        .value_kind:     global_buffer
      - .offset:         64
        .size:           4
        .value_kind:     by_value
      - .offset:         68
        .size:           12
        .value_kind:     by_value
      - .offset:         80
        .size:           4
        .value_kind:     by_value
      - .offset:         84
        .size:           4
        .value_kind:     by_value
      - .offset:         88
        .size:           4
        .value_kind:     by_value
      - .offset:         92
        .size:           12
        .value_kind:     by_value
      - .offset:         104
        .size:           4
        .value_kind:     by_value
      - .offset:         108
        .size:           4
        .value_kind:     by_value
      - .offset:         112
        .size:           4
        .value_kind:     by_value
      - .offset:         116
        .size:           12
        .value_kind:     by_value
      - .offset:         128
        .size:           4
        .value_kind:     by_value
      - .offset:         132
        .size:           4
        .value_kind:     by_value
      - .offset:         136
        .size:           4
        .value_kind:     by_value
      - .offset:         140
        .size:           4
        .value_kind:     by_value
    .group_segment_fixed_size: 0
    .kernarg_segment_align: 8
    .kernarg_segment_size: 144
    .language:       OpenCL C
    .language_version:
      - 2
      - 0
    .max_flat_workgroup_size: 1024
    .name:           _ZL13mul_mat_vec_fI14__hip_bfloat16fLi2ELi32ELb0ELb0EEvPKT_PKfPKi31ggml_cuda_mm_fusion_args_devicePfi15HIP_vector_typeIjLj3EEiiiSB_iiiSB_iiii
    .private_segment_fixed_size: 0
    .sgpr_count:     34
    .sgpr_spill_count: 0
    .symbol:         _ZL13mul_mat_vec_fI14__hip_bfloat16fLi2ELi32ELb0ELb0EEvPKT_PKfPKi31ggml_cuda_mm_fusion_args_devicePfi15HIP_vector_typeIjLj3EEiiiSB_iiiSB_iiii.kd
    .uniform_work_group_size: 1
    .uses_dynamic_stack: false
    .vgpr_count:     14
    .vgpr_spill_count: 0
    .wavefront_size: 32
    .workgroup_processor_mode: 1
  - .args:
      - .address_space:  global
        .offset:         0
        .size:           8
        .value_kind:     global_buffer
      - .address_space:  global
        .offset:         8
        .size:           8
        .value_kind:     global_buffer
      - .address_space:  global
        .offset:         16
        .size:           8
        .value_kind:     global_buffer
      - .offset:         24
        .size:           32
        .value_kind:     by_value
      - .address_space:  global
        .offset:         56
        .size:           8
        .value_kind:     global_buffer
      - .offset:         64
        .size:           4
        .value_kind:     by_value
      - .offset:         68
        .size:           12
        .value_kind:     by_value
      - .offset:         80
        .size:           4
        .value_kind:     by_value
      - .offset:         84
        .size:           4
        .value_kind:     by_value
      - .offset:         88
        .size:           4
        .value_kind:     by_value
      - .offset:         92
        .size:           12
        .value_kind:     by_value
      - .offset:         104
        .size:           4
        .value_kind:     by_value
      - .offset:         108
        .size:           4
        .value_kind:     by_value
      - .offset:         112
        .size:           4
        .value_kind:     by_value
      - .offset:         116
        .size:           12
        .value_kind:     by_value
      - .offset:         128
        .size:           4
        .value_kind:     by_value
      - .offset:         132
        .size:           4
        .value_kind:     by_value
      - .offset:         136
        .size:           4
        .value_kind:     by_value
      - .offset:         140
        .size:           4
        .value_kind:     by_value
    .group_segment_fixed_size: 0
    .kernarg_segment_align: 8
    .kernarg_segment_size: 144
    .language:       OpenCL C
    .language_version:
      - 2
      - 0
    .max_flat_workgroup_size: 1024
    .name:           _ZL13mul_mat_vec_fI14__hip_bfloat16fLi2ELi64ELb0ELb0EEvPKT_PKfPKi31ggml_cuda_mm_fusion_args_devicePfi15HIP_vector_typeIjLj3EEiiiSB_iiiSB_iiii
    .private_segment_fixed_size: 0
    .sgpr_count:     34
    .sgpr_spill_count: 0
    .symbol:         _ZL13mul_mat_vec_fI14__hip_bfloat16fLi2ELi64ELb0ELb0EEvPKT_PKfPKi31ggml_cuda_mm_fusion_args_devicePfi15HIP_vector_typeIjLj3EEiiiSB_iiiSB_iiii.kd
    .uniform_work_group_size: 1
    .uses_dynamic_stack: false
    .vgpr_count:     15
    .vgpr_spill_count: 0
    .wavefront_size: 32
    .workgroup_processor_mode: 1
  - .args:
      - .address_space:  global
        .offset:         0
        .size:           8
        .value_kind:     global_buffer
      - .address_space:  global
        .offset:         8
        .size:           8
        .value_kind:     global_buffer
      - .address_space:  global
        .offset:         16
        .size:           8
        .value_kind:     global_buffer
      - .offset:         24
        .size:           32
        .value_kind:     by_value
      - .address_space:  global
        .offset:         56
        .size:           8
        .value_kind:     global_buffer
      - .offset:         64
        .size:           4
        .value_kind:     by_value
      - .offset:         68
        .size:           12
        .value_kind:     by_value
      - .offset:         80
        .size:           4
        .value_kind:     by_value
      - .offset:         84
        .size:           4
        .value_kind:     by_value
      - .offset:         88
        .size:           4
        .value_kind:     by_value
      - .offset:         92
        .size:           12
        .value_kind:     by_value
      - .offset:         104
        .size:           4
        .value_kind:     by_value
      - .offset:         108
        .size:           4
        .value_kind:     by_value
      - .offset:         112
        .size:           4
        .value_kind:     by_value
      - .offset:         116
        .size:           12
        .value_kind:     by_value
      - .offset:         128
        .size:           4
        .value_kind:     by_value
      - .offset:         132
        .size:           4
        .value_kind:     by_value
      - .offset:         136
        .size:           4
        .value_kind:     by_value
      - .offset:         140
        .size:           4
        .value_kind:     by_value
    .group_segment_fixed_size: 0
    .kernarg_segment_align: 8
    .kernarg_segment_size: 144
    .language:       OpenCL C
    .language_version:
      - 2
      - 0
    .max_flat_workgroup_size: 1024
    .name:           _ZL13mul_mat_vec_fI14__hip_bfloat16fLi2ELi96ELb0ELb0EEvPKT_PKfPKi31ggml_cuda_mm_fusion_args_devicePfi15HIP_vector_typeIjLj3EEiiiSB_iiiSB_iiii
    .private_segment_fixed_size: 0
    .sgpr_count:     34
    .sgpr_spill_count: 0
    .symbol:         _ZL13mul_mat_vec_fI14__hip_bfloat16fLi2ELi96ELb0ELb0EEvPKT_PKfPKi31ggml_cuda_mm_fusion_args_devicePfi15HIP_vector_typeIjLj3EEiiiSB_iiiSB_iiii.kd
    .uniform_work_group_size: 1
    .uses_dynamic_stack: false
    .vgpr_count:     15
    .vgpr_spill_count: 0
    .wavefront_size: 32
    .workgroup_processor_mode: 1
  - .args:
      - .address_space:  global
        .offset:         0
        .size:           8
        .value_kind:     global_buffer
      - .address_space:  global
        .offset:         8
        .size:           8
        .value_kind:     global_buffer
      - .address_space:  global
        .offset:         16
        .size:           8
        .value_kind:     global_buffer
      - .offset:         24
        .size:           32
        .value_kind:     by_value
      - .address_space:  global
        .offset:         56
        .size:           8
        .value_kind:     global_buffer
      - .offset:         64
        .size:           4
        .value_kind:     by_value
      - .offset:         68
        .size:           12
        .value_kind:     by_value
      - .offset:         80
        .size:           4
        .value_kind:     by_value
      - .offset:         84
        .size:           4
        .value_kind:     by_value
      - .offset:         88
        .size:           4
        .value_kind:     by_value
      - .offset:         92
        .size:           12
        .value_kind:     by_value
      - .offset:         104
        .size:           4
        .value_kind:     by_value
      - .offset:         108
        .size:           4
        .value_kind:     by_value
      - .offset:         112
        .size:           4
        .value_kind:     by_value
      - .offset:         116
        .size:           12
        .value_kind:     by_value
      - .offset:         128
        .size:           4
        .value_kind:     by_value
      - .offset:         132
        .size:           4
        .value_kind:     by_value
      - .offset:         136
        .size:           4
        .value_kind:     by_value
      - .offset:         140
        .size:           4
        .value_kind:     by_value
    .group_segment_fixed_size: 0
    .kernarg_segment_align: 8
    .kernarg_segment_size: 144
    .language:       OpenCL C
    .language_version:
      - 2
      - 0
    .max_flat_workgroup_size: 1024
    .name:           _ZL13mul_mat_vec_fI14__hip_bfloat16fLi2ELi128ELb0ELb0EEvPKT_PKfPKi31ggml_cuda_mm_fusion_args_devicePfi15HIP_vector_typeIjLj3EEiiiSB_iiiSB_iiii
    .private_segment_fixed_size: 0
    .sgpr_count:     34
    .sgpr_spill_count: 0
    .symbol:         _ZL13mul_mat_vec_fI14__hip_bfloat16fLi2ELi128ELb0ELb0EEvPKT_PKfPKi31ggml_cuda_mm_fusion_args_devicePfi15HIP_vector_typeIjLj3EEiiiSB_iiiSB_iiii.kd
    .uniform_work_group_size: 1
    .uses_dynamic_stack: false
    .vgpr_count:     15
    .vgpr_spill_count: 0
    .wavefront_size: 32
    .workgroup_processor_mode: 1
  - .args:
      - .address_space:  global
        .offset:         0
        .size:           8
        .value_kind:     global_buffer
      - .address_space:  global
        .offset:         8
        .size:           8
        .value_kind:     global_buffer
      - .address_space:  global
        .offset:         16
        .size:           8
        .value_kind:     global_buffer
      - .offset:         24
        .size:           32
        .value_kind:     by_value
      - .address_space:  global
        .offset:         56
        .size:           8
        .value_kind:     global_buffer
      - .offset:         64
        .size:           4
        .value_kind:     by_value
      - .offset:         68
        .size:           12
        .value_kind:     by_value
      - .offset:         80
        .size:           4
        .value_kind:     by_value
      - .offset:         84
        .size:           4
        .value_kind:     by_value
      - .offset:         88
        .size:           4
        .value_kind:     by_value
      - .offset:         92
        .size:           12
        .value_kind:     by_value
      - .offset:         104
        .size:           4
        .value_kind:     by_value
      - .offset:         108
        .size:           4
        .value_kind:     by_value
      - .offset:         112
        .size:           4
        .value_kind:     by_value
      - .offset:         116
        .size:           12
        .value_kind:     by_value
      - .offset:         128
        .size:           4
        .value_kind:     by_value
      - .offset:         132
        .size:           4
        .value_kind:     by_value
      - .offset:         136
        .size:           4
        .value_kind:     by_value
      - .offset:         140
        .size:           4
        .value_kind:     by_value
    .group_segment_fixed_size: 0
    .kernarg_segment_align: 8
    .kernarg_segment_size: 144
    .language:       OpenCL C
    .language_version:
      - 2
      - 0
    .max_flat_workgroup_size: 1024
    .name:           _ZL13mul_mat_vec_fI14__hip_bfloat16fLi2ELi160ELb0ELb0EEvPKT_PKfPKi31ggml_cuda_mm_fusion_args_devicePfi15HIP_vector_typeIjLj3EEiiiSB_iiiSB_iiii
    .private_segment_fixed_size: 0
    .sgpr_count:     34
    .sgpr_spill_count: 0
    .symbol:         _ZL13mul_mat_vec_fI14__hip_bfloat16fLi2ELi160ELb0ELb0EEvPKT_PKfPKi31ggml_cuda_mm_fusion_args_devicePfi15HIP_vector_typeIjLj3EEiiiSB_iiiSB_iiii.kd
    .uniform_work_group_size: 1
    .uses_dynamic_stack: false
    .vgpr_count:     15
    .vgpr_spill_count: 0
    .wavefront_size: 32
    .workgroup_processor_mode: 1
  - .args:
      - .address_space:  global
        .offset:         0
        .size:           8
        .value_kind:     global_buffer
      - .address_space:  global
        .offset:         8
        .size:           8
        .value_kind:     global_buffer
      - .address_space:  global
        .offset:         16
        .size:           8
        .value_kind:     global_buffer
      - .offset:         24
        .size:           32
        .value_kind:     by_value
      - .address_space:  global
        .offset:         56
        .size:           8
        .value_kind:     global_buffer
      - .offset:         64
        .size:           4
        .value_kind:     by_value
      - .offset:         68
        .size:           12
        .value_kind:     by_value
      - .offset:         80
        .size:           4
        .value_kind:     by_value
      - .offset:         84
        .size:           4
        .value_kind:     by_value
      - .offset:         88
        .size:           4
        .value_kind:     by_value
      - .offset:         92
        .size:           12
        .value_kind:     by_value
      - .offset:         104
        .size:           4
        .value_kind:     by_value
      - .offset:         108
        .size:           4
        .value_kind:     by_value
      - .offset:         112
        .size:           4
        .value_kind:     by_value
      - .offset:         116
        .size:           12
        .value_kind:     by_value
      - .offset:         128
        .size:           4
        .value_kind:     by_value
      - .offset:         132
        .size:           4
        .value_kind:     by_value
      - .offset:         136
        .size:           4
        .value_kind:     by_value
      - .offset:         140
        .size:           4
        .value_kind:     by_value
    .group_segment_fixed_size: 0
    .kernarg_segment_align: 8
    .kernarg_segment_size: 144
    .language:       OpenCL C
    .language_version:
      - 2
      - 0
    .max_flat_workgroup_size: 1024
    .name:           _ZL13mul_mat_vec_fI14__hip_bfloat16fLi2ELi192ELb0ELb0EEvPKT_PKfPKi31ggml_cuda_mm_fusion_args_devicePfi15HIP_vector_typeIjLj3EEiiiSB_iiiSB_iiii
    .private_segment_fixed_size: 0
    .sgpr_count:     34
    .sgpr_spill_count: 0
    .symbol:         _ZL13mul_mat_vec_fI14__hip_bfloat16fLi2ELi192ELb0ELb0EEvPKT_PKfPKi31ggml_cuda_mm_fusion_args_devicePfi15HIP_vector_typeIjLj3EEiiiSB_iiiSB_iiii.kd
    .uniform_work_group_size: 1
    .uses_dynamic_stack: false
    .vgpr_count:     15
    .vgpr_spill_count: 0
    .wavefront_size: 32
    .workgroup_processor_mode: 1
  - .args:
      - .address_space:  global
        .offset:         0
        .size:           8
        .value_kind:     global_buffer
      - .address_space:  global
        .offset:         8
        .size:           8
        .value_kind:     global_buffer
      - .address_space:  global
        .offset:         16
        .size:           8
        .value_kind:     global_buffer
      - .offset:         24
        .size:           32
        .value_kind:     by_value
      - .address_space:  global
        .offset:         56
        .size:           8
        .value_kind:     global_buffer
      - .offset:         64
        .size:           4
        .value_kind:     by_value
      - .offset:         68
        .size:           12
        .value_kind:     by_value
      - .offset:         80
        .size:           4
        .value_kind:     by_value
      - .offset:         84
        .size:           4
        .value_kind:     by_value
      - .offset:         88
        .size:           4
        .value_kind:     by_value
      - .offset:         92
        .size:           12
        .value_kind:     by_value
      - .offset:         104
        .size:           4
        .value_kind:     by_value
      - .offset:         108
        .size:           4
        .value_kind:     by_value
      - .offset:         112
        .size:           4
        .value_kind:     by_value
      - .offset:         116
        .size:           12
        .value_kind:     by_value
      - .offset:         128
        .size:           4
        .value_kind:     by_value
      - .offset:         132
        .size:           4
        .value_kind:     by_value
      - .offset:         136
        .size:           4
        .value_kind:     by_value
      - .offset:         140
        .size:           4
        .value_kind:     by_value
    .group_segment_fixed_size: 0
    .kernarg_segment_align: 8
    .kernarg_segment_size: 144
    .language:       OpenCL C
    .language_version:
      - 2
      - 0
    .max_flat_workgroup_size: 1024
    .name:           _ZL13mul_mat_vec_fI14__hip_bfloat16fLi2ELi224ELb0ELb0EEvPKT_PKfPKi31ggml_cuda_mm_fusion_args_devicePfi15HIP_vector_typeIjLj3EEiiiSB_iiiSB_iiii
    .private_segment_fixed_size: 0
    .sgpr_count:     34
    .sgpr_spill_count: 0
    .symbol:         _ZL13mul_mat_vec_fI14__hip_bfloat16fLi2ELi224ELb0ELb0EEvPKT_PKfPKi31ggml_cuda_mm_fusion_args_devicePfi15HIP_vector_typeIjLj3EEiiiSB_iiiSB_iiii.kd
    .uniform_work_group_size: 1
    .uses_dynamic_stack: false
    .vgpr_count:     15
    .vgpr_spill_count: 0
    .wavefront_size: 32
    .workgroup_processor_mode: 1
  - .args:
      - .address_space:  global
        .offset:         0
        .size:           8
        .value_kind:     global_buffer
      - .address_space:  global
        .offset:         8
        .size:           8
        .value_kind:     global_buffer
      - .address_space:  global
        .offset:         16
        .size:           8
        .value_kind:     global_buffer
      - .offset:         24
        .size:           32
        .value_kind:     by_value
      - .address_space:  global
        .offset:         56
        .size:           8
        .value_kind:     global_buffer
      - .offset:         64
        .size:           4
        .value_kind:     by_value
      - .offset:         68
        .size:           12
        .value_kind:     by_value
      - .offset:         80
        .size:           4
        .value_kind:     by_value
      - .offset:         84
        .size:           4
        .value_kind:     by_value
      - .offset:         88
        .size:           4
        .value_kind:     by_value
      - .offset:         92
        .size:           12
        .value_kind:     by_value
      - .offset:         104
        .size:           4
        .value_kind:     by_value
      - .offset:         108
        .size:           4
        .value_kind:     by_value
      - .offset:         112
        .size:           4
        .value_kind:     by_value
      - .offset:         116
        .size:           12
        .value_kind:     by_value
      - .offset:         128
        .size:           4
        .value_kind:     by_value
      - .offset:         132
        .size:           4
        .value_kind:     by_value
      - .offset:         136
        .size:           4
        .value_kind:     by_value
      - .offset:         140
        .size:           4
        .value_kind:     by_value
    .group_segment_fixed_size: 0
    .kernarg_segment_align: 8
    .kernarg_segment_size: 144
    .language:       OpenCL C
    .language_version:
      - 2
      - 0
    .max_flat_workgroup_size: 1024
    .name:           _ZL13mul_mat_vec_fI14__hip_bfloat16fLi2ELi256ELb0ELb0EEvPKT_PKfPKi31ggml_cuda_mm_fusion_args_devicePfi15HIP_vector_typeIjLj3EEiiiSB_iiiSB_iiii
    .private_segment_fixed_size: 0
    .sgpr_count:     34
    .sgpr_spill_count: 0
    .symbol:         _ZL13mul_mat_vec_fI14__hip_bfloat16fLi2ELi256ELb0ELb0EEvPKT_PKfPKi31ggml_cuda_mm_fusion_args_devicePfi15HIP_vector_typeIjLj3EEiiiSB_iiiSB_iiii.kd
    .uniform_work_group_size: 1
    .uses_dynamic_stack: false
    .vgpr_count:     15
    .vgpr_spill_count: 0
    .wavefront_size: 32
    .workgroup_processor_mode: 1
  - .args:
      - .address_space:  global
        .offset:         0
        .size:           8
        .value_kind:     global_buffer
      - .address_space:  global
        .offset:         8
        .size:           8
        .value_kind:     global_buffer
      - .address_space:  global
        .offset:         16
        .size:           8
        .value_kind:     global_buffer
      - .offset:         24
        .size:           32
        .value_kind:     by_value
      - .address_space:  global
        .offset:         56
        .size:           8
        .value_kind:     global_buffer
      - .offset:         64
        .size:           4
        .value_kind:     by_value
      - .offset:         68
        .size:           12
        .value_kind:     by_value
      - .offset:         80
        .size:           4
        .value_kind:     by_value
      - .offset:         84
        .size:           4
        .value_kind:     by_value
      - .offset:         88
        .size:           4
        .value_kind:     by_value
      - .offset:         92
        .size:           12
        .value_kind:     by_value
      - .offset:         104
        .size:           4
        .value_kind:     by_value
      - .offset:         108
        .size:           4
        .value_kind:     by_value
      - .offset:         112
        .size:           4
        .value_kind:     by_value
      - .offset:         116
        .size:           12
        .value_kind:     by_value
      - .offset:         128
        .size:           4
        .value_kind:     by_value
      - .offset:         132
        .size:           4
        .value_kind:     by_value
      - .offset:         136
        .size:           4
        .value_kind:     by_value
      - .offset:         140
        .size:           4
        .value_kind:     by_value
    .group_segment_fixed_size: 0
    .kernarg_segment_align: 8
    .kernarg_segment_size: 144
    .language:       OpenCL C
    .language_version:
      - 2
      - 0
    .max_flat_workgroup_size: 1024
    .name:           _ZL13mul_mat_vec_fI14__hip_bfloat16fLi3ELi32ELb0ELb0EEvPKT_PKfPKi31ggml_cuda_mm_fusion_args_devicePfi15HIP_vector_typeIjLj3EEiiiSB_iiiSB_iiii
    .private_segment_fixed_size: 0
    .sgpr_count:     34
    .sgpr_spill_count: 0
    .symbol:         _ZL13mul_mat_vec_fI14__hip_bfloat16fLi3ELi32ELb0ELb0EEvPKT_PKfPKi31ggml_cuda_mm_fusion_args_devicePfi15HIP_vector_typeIjLj3EEiiiSB_iiiSB_iiii.kd
    .uniform_work_group_size: 1
    .uses_dynamic_stack: false
    .vgpr_count:     17
    .vgpr_spill_count: 0
    .wavefront_size: 32
    .workgroup_processor_mode: 1
  - .args:
      - .address_space:  global
        .offset:         0
        .size:           8
        .value_kind:     global_buffer
      - .address_space:  global
        .offset:         8
        .size:           8
        .value_kind:     global_buffer
      - .address_space:  global
        .offset:         16
        .size:           8
        .value_kind:     global_buffer
      - .offset:         24
        .size:           32
        .value_kind:     by_value
      - .address_space:  global
        .offset:         56
        .size:           8
        .value_kind:     global_buffer
      - .offset:         64
        .size:           4
        .value_kind:     by_value
      - .offset:         68
        .size:           12
        .value_kind:     by_value
      - .offset:         80
        .size:           4
        .value_kind:     by_value
      - .offset:         84
        .size:           4
        .value_kind:     by_value
      - .offset:         88
        .size:           4
        .value_kind:     by_value
      - .offset:         92
        .size:           12
        .value_kind:     by_value
      - .offset:         104
        .size:           4
        .value_kind:     by_value
      - .offset:         108
        .size:           4
        .value_kind:     by_value
      - .offset:         112
        .size:           4
        .value_kind:     by_value
      - .offset:         116
        .size:           12
        .value_kind:     by_value
      - .offset:         128
        .size:           4
        .value_kind:     by_value
      - .offset:         132
        .size:           4
        .value_kind:     by_value
      - .offset:         136
        .size:           4
        .value_kind:     by_value
      - .offset:         140
        .size:           4
        .value_kind:     by_value
    .group_segment_fixed_size: 0
    .kernarg_segment_align: 8
    .kernarg_segment_size: 144
    .language:       OpenCL C
    .language_version:
      - 2
      - 0
    .max_flat_workgroup_size: 1024
    .name:           _ZL13mul_mat_vec_fI14__hip_bfloat16fLi3ELi64ELb0ELb0EEvPKT_PKfPKi31ggml_cuda_mm_fusion_args_devicePfi15HIP_vector_typeIjLj3EEiiiSB_iiiSB_iiii
    .private_segment_fixed_size: 0
    .sgpr_count:     38
    .sgpr_spill_count: 0
    .symbol:         _ZL13mul_mat_vec_fI14__hip_bfloat16fLi3ELi64ELb0ELb0EEvPKT_PKfPKi31ggml_cuda_mm_fusion_args_devicePfi15HIP_vector_typeIjLj3EEiiiSB_iiiSB_iiii.kd
    .uniform_work_group_size: 1
    .uses_dynamic_stack: false
    .vgpr_count:     18
    .vgpr_spill_count: 0
    .wavefront_size: 32
    .workgroup_processor_mode: 1
  - .args:
      - .address_space:  global
        .offset:         0
        .size:           8
        .value_kind:     global_buffer
      - .address_space:  global
        .offset:         8
        .size:           8
        .value_kind:     global_buffer
      - .address_space:  global
        .offset:         16
        .size:           8
        .value_kind:     global_buffer
      - .offset:         24
        .size:           32
        .value_kind:     by_value
      - .address_space:  global
        .offset:         56
        .size:           8
        .value_kind:     global_buffer
      - .offset:         64
        .size:           4
        .value_kind:     by_value
      - .offset:         68
        .size:           12
        .value_kind:     by_value
      - .offset:         80
        .size:           4
        .value_kind:     by_value
      - .offset:         84
        .size:           4
        .value_kind:     by_value
      - .offset:         88
        .size:           4
        .value_kind:     by_value
      - .offset:         92
        .size:           12
        .value_kind:     by_value
      - .offset:         104
        .size:           4
        .value_kind:     by_value
      - .offset:         108
        .size:           4
        .value_kind:     by_value
      - .offset:         112
        .size:           4
        .value_kind:     by_value
      - .offset:         116
        .size:           12
        .value_kind:     by_value
      - .offset:         128
        .size:           4
        .value_kind:     by_value
      - .offset:         132
        .size:           4
        .value_kind:     by_value
      - .offset:         136
        .size:           4
        .value_kind:     by_value
      - .offset:         140
        .size:           4
        .value_kind:     by_value
    .group_segment_fixed_size: 0
    .kernarg_segment_align: 8
    .kernarg_segment_size: 144
    .language:       OpenCL C
    .language_version:
      - 2
      - 0
    .max_flat_workgroup_size: 1024
    .name:           _ZL13mul_mat_vec_fI14__hip_bfloat16fLi3ELi96ELb0ELb0EEvPKT_PKfPKi31ggml_cuda_mm_fusion_args_devicePfi15HIP_vector_typeIjLj3EEiiiSB_iiiSB_iiii
    .private_segment_fixed_size: 0
    .sgpr_count:     38
    .sgpr_spill_count: 0
    .symbol:         _ZL13mul_mat_vec_fI14__hip_bfloat16fLi3ELi96ELb0ELb0EEvPKT_PKfPKi31ggml_cuda_mm_fusion_args_devicePfi15HIP_vector_typeIjLj3EEiiiSB_iiiSB_iiii.kd
    .uniform_work_group_size: 1
    .uses_dynamic_stack: false
    .vgpr_count:     18
    .vgpr_spill_count: 0
    .wavefront_size: 32
    .workgroup_processor_mode: 1
  - .args:
      - .address_space:  global
        .offset:         0
        .size:           8
        .value_kind:     global_buffer
      - .address_space:  global
        .offset:         8
        .size:           8
        .value_kind:     global_buffer
      - .address_space:  global
        .offset:         16
        .size:           8
        .value_kind:     global_buffer
      - .offset:         24
        .size:           32
        .value_kind:     by_value
      - .address_space:  global
        .offset:         56
        .size:           8
        .value_kind:     global_buffer
      - .offset:         64
        .size:           4
        .value_kind:     by_value
      - .offset:         68
        .size:           12
        .value_kind:     by_value
      - .offset:         80
        .size:           4
        .value_kind:     by_value
      - .offset:         84
        .size:           4
        .value_kind:     by_value
      - .offset:         88
        .size:           4
        .value_kind:     by_value
      - .offset:         92
        .size:           12
        .value_kind:     by_value
      - .offset:         104
        .size:           4
        .value_kind:     by_value
      - .offset:         108
        .size:           4
        .value_kind:     by_value
      - .offset:         112
        .size:           4
        .value_kind:     by_value
      - .offset:         116
        .size:           12
        .value_kind:     by_value
      - .offset:         128
        .size:           4
        .value_kind:     by_value
      - .offset:         132
        .size:           4
        .value_kind:     by_value
      - .offset:         136
        .size:           4
        .value_kind:     by_value
      - .offset:         140
        .size:           4
        .value_kind:     by_value
    .group_segment_fixed_size: 0
    .kernarg_segment_align: 8
    .kernarg_segment_size: 144
    .language:       OpenCL C
    .language_version:
      - 2
      - 0
    .max_flat_workgroup_size: 1024
    .name:           _ZL13mul_mat_vec_fI14__hip_bfloat16fLi3ELi128ELb0ELb0EEvPKT_PKfPKi31ggml_cuda_mm_fusion_args_devicePfi15HIP_vector_typeIjLj3EEiiiSB_iiiSB_iiii
    .private_segment_fixed_size: 0
    .sgpr_count:     38
    .sgpr_spill_count: 0
    .symbol:         _ZL13mul_mat_vec_fI14__hip_bfloat16fLi3ELi128ELb0ELb0EEvPKT_PKfPKi31ggml_cuda_mm_fusion_args_devicePfi15HIP_vector_typeIjLj3EEiiiSB_iiiSB_iiii.kd
    .uniform_work_group_size: 1
    .uses_dynamic_stack: false
    .vgpr_count:     18
    .vgpr_spill_count: 0
    .wavefront_size: 32
    .workgroup_processor_mode: 1
  - .args:
      - .address_space:  global
        .offset:         0
        .size:           8
        .value_kind:     global_buffer
      - .address_space:  global
        .offset:         8
        .size:           8
        .value_kind:     global_buffer
      - .address_space:  global
        .offset:         16
        .size:           8
        .value_kind:     global_buffer
      - .offset:         24
        .size:           32
        .value_kind:     by_value
      - .address_space:  global
        .offset:         56
        .size:           8
        .value_kind:     global_buffer
      - .offset:         64
        .size:           4
        .value_kind:     by_value
      - .offset:         68
        .size:           12
        .value_kind:     by_value
      - .offset:         80
        .size:           4
        .value_kind:     by_value
      - .offset:         84
        .size:           4
        .value_kind:     by_value
      - .offset:         88
        .size:           4
        .value_kind:     by_value
      - .offset:         92
        .size:           12
        .value_kind:     by_value
      - .offset:         104
        .size:           4
        .value_kind:     by_value
      - .offset:         108
        .size:           4
        .value_kind:     by_value
      - .offset:         112
        .size:           4
        .value_kind:     by_value
      - .offset:         116
        .size:           12
        .value_kind:     by_value
      - .offset:         128
        .size:           4
        .value_kind:     by_value
      - .offset:         132
        .size:           4
        .value_kind:     by_value
      - .offset:         136
        .size:           4
        .value_kind:     by_value
      - .offset:         140
        .size:           4
        .value_kind:     by_value
    .group_segment_fixed_size: 0
    .kernarg_segment_align: 8
    .kernarg_segment_size: 144
    .language:       OpenCL C
    .language_version:
      - 2
      - 0
    .max_flat_workgroup_size: 1024
    .name:           _ZL13mul_mat_vec_fI14__hip_bfloat16fLi3ELi160ELb0ELb0EEvPKT_PKfPKi31ggml_cuda_mm_fusion_args_devicePfi15HIP_vector_typeIjLj3EEiiiSB_iiiSB_iiii
    .private_segment_fixed_size: 0
    .sgpr_count:     38
    .sgpr_spill_count: 0
    .symbol:         _ZL13mul_mat_vec_fI14__hip_bfloat16fLi3ELi160ELb0ELb0EEvPKT_PKfPKi31ggml_cuda_mm_fusion_args_devicePfi15HIP_vector_typeIjLj3EEiiiSB_iiiSB_iiii.kd
    .uniform_work_group_size: 1
    .uses_dynamic_stack: false
    .vgpr_count:     18
    .vgpr_spill_count: 0
    .wavefront_size: 32
    .workgroup_processor_mode: 1
  - .args:
      - .address_space:  global
        .offset:         0
        .size:           8
        .value_kind:     global_buffer
      - .address_space:  global
        .offset:         8
        .size:           8
        .value_kind:     global_buffer
      - .address_space:  global
        .offset:         16
        .size:           8
        .value_kind:     global_buffer
      - .offset:         24
        .size:           32
        .value_kind:     by_value
      - .address_space:  global
        .offset:         56
        .size:           8
        .value_kind:     global_buffer
      - .offset:         64
        .size:           4
        .value_kind:     by_value
      - .offset:         68
        .size:           12
        .value_kind:     by_value
      - .offset:         80
        .size:           4
        .value_kind:     by_value
      - .offset:         84
        .size:           4
        .value_kind:     by_value
      - .offset:         88
        .size:           4
        .value_kind:     by_value
      - .offset:         92
        .size:           12
        .value_kind:     by_value
      - .offset:         104
        .size:           4
        .value_kind:     by_value
      - .offset:         108
        .size:           4
        .value_kind:     by_value
      - .offset:         112
        .size:           4
        .value_kind:     by_value
      - .offset:         116
        .size:           12
        .value_kind:     by_value
      - .offset:         128
        .size:           4
        .value_kind:     by_value
      - .offset:         132
        .size:           4
        .value_kind:     by_value
      - .offset:         136
        .size:           4
        .value_kind:     by_value
      - .offset:         140
        .size:           4
        .value_kind:     by_value
    .group_segment_fixed_size: 0
    .kernarg_segment_align: 8
    .kernarg_segment_size: 144
    .language:       OpenCL C
    .language_version:
      - 2
      - 0
    .max_flat_workgroup_size: 1024
    .name:           _ZL13mul_mat_vec_fI14__hip_bfloat16fLi3ELi192ELb0ELb0EEvPKT_PKfPKi31ggml_cuda_mm_fusion_args_devicePfi15HIP_vector_typeIjLj3EEiiiSB_iiiSB_iiii
    .private_segment_fixed_size: 0
    .sgpr_count:     38
    .sgpr_spill_count: 0
    .symbol:         _ZL13mul_mat_vec_fI14__hip_bfloat16fLi3ELi192ELb0ELb0EEvPKT_PKfPKi31ggml_cuda_mm_fusion_args_devicePfi15HIP_vector_typeIjLj3EEiiiSB_iiiSB_iiii.kd
    .uniform_work_group_size: 1
    .uses_dynamic_stack: false
    .vgpr_count:     18
    .vgpr_spill_count: 0
    .wavefront_size: 32
    .workgroup_processor_mode: 1
  - .args:
      - .address_space:  global
        .offset:         0
        .size:           8
        .value_kind:     global_buffer
      - .address_space:  global
        .offset:         8
        .size:           8
        .value_kind:     global_buffer
      - .address_space:  global
        .offset:         16
        .size:           8
        .value_kind:     global_buffer
      - .offset:         24
        .size:           32
        .value_kind:     by_value
      - .address_space:  global
        .offset:         56
        .size:           8
        .value_kind:     global_buffer
      - .offset:         64
        .size:           4
        .value_kind:     by_value
      - .offset:         68
        .size:           12
        .value_kind:     by_value
      - .offset:         80
        .size:           4
        .value_kind:     by_value
      - .offset:         84
        .size:           4
        .value_kind:     by_value
      - .offset:         88
        .size:           4
        .value_kind:     by_value
      - .offset:         92
        .size:           12
        .value_kind:     by_value
      - .offset:         104
        .size:           4
        .value_kind:     by_value
      - .offset:         108
        .size:           4
        .value_kind:     by_value
      - .offset:         112
        .size:           4
        .value_kind:     by_value
      - .offset:         116
        .size:           12
        .value_kind:     by_value
      - .offset:         128
        .size:           4
        .value_kind:     by_value
      - .offset:         132
        .size:           4
        .value_kind:     by_value
      - .offset:         136
        .size:           4
        .value_kind:     by_value
      - .offset:         140
        .size:           4
        .value_kind:     by_value
    .group_segment_fixed_size: 0
    .kernarg_segment_align: 8
    .kernarg_segment_size: 144
    .language:       OpenCL C
    .language_version:
      - 2
      - 0
    .max_flat_workgroup_size: 1024
    .name:           _ZL13mul_mat_vec_fI14__hip_bfloat16fLi3ELi224ELb0ELb0EEvPKT_PKfPKi31ggml_cuda_mm_fusion_args_devicePfi15HIP_vector_typeIjLj3EEiiiSB_iiiSB_iiii
    .private_segment_fixed_size: 0
    .sgpr_count:     38
    .sgpr_spill_count: 0
    .symbol:         _ZL13mul_mat_vec_fI14__hip_bfloat16fLi3ELi224ELb0ELb0EEvPKT_PKfPKi31ggml_cuda_mm_fusion_args_devicePfi15HIP_vector_typeIjLj3EEiiiSB_iiiSB_iiii.kd
    .uniform_work_group_size: 1
    .uses_dynamic_stack: false
    .vgpr_count:     18
    .vgpr_spill_count: 0
    .wavefront_size: 32
    .workgroup_processor_mode: 1
  - .args:
      - .address_space:  global
        .offset:         0
        .size:           8
        .value_kind:     global_buffer
      - .address_space:  global
        .offset:         8
        .size:           8
        .value_kind:     global_buffer
      - .address_space:  global
        .offset:         16
        .size:           8
        .value_kind:     global_buffer
      - .offset:         24
        .size:           32
        .value_kind:     by_value
      - .address_space:  global
        .offset:         56
        .size:           8
        .value_kind:     global_buffer
      - .offset:         64
        .size:           4
        .value_kind:     by_value
      - .offset:         68
        .size:           12
        .value_kind:     by_value
      - .offset:         80
        .size:           4
        .value_kind:     by_value
      - .offset:         84
        .size:           4
        .value_kind:     by_value
      - .offset:         88
        .size:           4
        .value_kind:     by_value
      - .offset:         92
        .size:           12
        .value_kind:     by_value
      - .offset:         104
        .size:           4
        .value_kind:     by_value
      - .offset:         108
        .size:           4
        .value_kind:     by_value
      - .offset:         112
        .size:           4
        .value_kind:     by_value
      - .offset:         116
        .size:           12
        .value_kind:     by_value
      - .offset:         128
        .size:           4
        .value_kind:     by_value
      - .offset:         132
        .size:           4
        .value_kind:     by_value
      - .offset:         136
        .size:           4
        .value_kind:     by_value
      - .offset:         140
        .size:           4
        .value_kind:     by_value
    .group_segment_fixed_size: 0
    .kernarg_segment_align: 8
    .kernarg_segment_size: 144
    .language:       OpenCL C
    .language_version:
      - 2
      - 0
    .max_flat_workgroup_size: 1024
    .name:           _ZL13mul_mat_vec_fI14__hip_bfloat16fLi3ELi256ELb0ELb0EEvPKT_PKfPKi31ggml_cuda_mm_fusion_args_devicePfi15HIP_vector_typeIjLj3EEiiiSB_iiiSB_iiii
    .private_segment_fixed_size: 0
    .sgpr_count:     38
    .sgpr_spill_count: 0
    .symbol:         _ZL13mul_mat_vec_fI14__hip_bfloat16fLi3ELi256ELb0ELb0EEvPKT_PKfPKi31ggml_cuda_mm_fusion_args_devicePfi15HIP_vector_typeIjLj3EEiiiSB_iiiSB_iiii.kd
    .uniform_work_group_size: 1
    .uses_dynamic_stack: false
    .vgpr_count:     18
    .vgpr_spill_count: 0
    .wavefront_size: 32
    .workgroup_processor_mode: 1
  - .args:
      - .address_space:  global
        .offset:         0
        .size:           8
        .value_kind:     global_buffer
      - .address_space:  global
        .offset:         8
        .size:           8
        .value_kind:     global_buffer
      - .address_space:  global
        .offset:         16
        .size:           8
        .value_kind:     global_buffer
      - .offset:         24
        .size:           32
        .value_kind:     by_value
      - .address_space:  global
        .offset:         56
        .size:           8
        .value_kind:     global_buffer
      - .offset:         64
        .size:           4
        .value_kind:     by_value
      - .offset:         68
        .size:           12
        .value_kind:     by_value
      - .offset:         80
        .size:           4
        .value_kind:     by_value
      - .offset:         84
        .size:           4
        .value_kind:     by_value
      - .offset:         88
        .size:           4
        .value_kind:     by_value
      - .offset:         92
        .size:           12
        .value_kind:     by_value
      - .offset:         104
        .size:           4
        .value_kind:     by_value
      - .offset:         108
        .size:           4
        .value_kind:     by_value
      - .offset:         112
        .size:           4
        .value_kind:     by_value
      - .offset:         116
        .size:           12
        .value_kind:     by_value
      - .offset:         128
        .size:           4
        .value_kind:     by_value
      - .offset:         132
        .size:           4
        .value_kind:     by_value
      - .offset:         136
        .size:           4
        .value_kind:     by_value
      - .offset:         140
        .size:           4
        .value_kind:     by_value
    .group_segment_fixed_size: 0
    .kernarg_segment_align: 8
    .kernarg_segment_size: 144
    .language:       OpenCL C
    .language_version:
      - 2
      - 0
    .max_flat_workgroup_size: 1024
    .name:           _ZL13mul_mat_vec_fI14__hip_bfloat16fLi4ELi32ELb0ELb0EEvPKT_PKfPKi31ggml_cuda_mm_fusion_args_devicePfi15HIP_vector_typeIjLj3EEiiiSB_iiiSB_iiii
    .private_segment_fixed_size: 0
    .sgpr_count:     34
    .sgpr_spill_count: 0
    .symbol:         _ZL13mul_mat_vec_fI14__hip_bfloat16fLi4ELi32ELb0ELb0EEvPKT_PKfPKi31ggml_cuda_mm_fusion_args_devicePfi15HIP_vector_typeIjLj3EEiiiSB_iiiSB_iiii.kd
    .uniform_work_group_size: 1
    .uses_dynamic_stack: false
    .vgpr_count:     20
    .vgpr_spill_count: 0
    .wavefront_size: 32
    .workgroup_processor_mode: 1
  - .args:
      - .address_space:  global
        .offset:         0
        .size:           8
        .value_kind:     global_buffer
      - .address_space:  global
        .offset:         8
        .size:           8
        .value_kind:     global_buffer
      - .address_space:  global
        .offset:         16
        .size:           8
        .value_kind:     global_buffer
      - .offset:         24
        .size:           32
        .value_kind:     by_value
      - .address_space:  global
        .offset:         56
        .size:           8
        .value_kind:     global_buffer
      - .offset:         64
        .size:           4
        .value_kind:     by_value
      - .offset:         68
        .size:           12
        .value_kind:     by_value
      - .offset:         80
        .size:           4
        .value_kind:     by_value
      - .offset:         84
        .size:           4
        .value_kind:     by_value
      - .offset:         88
        .size:           4
        .value_kind:     by_value
      - .offset:         92
        .size:           12
        .value_kind:     by_value
      - .offset:         104
        .size:           4
        .value_kind:     by_value
      - .offset:         108
        .size:           4
        .value_kind:     by_value
      - .offset:         112
        .size:           4
        .value_kind:     by_value
      - .offset:         116
        .size:           12
        .value_kind:     by_value
      - .offset:         128
        .size:           4
        .value_kind:     by_value
      - .offset:         132
        .size:           4
        .value_kind:     by_value
      - .offset:         136
        .size:           4
        .value_kind:     by_value
      - .offset:         140
        .size:           4
        .value_kind:     by_value
    .group_segment_fixed_size: 0
    .kernarg_segment_align: 8
    .kernarg_segment_size: 144
    .language:       OpenCL C
    .language_version:
      - 2
      - 0
    .max_flat_workgroup_size: 1024
    .name:           _ZL13mul_mat_vec_fI14__hip_bfloat16fLi4ELi64ELb0ELb0EEvPKT_PKfPKi31ggml_cuda_mm_fusion_args_devicePfi15HIP_vector_typeIjLj3EEiiiSB_iiiSB_iiii
    .private_segment_fixed_size: 0
    .sgpr_count:     38
    .sgpr_spill_count: 0
    .symbol:         _ZL13mul_mat_vec_fI14__hip_bfloat16fLi4ELi64ELb0ELb0EEvPKT_PKfPKi31ggml_cuda_mm_fusion_args_devicePfi15HIP_vector_typeIjLj3EEiiiSB_iiiSB_iiii.kd
    .uniform_work_group_size: 1
    .uses_dynamic_stack: false
    .vgpr_count:     21
    .vgpr_spill_count: 0
    .wavefront_size: 32
    .workgroup_processor_mode: 1
  - .args:
      - .address_space:  global
        .offset:         0
        .size:           8
        .value_kind:     global_buffer
      - .address_space:  global
        .offset:         8
        .size:           8
        .value_kind:     global_buffer
      - .address_space:  global
        .offset:         16
        .size:           8
        .value_kind:     global_buffer
      - .offset:         24
        .size:           32
        .value_kind:     by_value
      - .address_space:  global
        .offset:         56
        .size:           8
        .value_kind:     global_buffer
      - .offset:         64
        .size:           4
        .value_kind:     by_value
      - .offset:         68
        .size:           12
        .value_kind:     by_value
      - .offset:         80
        .size:           4
        .value_kind:     by_value
      - .offset:         84
        .size:           4
        .value_kind:     by_value
      - .offset:         88
        .size:           4
        .value_kind:     by_value
      - .offset:         92
        .size:           12
        .value_kind:     by_value
      - .offset:         104
        .size:           4
        .value_kind:     by_value
      - .offset:         108
        .size:           4
        .value_kind:     by_value
      - .offset:         112
        .size:           4
        .value_kind:     by_value
      - .offset:         116
        .size:           12
        .value_kind:     by_value
      - .offset:         128
        .size:           4
        .value_kind:     by_value
      - .offset:         132
        .size:           4
        .value_kind:     by_value
      - .offset:         136
        .size:           4
        .value_kind:     by_value
      - .offset:         140
        .size:           4
        .value_kind:     by_value
    .group_segment_fixed_size: 0
    .kernarg_segment_align: 8
    .kernarg_segment_size: 144
    .language:       OpenCL C
    .language_version:
      - 2
      - 0
    .max_flat_workgroup_size: 1024
    .name:           _ZL13mul_mat_vec_fI14__hip_bfloat16fLi4ELi96ELb0ELb0EEvPKT_PKfPKi31ggml_cuda_mm_fusion_args_devicePfi15HIP_vector_typeIjLj3EEiiiSB_iiiSB_iiii
    .private_segment_fixed_size: 0
    .sgpr_count:     38
    .sgpr_spill_count: 0
    .symbol:         _ZL13mul_mat_vec_fI14__hip_bfloat16fLi4ELi96ELb0ELb0EEvPKT_PKfPKi31ggml_cuda_mm_fusion_args_devicePfi15HIP_vector_typeIjLj3EEiiiSB_iiiSB_iiii.kd
    .uniform_work_group_size: 1
    .uses_dynamic_stack: false
    .vgpr_count:     21
    .vgpr_spill_count: 0
    .wavefront_size: 32
    .workgroup_processor_mode: 1
  - .args:
      - .address_space:  global
        .offset:         0
        .size:           8
        .value_kind:     global_buffer
      - .address_space:  global
        .offset:         8
        .size:           8
        .value_kind:     global_buffer
      - .address_space:  global
        .offset:         16
        .size:           8
        .value_kind:     global_buffer
      - .offset:         24
        .size:           32
        .value_kind:     by_value
      - .address_space:  global
        .offset:         56
        .size:           8
        .value_kind:     global_buffer
      - .offset:         64
        .size:           4
        .value_kind:     by_value
      - .offset:         68
        .size:           12
        .value_kind:     by_value
      - .offset:         80
        .size:           4
        .value_kind:     by_value
      - .offset:         84
        .size:           4
        .value_kind:     by_value
      - .offset:         88
        .size:           4
        .value_kind:     by_value
      - .offset:         92
        .size:           12
        .value_kind:     by_value
      - .offset:         104
        .size:           4
        .value_kind:     by_value
      - .offset:         108
        .size:           4
        .value_kind:     by_value
      - .offset:         112
        .size:           4
        .value_kind:     by_value
      - .offset:         116
        .size:           12
        .value_kind:     by_value
      - .offset:         128
        .size:           4
        .value_kind:     by_value
      - .offset:         132
        .size:           4
        .value_kind:     by_value
      - .offset:         136
        .size:           4
        .value_kind:     by_value
      - .offset:         140
        .size:           4
        .value_kind:     by_value
    .group_segment_fixed_size: 0
    .kernarg_segment_align: 8
    .kernarg_segment_size: 144
    .language:       OpenCL C
    .language_version:
      - 2
      - 0
    .max_flat_workgroup_size: 1024
    .name:           _ZL13mul_mat_vec_fI14__hip_bfloat16fLi4ELi128ELb0ELb0EEvPKT_PKfPKi31ggml_cuda_mm_fusion_args_devicePfi15HIP_vector_typeIjLj3EEiiiSB_iiiSB_iiii
    .private_segment_fixed_size: 0
    .sgpr_count:     38
    .sgpr_spill_count: 0
    .symbol:         _ZL13mul_mat_vec_fI14__hip_bfloat16fLi4ELi128ELb0ELb0EEvPKT_PKfPKi31ggml_cuda_mm_fusion_args_devicePfi15HIP_vector_typeIjLj3EEiiiSB_iiiSB_iiii.kd
    .uniform_work_group_size: 1
    .uses_dynamic_stack: false
    .vgpr_count:     21
    .vgpr_spill_count: 0
    .wavefront_size: 32
    .workgroup_processor_mode: 1
  - .args:
      - .address_space:  global
        .offset:         0
        .size:           8
        .value_kind:     global_buffer
      - .address_space:  global
        .offset:         8
        .size:           8
        .value_kind:     global_buffer
      - .address_space:  global
        .offset:         16
        .size:           8
        .value_kind:     global_buffer
      - .offset:         24
        .size:           32
        .value_kind:     by_value
      - .address_space:  global
        .offset:         56
        .size:           8
        .value_kind:     global_buffer
      - .offset:         64
        .size:           4
        .value_kind:     by_value
      - .offset:         68
        .size:           12
        .value_kind:     by_value
      - .offset:         80
        .size:           4
        .value_kind:     by_value
      - .offset:         84
        .size:           4
        .value_kind:     by_value
      - .offset:         88
        .size:           4
        .value_kind:     by_value
      - .offset:         92
        .size:           12
        .value_kind:     by_value
      - .offset:         104
        .size:           4
        .value_kind:     by_value
      - .offset:         108
        .size:           4
        .value_kind:     by_value
      - .offset:         112
        .size:           4
        .value_kind:     by_value
      - .offset:         116
        .size:           12
        .value_kind:     by_value
      - .offset:         128
        .size:           4
        .value_kind:     by_value
      - .offset:         132
        .size:           4
        .value_kind:     by_value
      - .offset:         136
        .size:           4
        .value_kind:     by_value
      - .offset:         140
        .size:           4
        .value_kind:     by_value
    .group_segment_fixed_size: 0
    .kernarg_segment_align: 8
    .kernarg_segment_size: 144
    .language:       OpenCL C
    .language_version:
      - 2
      - 0
    .max_flat_workgroup_size: 1024
    .name:           _ZL13mul_mat_vec_fI14__hip_bfloat16fLi4ELi160ELb0ELb0EEvPKT_PKfPKi31ggml_cuda_mm_fusion_args_devicePfi15HIP_vector_typeIjLj3EEiiiSB_iiiSB_iiii
    .private_segment_fixed_size: 0
    .sgpr_count:     38
    .sgpr_spill_count: 0
    .symbol:         _ZL13mul_mat_vec_fI14__hip_bfloat16fLi4ELi160ELb0ELb0EEvPKT_PKfPKi31ggml_cuda_mm_fusion_args_devicePfi15HIP_vector_typeIjLj3EEiiiSB_iiiSB_iiii.kd
    .uniform_work_group_size: 1
    .uses_dynamic_stack: false
    .vgpr_count:     21
    .vgpr_spill_count: 0
    .wavefront_size: 32
    .workgroup_processor_mode: 1
  - .args:
      - .address_space:  global
        .offset:         0
        .size:           8
        .value_kind:     global_buffer
      - .address_space:  global
        .offset:         8
        .size:           8
        .value_kind:     global_buffer
      - .address_space:  global
        .offset:         16
        .size:           8
        .value_kind:     global_buffer
      - .offset:         24
        .size:           32
        .value_kind:     by_value
      - .address_space:  global
        .offset:         56
        .size:           8
        .value_kind:     global_buffer
      - .offset:         64
        .size:           4
        .value_kind:     by_value
      - .offset:         68
        .size:           12
        .value_kind:     by_value
      - .offset:         80
        .size:           4
        .value_kind:     by_value
      - .offset:         84
        .size:           4
        .value_kind:     by_value
      - .offset:         88
        .size:           4
        .value_kind:     by_value
      - .offset:         92
        .size:           12
        .value_kind:     by_value
      - .offset:         104
        .size:           4
        .value_kind:     by_value
      - .offset:         108
        .size:           4
        .value_kind:     by_value
      - .offset:         112
        .size:           4
        .value_kind:     by_value
      - .offset:         116
        .size:           12
        .value_kind:     by_value
      - .offset:         128
        .size:           4
        .value_kind:     by_value
      - .offset:         132
        .size:           4
        .value_kind:     by_value
      - .offset:         136
        .size:           4
        .value_kind:     by_value
      - .offset:         140
        .size:           4
        .value_kind:     by_value
    .group_segment_fixed_size: 0
    .kernarg_segment_align: 8
    .kernarg_segment_size: 144
    .language:       OpenCL C
    .language_version:
      - 2
      - 0
    .max_flat_workgroup_size: 1024
    .name:           _ZL13mul_mat_vec_fI14__hip_bfloat16fLi4ELi192ELb0ELb0EEvPKT_PKfPKi31ggml_cuda_mm_fusion_args_devicePfi15HIP_vector_typeIjLj3EEiiiSB_iiiSB_iiii
    .private_segment_fixed_size: 0
    .sgpr_count:     38
    .sgpr_spill_count: 0
    .symbol:         _ZL13mul_mat_vec_fI14__hip_bfloat16fLi4ELi192ELb0ELb0EEvPKT_PKfPKi31ggml_cuda_mm_fusion_args_devicePfi15HIP_vector_typeIjLj3EEiiiSB_iiiSB_iiii.kd
    .uniform_work_group_size: 1
    .uses_dynamic_stack: false
    .vgpr_count:     21
    .vgpr_spill_count: 0
    .wavefront_size: 32
    .workgroup_processor_mode: 1
  - .args:
      - .address_space:  global
        .offset:         0
        .size:           8
        .value_kind:     global_buffer
      - .address_space:  global
        .offset:         8
        .size:           8
        .value_kind:     global_buffer
      - .address_space:  global
        .offset:         16
        .size:           8
        .value_kind:     global_buffer
      - .offset:         24
        .size:           32
        .value_kind:     by_value
      - .address_space:  global
        .offset:         56
        .size:           8
        .value_kind:     global_buffer
      - .offset:         64
        .size:           4
        .value_kind:     by_value
      - .offset:         68
        .size:           12
        .value_kind:     by_value
      - .offset:         80
        .size:           4
        .value_kind:     by_value
      - .offset:         84
        .size:           4
        .value_kind:     by_value
      - .offset:         88
        .size:           4
        .value_kind:     by_value
      - .offset:         92
        .size:           12
        .value_kind:     by_value
      - .offset:         104
        .size:           4
        .value_kind:     by_value
      - .offset:         108
        .size:           4
        .value_kind:     by_value
      - .offset:         112
        .size:           4
        .value_kind:     by_value
      - .offset:         116
        .size:           12
        .value_kind:     by_value
      - .offset:         128
        .size:           4
        .value_kind:     by_value
      - .offset:         132
        .size:           4
        .value_kind:     by_value
      - .offset:         136
        .size:           4
        .value_kind:     by_value
      - .offset:         140
        .size:           4
        .value_kind:     by_value
    .group_segment_fixed_size: 0
    .kernarg_segment_align: 8
    .kernarg_segment_size: 144
    .language:       OpenCL C
    .language_version:
      - 2
      - 0
    .max_flat_workgroup_size: 1024
    .name:           _ZL13mul_mat_vec_fI14__hip_bfloat16fLi4ELi224ELb0ELb0EEvPKT_PKfPKi31ggml_cuda_mm_fusion_args_devicePfi15HIP_vector_typeIjLj3EEiiiSB_iiiSB_iiii
    .private_segment_fixed_size: 0
    .sgpr_count:     38
    .sgpr_spill_count: 0
    .symbol:         _ZL13mul_mat_vec_fI14__hip_bfloat16fLi4ELi224ELb0ELb0EEvPKT_PKfPKi31ggml_cuda_mm_fusion_args_devicePfi15HIP_vector_typeIjLj3EEiiiSB_iiiSB_iiii.kd
    .uniform_work_group_size: 1
    .uses_dynamic_stack: false
    .vgpr_count:     21
    .vgpr_spill_count: 0
    .wavefront_size: 32
    .workgroup_processor_mode: 1
  - .args:
      - .address_space:  global
        .offset:         0
        .size:           8
        .value_kind:     global_buffer
      - .address_space:  global
        .offset:         8
        .size:           8
        .value_kind:     global_buffer
      - .address_space:  global
        .offset:         16
        .size:           8
        .value_kind:     global_buffer
      - .offset:         24
        .size:           32
        .value_kind:     by_value
      - .address_space:  global
        .offset:         56
        .size:           8
        .value_kind:     global_buffer
      - .offset:         64
        .size:           4
        .value_kind:     by_value
      - .offset:         68
        .size:           12
        .value_kind:     by_value
      - .offset:         80
        .size:           4
        .value_kind:     by_value
      - .offset:         84
        .size:           4
        .value_kind:     by_value
      - .offset:         88
        .size:           4
        .value_kind:     by_value
      - .offset:         92
        .size:           12
        .value_kind:     by_value
      - .offset:         104
        .size:           4
        .value_kind:     by_value
      - .offset:         108
        .size:           4
        .value_kind:     by_value
      - .offset:         112
        .size:           4
        .value_kind:     by_value
      - .offset:         116
        .size:           12
        .value_kind:     by_value
      - .offset:         128
        .size:           4
        .value_kind:     by_value
      - .offset:         132
        .size:           4
        .value_kind:     by_value
      - .offset:         136
        .size:           4
        .value_kind:     by_value
      - .offset:         140
        .size:           4
        .value_kind:     by_value
    .group_segment_fixed_size: 0
    .kernarg_segment_align: 8
    .kernarg_segment_size: 144
    .language:       OpenCL C
    .language_version:
      - 2
      - 0
    .max_flat_workgroup_size: 1024
    .name:           _ZL13mul_mat_vec_fI14__hip_bfloat16fLi4ELi256ELb0ELb0EEvPKT_PKfPKi31ggml_cuda_mm_fusion_args_devicePfi15HIP_vector_typeIjLj3EEiiiSB_iiiSB_iiii
    .private_segment_fixed_size: 0
    .sgpr_count:     38
    .sgpr_spill_count: 0
    .symbol:         _ZL13mul_mat_vec_fI14__hip_bfloat16fLi4ELi256ELb0ELb0EEvPKT_PKfPKi31ggml_cuda_mm_fusion_args_devicePfi15HIP_vector_typeIjLj3EEiiiSB_iiiSB_iiii.kd
    .uniform_work_group_size: 1
    .uses_dynamic_stack: false
    .vgpr_count:     21
    .vgpr_spill_count: 0
    .wavefront_size: 32
    .workgroup_processor_mode: 1
  - .args:
      - .address_space:  global
        .offset:         0
        .size:           8
        .value_kind:     global_buffer
      - .address_space:  global
        .offset:         8
        .size:           8
        .value_kind:     global_buffer
      - .address_space:  global
        .offset:         16
        .size:           8
        .value_kind:     global_buffer
      - .offset:         24
        .size:           32
        .value_kind:     by_value
      - .address_space:  global
        .offset:         56
        .size:           8
        .value_kind:     global_buffer
      - .offset:         64
        .size:           4
        .value_kind:     by_value
      - .offset:         68
        .size:           12
        .value_kind:     by_value
      - .offset:         80
        .size:           4
        .value_kind:     by_value
      - .offset:         84
        .size:           4
        .value_kind:     by_value
      - .offset:         88
        .size:           4
        .value_kind:     by_value
      - .offset:         92
        .size:           12
        .value_kind:     by_value
      - .offset:         104
        .size:           4
        .value_kind:     by_value
      - .offset:         108
        .size:           4
        .value_kind:     by_value
      - .offset:         112
        .size:           4
        .value_kind:     by_value
      - .offset:         116
        .size:           12
        .value_kind:     by_value
      - .offset:         128
        .size:           4
        .value_kind:     by_value
      - .offset:         132
        .size:           4
        .value_kind:     by_value
      - .offset:         136
        .size:           4
        .value_kind:     by_value
      - .offset:         140
        .size:           4
        .value_kind:     by_value
    .group_segment_fixed_size: 0
    .kernarg_segment_align: 8
    .kernarg_segment_size: 144
    .language:       OpenCL C
    .language_version:
      - 2
      - 0
    .max_flat_workgroup_size: 1024
    .name:           _ZL13mul_mat_vec_fI14__hip_bfloat16fLi5ELi32ELb0ELb0EEvPKT_PKfPKi31ggml_cuda_mm_fusion_args_devicePfi15HIP_vector_typeIjLj3EEiiiSB_iiiSB_iiii
    .private_segment_fixed_size: 0
    .sgpr_count:     38
    .sgpr_spill_count: 0
    .symbol:         _ZL13mul_mat_vec_fI14__hip_bfloat16fLi5ELi32ELb0ELb0EEvPKT_PKfPKi31ggml_cuda_mm_fusion_args_devicePfi15HIP_vector_typeIjLj3EEiiiSB_iiiSB_iiii.kd
    .uniform_work_group_size: 1
    .uses_dynamic_stack: false
    .vgpr_count:     23
    .vgpr_spill_count: 0
    .wavefront_size: 32
    .workgroup_processor_mode: 1
  - .args:
      - .address_space:  global
        .offset:         0
        .size:           8
        .value_kind:     global_buffer
      - .address_space:  global
        .offset:         8
        .size:           8
        .value_kind:     global_buffer
      - .address_space:  global
        .offset:         16
        .size:           8
        .value_kind:     global_buffer
      - .offset:         24
        .size:           32
        .value_kind:     by_value
      - .address_space:  global
        .offset:         56
        .size:           8
        .value_kind:     global_buffer
      - .offset:         64
        .size:           4
        .value_kind:     by_value
      - .offset:         68
        .size:           12
        .value_kind:     by_value
      - .offset:         80
        .size:           4
        .value_kind:     by_value
      - .offset:         84
        .size:           4
        .value_kind:     by_value
      - .offset:         88
        .size:           4
        .value_kind:     by_value
      - .offset:         92
        .size:           12
        .value_kind:     by_value
      - .offset:         104
        .size:           4
        .value_kind:     by_value
      - .offset:         108
        .size:           4
        .value_kind:     by_value
      - .offset:         112
        .size:           4
        .value_kind:     by_value
      - .offset:         116
        .size:           12
        .value_kind:     by_value
      - .offset:         128
        .size:           4
        .value_kind:     by_value
      - .offset:         132
        .size:           4
        .value_kind:     by_value
      - .offset:         136
        .size:           4
        .value_kind:     by_value
      - .offset:         140
        .size:           4
        .value_kind:     by_value
    .group_segment_fixed_size: 0
    .kernarg_segment_align: 8
    .kernarg_segment_size: 144
    .language:       OpenCL C
    .language_version:
      - 2
      - 0
    .max_flat_workgroup_size: 1024
    .name:           _ZL13mul_mat_vec_fI14__hip_bfloat16fLi5ELi64ELb0ELb0EEvPKT_PKfPKi31ggml_cuda_mm_fusion_args_devicePfi15HIP_vector_typeIjLj3EEiiiSB_iiiSB_iiii
    .private_segment_fixed_size: 0
    .sgpr_count:     38
    .sgpr_spill_count: 0
    .symbol:         _ZL13mul_mat_vec_fI14__hip_bfloat16fLi5ELi64ELb0ELb0EEvPKT_PKfPKi31ggml_cuda_mm_fusion_args_devicePfi15HIP_vector_typeIjLj3EEiiiSB_iiiSB_iiii.kd
    .uniform_work_group_size: 1
    .uses_dynamic_stack: false
    .vgpr_count:     24
    .vgpr_spill_count: 0
    .wavefront_size: 32
    .workgroup_processor_mode: 1
  - .args:
      - .address_space:  global
        .offset:         0
        .size:           8
        .value_kind:     global_buffer
      - .address_space:  global
        .offset:         8
        .size:           8
        .value_kind:     global_buffer
      - .address_space:  global
        .offset:         16
        .size:           8
        .value_kind:     global_buffer
      - .offset:         24
        .size:           32
        .value_kind:     by_value
      - .address_space:  global
        .offset:         56
        .size:           8
        .value_kind:     global_buffer
      - .offset:         64
        .size:           4
        .value_kind:     by_value
      - .offset:         68
        .size:           12
        .value_kind:     by_value
      - .offset:         80
        .size:           4
        .value_kind:     by_value
      - .offset:         84
        .size:           4
        .value_kind:     by_value
      - .offset:         88
        .size:           4
        .value_kind:     by_value
      - .offset:         92
        .size:           12
        .value_kind:     by_value
      - .offset:         104
        .size:           4
        .value_kind:     by_value
      - .offset:         108
        .size:           4
        .value_kind:     by_value
      - .offset:         112
        .size:           4
        .value_kind:     by_value
      - .offset:         116
        .size:           12
        .value_kind:     by_value
      - .offset:         128
        .size:           4
        .value_kind:     by_value
      - .offset:         132
        .size:           4
        .value_kind:     by_value
      - .offset:         136
        .size:           4
        .value_kind:     by_value
      - .offset:         140
        .size:           4
        .value_kind:     by_value
    .group_segment_fixed_size: 0
    .kernarg_segment_align: 8
    .kernarg_segment_size: 144
    .language:       OpenCL C
    .language_version:
      - 2
      - 0
    .max_flat_workgroup_size: 1024
    .name:           _ZL13mul_mat_vec_fI14__hip_bfloat16fLi5ELi96ELb0ELb0EEvPKT_PKfPKi31ggml_cuda_mm_fusion_args_devicePfi15HIP_vector_typeIjLj3EEiiiSB_iiiSB_iiii
    .private_segment_fixed_size: 0
    .sgpr_count:     38
    .sgpr_spill_count: 0
    .symbol:         _ZL13mul_mat_vec_fI14__hip_bfloat16fLi5ELi96ELb0ELb0EEvPKT_PKfPKi31ggml_cuda_mm_fusion_args_devicePfi15HIP_vector_typeIjLj3EEiiiSB_iiiSB_iiii.kd
    .uniform_work_group_size: 1
    .uses_dynamic_stack: false
    .vgpr_count:     24
    .vgpr_spill_count: 0
    .wavefront_size: 32
    .workgroup_processor_mode: 1
  - .args:
      - .address_space:  global
        .offset:         0
        .size:           8
        .value_kind:     global_buffer
      - .address_space:  global
        .offset:         8
        .size:           8
        .value_kind:     global_buffer
      - .address_space:  global
        .offset:         16
        .size:           8
        .value_kind:     global_buffer
      - .offset:         24
        .size:           32
        .value_kind:     by_value
      - .address_space:  global
        .offset:         56
        .size:           8
        .value_kind:     global_buffer
      - .offset:         64
        .size:           4
        .value_kind:     by_value
      - .offset:         68
        .size:           12
        .value_kind:     by_value
      - .offset:         80
        .size:           4
        .value_kind:     by_value
      - .offset:         84
        .size:           4
        .value_kind:     by_value
      - .offset:         88
        .size:           4
        .value_kind:     by_value
      - .offset:         92
        .size:           12
        .value_kind:     by_value
      - .offset:         104
        .size:           4
        .value_kind:     by_value
      - .offset:         108
        .size:           4
        .value_kind:     by_value
      - .offset:         112
        .size:           4
        .value_kind:     by_value
      - .offset:         116
        .size:           12
        .value_kind:     by_value
      - .offset:         128
        .size:           4
        .value_kind:     by_value
      - .offset:         132
        .size:           4
        .value_kind:     by_value
      - .offset:         136
        .size:           4
        .value_kind:     by_value
      - .offset:         140
        .size:           4
        .value_kind:     by_value
    .group_segment_fixed_size: 0
    .kernarg_segment_align: 8
    .kernarg_segment_size: 144
    .language:       OpenCL C
    .language_version:
      - 2
      - 0
    .max_flat_workgroup_size: 1024
    .name:           _ZL13mul_mat_vec_fI14__hip_bfloat16fLi5ELi128ELb0ELb0EEvPKT_PKfPKi31ggml_cuda_mm_fusion_args_devicePfi15HIP_vector_typeIjLj3EEiiiSB_iiiSB_iiii
    .private_segment_fixed_size: 0
    .sgpr_count:     38
    .sgpr_spill_count: 0
    .symbol:         _ZL13mul_mat_vec_fI14__hip_bfloat16fLi5ELi128ELb0ELb0EEvPKT_PKfPKi31ggml_cuda_mm_fusion_args_devicePfi15HIP_vector_typeIjLj3EEiiiSB_iiiSB_iiii.kd
    .uniform_work_group_size: 1
    .uses_dynamic_stack: false
    .vgpr_count:     24
    .vgpr_spill_count: 0
    .wavefront_size: 32
    .workgroup_processor_mode: 1
  - .args:
      - .address_space:  global
        .offset:         0
        .size:           8
        .value_kind:     global_buffer
      - .address_space:  global
        .offset:         8
        .size:           8
        .value_kind:     global_buffer
      - .address_space:  global
        .offset:         16
        .size:           8
        .value_kind:     global_buffer
      - .offset:         24
        .size:           32
        .value_kind:     by_value
      - .address_space:  global
        .offset:         56
        .size:           8
        .value_kind:     global_buffer
      - .offset:         64
        .size:           4
        .value_kind:     by_value
      - .offset:         68
        .size:           12
        .value_kind:     by_value
      - .offset:         80
        .size:           4
        .value_kind:     by_value
      - .offset:         84
        .size:           4
        .value_kind:     by_value
      - .offset:         88
        .size:           4
        .value_kind:     by_value
      - .offset:         92
        .size:           12
        .value_kind:     by_value
      - .offset:         104
        .size:           4
        .value_kind:     by_value
      - .offset:         108
        .size:           4
        .value_kind:     by_value
      - .offset:         112
        .size:           4
        .value_kind:     by_value
      - .offset:         116
        .size:           12
        .value_kind:     by_value
      - .offset:         128
        .size:           4
        .value_kind:     by_value
      - .offset:         132
        .size:           4
        .value_kind:     by_value
      - .offset:         136
        .size:           4
        .value_kind:     by_value
      - .offset:         140
        .size:           4
        .value_kind:     by_value
    .group_segment_fixed_size: 0
    .kernarg_segment_align: 8
    .kernarg_segment_size: 144
    .language:       OpenCL C
    .language_version:
      - 2
      - 0
    .max_flat_workgroup_size: 1024
    .name:           _ZL13mul_mat_vec_fI14__hip_bfloat16fLi5ELi160ELb0ELb0EEvPKT_PKfPKi31ggml_cuda_mm_fusion_args_devicePfi15HIP_vector_typeIjLj3EEiiiSB_iiiSB_iiii
    .private_segment_fixed_size: 0
    .sgpr_count:     38
    .sgpr_spill_count: 0
    .symbol:         _ZL13mul_mat_vec_fI14__hip_bfloat16fLi5ELi160ELb0ELb0EEvPKT_PKfPKi31ggml_cuda_mm_fusion_args_devicePfi15HIP_vector_typeIjLj3EEiiiSB_iiiSB_iiii.kd
    .uniform_work_group_size: 1
    .uses_dynamic_stack: false
    .vgpr_count:     24
    .vgpr_spill_count: 0
    .wavefront_size: 32
    .workgroup_processor_mode: 1
  - .args:
      - .address_space:  global
        .offset:         0
        .size:           8
        .value_kind:     global_buffer
      - .address_space:  global
        .offset:         8
        .size:           8
        .value_kind:     global_buffer
      - .address_space:  global
        .offset:         16
        .size:           8
        .value_kind:     global_buffer
      - .offset:         24
        .size:           32
        .value_kind:     by_value
      - .address_space:  global
        .offset:         56
        .size:           8
        .value_kind:     global_buffer
      - .offset:         64
        .size:           4
        .value_kind:     by_value
      - .offset:         68
        .size:           12
        .value_kind:     by_value
      - .offset:         80
        .size:           4
        .value_kind:     by_value
      - .offset:         84
        .size:           4
        .value_kind:     by_value
      - .offset:         88
        .size:           4
        .value_kind:     by_value
      - .offset:         92
        .size:           12
        .value_kind:     by_value
      - .offset:         104
        .size:           4
        .value_kind:     by_value
      - .offset:         108
        .size:           4
        .value_kind:     by_value
      - .offset:         112
        .size:           4
        .value_kind:     by_value
      - .offset:         116
        .size:           12
        .value_kind:     by_value
      - .offset:         128
        .size:           4
        .value_kind:     by_value
      - .offset:         132
        .size:           4
        .value_kind:     by_value
      - .offset:         136
        .size:           4
        .value_kind:     by_value
      - .offset:         140
        .size:           4
        .value_kind:     by_value
    .group_segment_fixed_size: 0
    .kernarg_segment_align: 8
    .kernarg_segment_size: 144
    .language:       OpenCL C
    .language_version:
      - 2
      - 0
    .max_flat_workgroup_size: 1024
    .name:           _ZL13mul_mat_vec_fI14__hip_bfloat16fLi5ELi192ELb0ELb0EEvPKT_PKfPKi31ggml_cuda_mm_fusion_args_devicePfi15HIP_vector_typeIjLj3EEiiiSB_iiiSB_iiii
    .private_segment_fixed_size: 0
    .sgpr_count:     38
    .sgpr_spill_count: 0
    .symbol:         _ZL13mul_mat_vec_fI14__hip_bfloat16fLi5ELi192ELb0ELb0EEvPKT_PKfPKi31ggml_cuda_mm_fusion_args_devicePfi15HIP_vector_typeIjLj3EEiiiSB_iiiSB_iiii.kd
    .uniform_work_group_size: 1
    .uses_dynamic_stack: false
    .vgpr_count:     24
    .vgpr_spill_count: 0
    .wavefront_size: 32
    .workgroup_processor_mode: 1
  - .args:
      - .address_space:  global
        .offset:         0
        .size:           8
        .value_kind:     global_buffer
      - .address_space:  global
        .offset:         8
        .size:           8
        .value_kind:     global_buffer
      - .address_space:  global
        .offset:         16
        .size:           8
        .value_kind:     global_buffer
      - .offset:         24
        .size:           32
        .value_kind:     by_value
      - .address_space:  global
        .offset:         56
        .size:           8
        .value_kind:     global_buffer
      - .offset:         64
        .size:           4
        .value_kind:     by_value
      - .offset:         68
        .size:           12
        .value_kind:     by_value
      - .offset:         80
        .size:           4
        .value_kind:     by_value
      - .offset:         84
        .size:           4
        .value_kind:     by_value
      - .offset:         88
        .size:           4
        .value_kind:     by_value
      - .offset:         92
        .size:           12
        .value_kind:     by_value
      - .offset:         104
        .size:           4
        .value_kind:     by_value
      - .offset:         108
        .size:           4
        .value_kind:     by_value
      - .offset:         112
        .size:           4
        .value_kind:     by_value
      - .offset:         116
        .size:           12
        .value_kind:     by_value
      - .offset:         128
        .size:           4
        .value_kind:     by_value
      - .offset:         132
        .size:           4
        .value_kind:     by_value
      - .offset:         136
        .size:           4
        .value_kind:     by_value
      - .offset:         140
        .size:           4
        .value_kind:     by_value
    .group_segment_fixed_size: 0
    .kernarg_segment_align: 8
    .kernarg_segment_size: 144
    .language:       OpenCL C
    .language_version:
      - 2
      - 0
    .max_flat_workgroup_size: 1024
    .name:           _ZL13mul_mat_vec_fI14__hip_bfloat16fLi5ELi224ELb0ELb0EEvPKT_PKfPKi31ggml_cuda_mm_fusion_args_devicePfi15HIP_vector_typeIjLj3EEiiiSB_iiiSB_iiii
    .private_segment_fixed_size: 0
    .sgpr_count:     38
    .sgpr_spill_count: 0
    .symbol:         _ZL13mul_mat_vec_fI14__hip_bfloat16fLi5ELi224ELb0ELb0EEvPKT_PKfPKi31ggml_cuda_mm_fusion_args_devicePfi15HIP_vector_typeIjLj3EEiiiSB_iiiSB_iiii.kd
    .uniform_work_group_size: 1
    .uses_dynamic_stack: false
    .vgpr_count:     24
    .vgpr_spill_count: 0
    .wavefront_size: 32
    .workgroup_processor_mode: 1
  - .args:
      - .address_space:  global
        .offset:         0
        .size:           8
        .value_kind:     global_buffer
      - .address_space:  global
        .offset:         8
        .size:           8
        .value_kind:     global_buffer
      - .address_space:  global
        .offset:         16
        .size:           8
        .value_kind:     global_buffer
      - .offset:         24
        .size:           32
        .value_kind:     by_value
      - .address_space:  global
        .offset:         56
        .size:           8
        .value_kind:     global_buffer
      - .offset:         64
        .size:           4
        .value_kind:     by_value
      - .offset:         68
        .size:           12
        .value_kind:     by_value
      - .offset:         80
        .size:           4
        .value_kind:     by_value
      - .offset:         84
        .size:           4
        .value_kind:     by_value
      - .offset:         88
        .size:           4
        .value_kind:     by_value
      - .offset:         92
        .size:           12
        .value_kind:     by_value
      - .offset:         104
        .size:           4
        .value_kind:     by_value
      - .offset:         108
        .size:           4
        .value_kind:     by_value
      - .offset:         112
        .size:           4
        .value_kind:     by_value
      - .offset:         116
        .size:           12
        .value_kind:     by_value
      - .offset:         128
        .size:           4
        .value_kind:     by_value
      - .offset:         132
        .size:           4
        .value_kind:     by_value
      - .offset:         136
        .size:           4
        .value_kind:     by_value
      - .offset:         140
        .size:           4
        .value_kind:     by_value
    .group_segment_fixed_size: 0
    .kernarg_segment_align: 8
    .kernarg_segment_size: 144
    .language:       OpenCL C
    .language_version:
      - 2
      - 0
    .max_flat_workgroup_size: 1024
    .name:           _ZL13mul_mat_vec_fI14__hip_bfloat16fLi5ELi256ELb0ELb0EEvPKT_PKfPKi31ggml_cuda_mm_fusion_args_devicePfi15HIP_vector_typeIjLj3EEiiiSB_iiiSB_iiii
    .private_segment_fixed_size: 0
    .sgpr_count:     38
    .sgpr_spill_count: 0
    .symbol:         _ZL13mul_mat_vec_fI14__hip_bfloat16fLi5ELi256ELb0ELb0EEvPKT_PKfPKi31ggml_cuda_mm_fusion_args_devicePfi15HIP_vector_typeIjLj3EEiiiSB_iiiSB_iiii.kd
    .uniform_work_group_size: 1
    .uses_dynamic_stack: false
    .vgpr_count:     24
    .vgpr_spill_count: 0
    .wavefront_size: 32
    .workgroup_processor_mode: 1
  - .args:
      - .address_space:  global
        .offset:         0
        .size:           8
        .value_kind:     global_buffer
      - .address_space:  global
        .offset:         8
        .size:           8
        .value_kind:     global_buffer
      - .address_space:  global
        .offset:         16
        .size:           8
        .value_kind:     global_buffer
      - .offset:         24
        .size:           32
        .value_kind:     by_value
      - .address_space:  global
        .offset:         56
        .size:           8
        .value_kind:     global_buffer
      - .offset:         64
        .size:           4
        .value_kind:     by_value
      - .offset:         68
        .size:           12
        .value_kind:     by_value
      - .offset:         80
        .size:           4
        .value_kind:     by_value
      - .offset:         84
        .size:           4
        .value_kind:     by_value
      - .offset:         88
        .size:           4
        .value_kind:     by_value
      - .offset:         92
        .size:           12
        .value_kind:     by_value
      - .offset:         104
        .size:           4
        .value_kind:     by_value
      - .offset:         108
        .size:           4
        .value_kind:     by_value
      - .offset:         112
        .size:           4
        .value_kind:     by_value
      - .offset:         116
        .size:           12
        .value_kind:     by_value
      - .offset:         128
        .size:           4
        .value_kind:     by_value
      - .offset:         132
        .size:           4
        .value_kind:     by_value
      - .offset:         136
        .size:           4
        .value_kind:     by_value
      - .offset:         140
        .size:           4
        .value_kind:     by_value
    .group_segment_fixed_size: 0
    .kernarg_segment_align: 8
    .kernarg_segment_size: 144
    .language:       OpenCL C
    .language_version:
      - 2
      - 0
    .max_flat_workgroup_size: 1024
    .name:           _ZL13mul_mat_vec_fI14__hip_bfloat16fLi6ELi32ELb0ELb0EEvPKT_PKfPKi31ggml_cuda_mm_fusion_args_devicePfi15HIP_vector_typeIjLj3EEiiiSB_iiiSB_iiii
    .private_segment_fixed_size: 0
    .sgpr_count:     38
    .sgpr_spill_count: 0
    .symbol:         _ZL13mul_mat_vec_fI14__hip_bfloat16fLi6ELi32ELb0ELb0EEvPKT_PKfPKi31ggml_cuda_mm_fusion_args_devicePfi15HIP_vector_typeIjLj3EEiiiSB_iiiSB_iiii.kd
    .uniform_work_group_size: 1
    .uses_dynamic_stack: false
    .vgpr_count:     26
    .vgpr_spill_count: 0
    .wavefront_size: 32
    .workgroup_processor_mode: 1
  - .args:
      - .address_space:  global
        .offset:         0
        .size:           8
        .value_kind:     global_buffer
      - .address_space:  global
        .offset:         8
        .size:           8
        .value_kind:     global_buffer
      - .address_space:  global
        .offset:         16
        .size:           8
        .value_kind:     global_buffer
      - .offset:         24
        .size:           32
        .value_kind:     by_value
      - .address_space:  global
        .offset:         56
        .size:           8
        .value_kind:     global_buffer
      - .offset:         64
        .size:           4
        .value_kind:     by_value
      - .offset:         68
        .size:           12
        .value_kind:     by_value
      - .offset:         80
        .size:           4
        .value_kind:     by_value
      - .offset:         84
        .size:           4
        .value_kind:     by_value
      - .offset:         88
        .size:           4
        .value_kind:     by_value
      - .offset:         92
        .size:           12
        .value_kind:     by_value
      - .offset:         104
        .size:           4
        .value_kind:     by_value
      - .offset:         108
        .size:           4
        .value_kind:     by_value
      - .offset:         112
        .size:           4
        .value_kind:     by_value
      - .offset:         116
        .size:           12
        .value_kind:     by_value
      - .offset:         128
        .size:           4
        .value_kind:     by_value
      - .offset:         132
        .size:           4
        .value_kind:     by_value
      - .offset:         136
        .size:           4
        .value_kind:     by_value
      - .offset:         140
        .size:           4
        .value_kind:     by_value
    .group_segment_fixed_size: 0
    .kernarg_segment_align: 8
    .kernarg_segment_size: 144
    .language:       OpenCL C
    .language_version:
      - 2
      - 0
    .max_flat_workgroup_size: 1024
    .name:           _ZL13mul_mat_vec_fI14__hip_bfloat16fLi6ELi64ELb0ELb0EEvPKT_PKfPKi31ggml_cuda_mm_fusion_args_devicePfi15HIP_vector_typeIjLj3EEiiiSB_iiiSB_iiii
    .private_segment_fixed_size: 0
    .sgpr_count:     38
    .sgpr_spill_count: 0
    .symbol:         _ZL13mul_mat_vec_fI14__hip_bfloat16fLi6ELi64ELb0ELb0EEvPKT_PKfPKi31ggml_cuda_mm_fusion_args_devicePfi15HIP_vector_typeIjLj3EEiiiSB_iiiSB_iiii.kd
    .uniform_work_group_size: 1
    .uses_dynamic_stack: false
    .vgpr_count:     27
    .vgpr_spill_count: 0
    .wavefront_size: 32
    .workgroup_processor_mode: 1
  - .args:
      - .address_space:  global
        .offset:         0
        .size:           8
        .value_kind:     global_buffer
      - .address_space:  global
        .offset:         8
        .size:           8
        .value_kind:     global_buffer
      - .address_space:  global
        .offset:         16
        .size:           8
        .value_kind:     global_buffer
      - .offset:         24
        .size:           32
        .value_kind:     by_value
      - .address_space:  global
        .offset:         56
        .size:           8
        .value_kind:     global_buffer
      - .offset:         64
        .size:           4
        .value_kind:     by_value
      - .offset:         68
        .size:           12
        .value_kind:     by_value
      - .offset:         80
        .size:           4
        .value_kind:     by_value
      - .offset:         84
        .size:           4
        .value_kind:     by_value
      - .offset:         88
        .size:           4
        .value_kind:     by_value
      - .offset:         92
        .size:           12
        .value_kind:     by_value
      - .offset:         104
        .size:           4
        .value_kind:     by_value
      - .offset:         108
        .size:           4
        .value_kind:     by_value
      - .offset:         112
        .size:           4
        .value_kind:     by_value
      - .offset:         116
        .size:           12
        .value_kind:     by_value
      - .offset:         128
        .size:           4
        .value_kind:     by_value
      - .offset:         132
        .size:           4
        .value_kind:     by_value
      - .offset:         136
        .size:           4
        .value_kind:     by_value
      - .offset:         140
        .size:           4
        .value_kind:     by_value
    .group_segment_fixed_size: 0
    .kernarg_segment_align: 8
    .kernarg_segment_size: 144
    .language:       OpenCL C
    .language_version:
      - 2
      - 0
    .max_flat_workgroup_size: 1024
    .name:           _ZL13mul_mat_vec_fI14__hip_bfloat16fLi6ELi96ELb0ELb0EEvPKT_PKfPKi31ggml_cuda_mm_fusion_args_devicePfi15HIP_vector_typeIjLj3EEiiiSB_iiiSB_iiii
    .private_segment_fixed_size: 0
    .sgpr_count:     38
    .sgpr_spill_count: 0
    .symbol:         _ZL13mul_mat_vec_fI14__hip_bfloat16fLi6ELi96ELb0ELb0EEvPKT_PKfPKi31ggml_cuda_mm_fusion_args_devicePfi15HIP_vector_typeIjLj3EEiiiSB_iiiSB_iiii.kd
    .uniform_work_group_size: 1
    .uses_dynamic_stack: false
    .vgpr_count:     27
    .vgpr_spill_count: 0
    .wavefront_size: 32
    .workgroup_processor_mode: 1
  - .args:
      - .address_space:  global
        .offset:         0
        .size:           8
        .value_kind:     global_buffer
      - .address_space:  global
        .offset:         8
        .size:           8
        .value_kind:     global_buffer
      - .address_space:  global
        .offset:         16
        .size:           8
        .value_kind:     global_buffer
      - .offset:         24
        .size:           32
        .value_kind:     by_value
      - .address_space:  global
        .offset:         56
        .size:           8
        .value_kind:     global_buffer
      - .offset:         64
        .size:           4
        .value_kind:     by_value
      - .offset:         68
        .size:           12
        .value_kind:     by_value
      - .offset:         80
        .size:           4
        .value_kind:     by_value
      - .offset:         84
        .size:           4
        .value_kind:     by_value
      - .offset:         88
        .size:           4
        .value_kind:     by_value
      - .offset:         92
        .size:           12
        .value_kind:     by_value
      - .offset:         104
        .size:           4
        .value_kind:     by_value
      - .offset:         108
        .size:           4
        .value_kind:     by_value
      - .offset:         112
        .size:           4
        .value_kind:     by_value
      - .offset:         116
        .size:           12
        .value_kind:     by_value
      - .offset:         128
        .size:           4
        .value_kind:     by_value
      - .offset:         132
        .size:           4
        .value_kind:     by_value
      - .offset:         136
        .size:           4
        .value_kind:     by_value
      - .offset:         140
        .size:           4
        .value_kind:     by_value
    .group_segment_fixed_size: 0
    .kernarg_segment_align: 8
    .kernarg_segment_size: 144
    .language:       OpenCL C
    .language_version:
      - 2
      - 0
    .max_flat_workgroup_size: 1024
    .name:           _ZL13mul_mat_vec_fI14__hip_bfloat16fLi6ELi128ELb0ELb0EEvPKT_PKfPKi31ggml_cuda_mm_fusion_args_devicePfi15HIP_vector_typeIjLj3EEiiiSB_iiiSB_iiii
    .private_segment_fixed_size: 0
    .sgpr_count:     38
    .sgpr_spill_count: 0
    .symbol:         _ZL13mul_mat_vec_fI14__hip_bfloat16fLi6ELi128ELb0ELb0EEvPKT_PKfPKi31ggml_cuda_mm_fusion_args_devicePfi15HIP_vector_typeIjLj3EEiiiSB_iiiSB_iiii.kd
    .uniform_work_group_size: 1
    .uses_dynamic_stack: false
    .vgpr_count:     27
    .vgpr_spill_count: 0
    .wavefront_size: 32
    .workgroup_processor_mode: 1
  - .args:
      - .address_space:  global
        .offset:         0
        .size:           8
        .value_kind:     global_buffer
      - .address_space:  global
        .offset:         8
        .size:           8
        .value_kind:     global_buffer
      - .address_space:  global
        .offset:         16
        .size:           8
        .value_kind:     global_buffer
      - .offset:         24
        .size:           32
        .value_kind:     by_value
      - .address_space:  global
        .offset:         56
        .size:           8
        .value_kind:     global_buffer
      - .offset:         64
        .size:           4
        .value_kind:     by_value
      - .offset:         68
        .size:           12
        .value_kind:     by_value
      - .offset:         80
        .size:           4
        .value_kind:     by_value
      - .offset:         84
        .size:           4
        .value_kind:     by_value
      - .offset:         88
        .size:           4
        .value_kind:     by_value
      - .offset:         92
        .size:           12
        .value_kind:     by_value
      - .offset:         104
        .size:           4
        .value_kind:     by_value
      - .offset:         108
        .size:           4
        .value_kind:     by_value
      - .offset:         112
        .size:           4
        .value_kind:     by_value
      - .offset:         116
        .size:           12
        .value_kind:     by_value
      - .offset:         128
        .size:           4
        .value_kind:     by_value
      - .offset:         132
        .size:           4
        .value_kind:     by_value
      - .offset:         136
        .size:           4
        .value_kind:     by_value
      - .offset:         140
        .size:           4
        .value_kind:     by_value
    .group_segment_fixed_size: 0
    .kernarg_segment_align: 8
    .kernarg_segment_size: 144
    .language:       OpenCL C
    .language_version:
      - 2
      - 0
    .max_flat_workgroup_size: 1024
    .name:           _ZL13mul_mat_vec_fI14__hip_bfloat16fLi6ELi160ELb0ELb0EEvPKT_PKfPKi31ggml_cuda_mm_fusion_args_devicePfi15HIP_vector_typeIjLj3EEiiiSB_iiiSB_iiii
    .private_segment_fixed_size: 0
    .sgpr_count:     38
    .sgpr_spill_count: 0
    .symbol:         _ZL13mul_mat_vec_fI14__hip_bfloat16fLi6ELi160ELb0ELb0EEvPKT_PKfPKi31ggml_cuda_mm_fusion_args_devicePfi15HIP_vector_typeIjLj3EEiiiSB_iiiSB_iiii.kd
    .uniform_work_group_size: 1
    .uses_dynamic_stack: false
    .vgpr_count:     27
    .vgpr_spill_count: 0
    .wavefront_size: 32
    .workgroup_processor_mode: 1
  - .args:
      - .address_space:  global
        .offset:         0
        .size:           8
        .value_kind:     global_buffer
      - .address_space:  global
        .offset:         8
        .size:           8
        .value_kind:     global_buffer
      - .address_space:  global
        .offset:         16
        .size:           8
        .value_kind:     global_buffer
      - .offset:         24
        .size:           32
        .value_kind:     by_value
      - .address_space:  global
        .offset:         56
        .size:           8
        .value_kind:     global_buffer
      - .offset:         64
        .size:           4
        .value_kind:     by_value
      - .offset:         68
        .size:           12
        .value_kind:     by_value
      - .offset:         80
        .size:           4
        .value_kind:     by_value
      - .offset:         84
        .size:           4
        .value_kind:     by_value
      - .offset:         88
        .size:           4
        .value_kind:     by_value
      - .offset:         92
        .size:           12
        .value_kind:     by_value
      - .offset:         104
        .size:           4
        .value_kind:     by_value
      - .offset:         108
        .size:           4
        .value_kind:     by_value
      - .offset:         112
        .size:           4
        .value_kind:     by_value
      - .offset:         116
        .size:           12
        .value_kind:     by_value
      - .offset:         128
        .size:           4
        .value_kind:     by_value
      - .offset:         132
        .size:           4
        .value_kind:     by_value
      - .offset:         136
        .size:           4
        .value_kind:     by_value
      - .offset:         140
        .size:           4
        .value_kind:     by_value
    .group_segment_fixed_size: 0
    .kernarg_segment_align: 8
    .kernarg_segment_size: 144
    .language:       OpenCL C
    .language_version:
      - 2
      - 0
    .max_flat_workgroup_size: 1024
    .name:           _ZL13mul_mat_vec_fI14__hip_bfloat16fLi6ELi192ELb0ELb0EEvPKT_PKfPKi31ggml_cuda_mm_fusion_args_devicePfi15HIP_vector_typeIjLj3EEiiiSB_iiiSB_iiii
    .private_segment_fixed_size: 0
    .sgpr_count:     38
    .sgpr_spill_count: 0
    .symbol:         _ZL13mul_mat_vec_fI14__hip_bfloat16fLi6ELi192ELb0ELb0EEvPKT_PKfPKi31ggml_cuda_mm_fusion_args_devicePfi15HIP_vector_typeIjLj3EEiiiSB_iiiSB_iiii.kd
    .uniform_work_group_size: 1
    .uses_dynamic_stack: false
    .vgpr_count:     27
    .vgpr_spill_count: 0
    .wavefront_size: 32
    .workgroup_processor_mode: 1
  - .args:
      - .address_space:  global
        .offset:         0
        .size:           8
        .value_kind:     global_buffer
      - .address_space:  global
        .offset:         8
        .size:           8
        .value_kind:     global_buffer
      - .address_space:  global
        .offset:         16
        .size:           8
        .value_kind:     global_buffer
      - .offset:         24
        .size:           32
        .value_kind:     by_value
      - .address_space:  global
        .offset:         56
        .size:           8
        .value_kind:     global_buffer
      - .offset:         64
        .size:           4
        .value_kind:     by_value
      - .offset:         68
        .size:           12
        .value_kind:     by_value
      - .offset:         80
        .size:           4
        .value_kind:     by_value
      - .offset:         84
        .size:           4
        .value_kind:     by_value
      - .offset:         88
        .size:           4
        .value_kind:     by_value
      - .offset:         92
        .size:           12
        .value_kind:     by_value
      - .offset:         104
        .size:           4
        .value_kind:     by_value
      - .offset:         108
        .size:           4
        .value_kind:     by_value
      - .offset:         112
        .size:           4
        .value_kind:     by_value
      - .offset:         116
        .size:           12
        .value_kind:     by_value
      - .offset:         128
        .size:           4
        .value_kind:     by_value
      - .offset:         132
        .size:           4
        .value_kind:     by_value
      - .offset:         136
        .size:           4
        .value_kind:     by_value
      - .offset:         140
        .size:           4
        .value_kind:     by_value
    .group_segment_fixed_size: 0
    .kernarg_segment_align: 8
    .kernarg_segment_size: 144
    .language:       OpenCL C
    .language_version:
      - 2
      - 0
    .max_flat_workgroup_size: 1024
    .name:           _ZL13mul_mat_vec_fI14__hip_bfloat16fLi6ELi224ELb0ELb0EEvPKT_PKfPKi31ggml_cuda_mm_fusion_args_devicePfi15HIP_vector_typeIjLj3EEiiiSB_iiiSB_iiii
    .private_segment_fixed_size: 0
    .sgpr_count:     38
    .sgpr_spill_count: 0
    .symbol:         _ZL13mul_mat_vec_fI14__hip_bfloat16fLi6ELi224ELb0ELb0EEvPKT_PKfPKi31ggml_cuda_mm_fusion_args_devicePfi15HIP_vector_typeIjLj3EEiiiSB_iiiSB_iiii.kd
    .uniform_work_group_size: 1
    .uses_dynamic_stack: false
    .vgpr_count:     27
    .vgpr_spill_count: 0
    .wavefront_size: 32
    .workgroup_processor_mode: 1
  - .args:
      - .address_space:  global
        .offset:         0
        .size:           8
        .value_kind:     global_buffer
      - .address_space:  global
        .offset:         8
        .size:           8
        .value_kind:     global_buffer
      - .address_space:  global
        .offset:         16
        .size:           8
        .value_kind:     global_buffer
      - .offset:         24
        .size:           32
        .value_kind:     by_value
      - .address_space:  global
        .offset:         56
        .size:           8
        .value_kind:     global_buffer
      - .offset:         64
        .size:           4
        .value_kind:     by_value
      - .offset:         68
        .size:           12
        .value_kind:     by_value
      - .offset:         80
        .size:           4
        .value_kind:     by_value
      - .offset:         84
        .size:           4
        .value_kind:     by_value
      - .offset:         88
        .size:           4
        .value_kind:     by_value
      - .offset:         92
        .size:           12
        .value_kind:     by_value
      - .offset:         104
        .size:           4
        .value_kind:     by_value
      - .offset:         108
        .size:           4
        .value_kind:     by_value
      - .offset:         112
        .size:           4
        .value_kind:     by_value
      - .offset:         116
        .size:           12
        .value_kind:     by_value
      - .offset:         128
        .size:           4
        .value_kind:     by_value
      - .offset:         132
        .size:           4
        .value_kind:     by_value
      - .offset:         136
        .size:           4
        .value_kind:     by_value
      - .offset:         140
        .size:           4
        .value_kind:     by_value
    .group_segment_fixed_size: 0
    .kernarg_segment_align: 8
    .kernarg_segment_size: 144
    .language:       OpenCL C
    .language_version:
      - 2
      - 0
    .max_flat_workgroup_size: 1024
    .name:           _ZL13mul_mat_vec_fI14__hip_bfloat16fLi6ELi256ELb0ELb0EEvPKT_PKfPKi31ggml_cuda_mm_fusion_args_devicePfi15HIP_vector_typeIjLj3EEiiiSB_iiiSB_iiii
    .private_segment_fixed_size: 0
    .sgpr_count:     38
    .sgpr_spill_count: 0
    .symbol:         _ZL13mul_mat_vec_fI14__hip_bfloat16fLi6ELi256ELb0ELb0EEvPKT_PKfPKi31ggml_cuda_mm_fusion_args_devicePfi15HIP_vector_typeIjLj3EEiiiSB_iiiSB_iiii.kd
    .uniform_work_group_size: 1
    .uses_dynamic_stack: false
    .vgpr_count:     27
    .vgpr_spill_count: 0
    .wavefront_size: 32
    .workgroup_processor_mode: 1
  - .args:
      - .address_space:  global
        .offset:         0
        .size:           8
        .value_kind:     global_buffer
      - .address_space:  global
        .offset:         8
        .size:           8
        .value_kind:     global_buffer
      - .address_space:  global
        .offset:         16
        .size:           8
        .value_kind:     global_buffer
      - .offset:         24
        .size:           32
        .value_kind:     by_value
      - .address_space:  global
        .offset:         56
        .size:           8
        .value_kind:     global_buffer
      - .offset:         64
        .size:           4
        .value_kind:     by_value
      - .offset:         68
        .size:           12
        .value_kind:     by_value
      - .offset:         80
        .size:           4
        .value_kind:     by_value
      - .offset:         84
        .size:           4
        .value_kind:     by_value
      - .offset:         88
        .size:           4
        .value_kind:     by_value
      - .offset:         92
        .size:           12
        .value_kind:     by_value
      - .offset:         104
        .size:           4
        .value_kind:     by_value
      - .offset:         108
        .size:           4
        .value_kind:     by_value
      - .offset:         112
        .size:           4
        .value_kind:     by_value
      - .offset:         116
        .size:           12
        .value_kind:     by_value
      - .offset:         128
        .size:           4
        .value_kind:     by_value
      - .offset:         132
        .size:           4
        .value_kind:     by_value
      - .offset:         136
        .size:           4
        .value_kind:     by_value
      - .offset:         140
        .size:           4
        .value_kind:     by_value
    .group_segment_fixed_size: 0
    .kernarg_segment_align: 8
    .kernarg_segment_size: 144
    .language:       OpenCL C
    .language_version:
      - 2
      - 0
    .max_flat_workgroup_size: 1024
    .name:           _ZL13mul_mat_vec_fI14__hip_bfloat16fLi7ELi32ELb0ELb0EEvPKT_PKfPKi31ggml_cuda_mm_fusion_args_devicePfi15HIP_vector_typeIjLj3EEiiiSB_iiiSB_iiii
    .private_segment_fixed_size: 0
    .sgpr_count:     38
    .sgpr_spill_count: 0
    .symbol:         _ZL13mul_mat_vec_fI14__hip_bfloat16fLi7ELi32ELb0ELb0EEvPKT_PKfPKi31ggml_cuda_mm_fusion_args_devicePfi15HIP_vector_typeIjLj3EEiiiSB_iiiSB_iiii.kd
    .uniform_work_group_size: 1
    .uses_dynamic_stack: false
    .vgpr_count:     29
    .vgpr_spill_count: 0
    .wavefront_size: 32
    .workgroup_processor_mode: 1
  - .args:
      - .address_space:  global
        .offset:         0
        .size:           8
        .value_kind:     global_buffer
      - .address_space:  global
        .offset:         8
        .size:           8
        .value_kind:     global_buffer
      - .address_space:  global
        .offset:         16
        .size:           8
        .value_kind:     global_buffer
      - .offset:         24
        .size:           32
        .value_kind:     by_value
      - .address_space:  global
        .offset:         56
        .size:           8
        .value_kind:     global_buffer
      - .offset:         64
        .size:           4
        .value_kind:     by_value
      - .offset:         68
        .size:           12
        .value_kind:     by_value
      - .offset:         80
        .size:           4
        .value_kind:     by_value
      - .offset:         84
        .size:           4
        .value_kind:     by_value
      - .offset:         88
        .size:           4
        .value_kind:     by_value
      - .offset:         92
        .size:           12
        .value_kind:     by_value
      - .offset:         104
        .size:           4
        .value_kind:     by_value
      - .offset:         108
        .size:           4
        .value_kind:     by_value
      - .offset:         112
        .size:           4
        .value_kind:     by_value
      - .offset:         116
        .size:           12
        .value_kind:     by_value
      - .offset:         128
        .size:           4
        .value_kind:     by_value
      - .offset:         132
        .size:           4
        .value_kind:     by_value
      - .offset:         136
        .size:           4
        .value_kind:     by_value
      - .offset:         140
        .size:           4
        .value_kind:     by_value
    .group_segment_fixed_size: 0
    .kernarg_segment_align: 8
    .kernarg_segment_size: 144
    .language:       OpenCL C
    .language_version:
      - 2
      - 0
    .max_flat_workgroup_size: 1024
    .name:           _ZL13mul_mat_vec_fI14__hip_bfloat16fLi7ELi64ELb0ELb0EEvPKT_PKfPKi31ggml_cuda_mm_fusion_args_devicePfi15HIP_vector_typeIjLj3EEiiiSB_iiiSB_iiii
    .private_segment_fixed_size: 0
    .sgpr_count:     38
    .sgpr_spill_count: 0
    .symbol:         _ZL13mul_mat_vec_fI14__hip_bfloat16fLi7ELi64ELb0ELb0EEvPKT_PKfPKi31ggml_cuda_mm_fusion_args_devicePfi15HIP_vector_typeIjLj3EEiiiSB_iiiSB_iiii.kd
    .uniform_work_group_size: 1
    .uses_dynamic_stack: false
    .vgpr_count:     30
    .vgpr_spill_count: 0
    .wavefront_size: 32
    .workgroup_processor_mode: 1
  - .args:
      - .address_space:  global
        .offset:         0
        .size:           8
        .value_kind:     global_buffer
      - .address_space:  global
        .offset:         8
        .size:           8
        .value_kind:     global_buffer
      - .address_space:  global
        .offset:         16
        .size:           8
        .value_kind:     global_buffer
      - .offset:         24
        .size:           32
        .value_kind:     by_value
      - .address_space:  global
        .offset:         56
        .size:           8
        .value_kind:     global_buffer
      - .offset:         64
        .size:           4
        .value_kind:     by_value
      - .offset:         68
        .size:           12
        .value_kind:     by_value
      - .offset:         80
        .size:           4
        .value_kind:     by_value
      - .offset:         84
        .size:           4
        .value_kind:     by_value
      - .offset:         88
        .size:           4
        .value_kind:     by_value
      - .offset:         92
        .size:           12
        .value_kind:     by_value
      - .offset:         104
        .size:           4
        .value_kind:     by_value
      - .offset:         108
        .size:           4
        .value_kind:     by_value
      - .offset:         112
        .size:           4
        .value_kind:     by_value
      - .offset:         116
        .size:           12
        .value_kind:     by_value
      - .offset:         128
        .size:           4
        .value_kind:     by_value
      - .offset:         132
        .size:           4
        .value_kind:     by_value
      - .offset:         136
        .size:           4
        .value_kind:     by_value
      - .offset:         140
        .size:           4
        .value_kind:     by_value
    .group_segment_fixed_size: 0
    .kernarg_segment_align: 8
    .kernarg_segment_size: 144
    .language:       OpenCL C
    .language_version:
      - 2
      - 0
    .max_flat_workgroup_size: 1024
    .name:           _ZL13mul_mat_vec_fI14__hip_bfloat16fLi7ELi96ELb0ELb0EEvPKT_PKfPKi31ggml_cuda_mm_fusion_args_devicePfi15HIP_vector_typeIjLj3EEiiiSB_iiiSB_iiii
    .private_segment_fixed_size: 0
    .sgpr_count:     38
    .sgpr_spill_count: 0
    .symbol:         _ZL13mul_mat_vec_fI14__hip_bfloat16fLi7ELi96ELb0ELb0EEvPKT_PKfPKi31ggml_cuda_mm_fusion_args_devicePfi15HIP_vector_typeIjLj3EEiiiSB_iiiSB_iiii.kd
    .uniform_work_group_size: 1
    .uses_dynamic_stack: false
    .vgpr_count:     30
    .vgpr_spill_count: 0
    .wavefront_size: 32
    .workgroup_processor_mode: 1
  - .args:
      - .address_space:  global
        .offset:         0
        .size:           8
        .value_kind:     global_buffer
      - .address_space:  global
        .offset:         8
        .size:           8
        .value_kind:     global_buffer
      - .address_space:  global
        .offset:         16
        .size:           8
        .value_kind:     global_buffer
      - .offset:         24
        .size:           32
        .value_kind:     by_value
      - .address_space:  global
        .offset:         56
        .size:           8
        .value_kind:     global_buffer
      - .offset:         64
        .size:           4
        .value_kind:     by_value
      - .offset:         68
        .size:           12
        .value_kind:     by_value
      - .offset:         80
        .size:           4
        .value_kind:     by_value
      - .offset:         84
        .size:           4
        .value_kind:     by_value
      - .offset:         88
        .size:           4
        .value_kind:     by_value
      - .offset:         92
        .size:           12
        .value_kind:     by_value
      - .offset:         104
        .size:           4
        .value_kind:     by_value
      - .offset:         108
        .size:           4
        .value_kind:     by_value
      - .offset:         112
        .size:           4
        .value_kind:     by_value
      - .offset:         116
        .size:           12
        .value_kind:     by_value
      - .offset:         128
        .size:           4
        .value_kind:     by_value
      - .offset:         132
        .size:           4
        .value_kind:     by_value
      - .offset:         136
        .size:           4
        .value_kind:     by_value
      - .offset:         140
        .size:           4
        .value_kind:     by_value
    .group_segment_fixed_size: 0
    .kernarg_segment_align: 8
    .kernarg_segment_size: 144
    .language:       OpenCL C
    .language_version:
      - 2
      - 0
    .max_flat_workgroup_size: 1024
    .name:           _ZL13mul_mat_vec_fI14__hip_bfloat16fLi7ELi128ELb0ELb0EEvPKT_PKfPKi31ggml_cuda_mm_fusion_args_devicePfi15HIP_vector_typeIjLj3EEiiiSB_iiiSB_iiii
    .private_segment_fixed_size: 0
    .sgpr_count:     38
    .sgpr_spill_count: 0
    .symbol:         _ZL13mul_mat_vec_fI14__hip_bfloat16fLi7ELi128ELb0ELb0EEvPKT_PKfPKi31ggml_cuda_mm_fusion_args_devicePfi15HIP_vector_typeIjLj3EEiiiSB_iiiSB_iiii.kd
    .uniform_work_group_size: 1
    .uses_dynamic_stack: false
    .vgpr_count:     30
    .vgpr_spill_count: 0
    .wavefront_size: 32
    .workgroup_processor_mode: 1
  - .args:
      - .address_space:  global
        .offset:         0
        .size:           8
        .value_kind:     global_buffer
      - .address_space:  global
        .offset:         8
        .size:           8
        .value_kind:     global_buffer
      - .address_space:  global
        .offset:         16
        .size:           8
        .value_kind:     global_buffer
      - .offset:         24
        .size:           32
        .value_kind:     by_value
      - .address_space:  global
        .offset:         56
        .size:           8
        .value_kind:     global_buffer
      - .offset:         64
        .size:           4
        .value_kind:     by_value
      - .offset:         68
        .size:           12
        .value_kind:     by_value
      - .offset:         80
        .size:           4
        .value_kind:     by_value
      - .offset:         84
        .size:           4
        .value_kind:     by_value
      - .offset:         88
        .size:           4
        .value_kind:     by_value
      - .offset:         92
        .size:           12
        .value_kind:     by_value
      - .offset:         104
        .size:           4
        .value_kind:     by_value
      - .offset:         108
        .size:           4
        .value_kind:     by_value
      - .offset:         112
        .size:           4
        .value_kind:     by_value
      - .offset:         116
        .size:           12
        .value_kind:     by_value
      - .offset:         128
        .size:           4
        .value_kind:     by_value
      - .offset:         132
        .size:           4
        .value_kind:     by_value
      - .offset:         136
        .size:           4
        .value_kind:     by_value
      - .offset:         140
        .size:           4
        .value_kind:     by_value
    .group_segment_fixed_size: 0
    .kernarg_segment_align: 8
    .kernarg_segment_size: 144
    .language:       OpenCL C
    .language_version:
      - 2
      - 0
    .max_flat_workgroup_size: 1024
    .name:           _ZL13mul_mat_vec_fI14__hip_bfloat16fLi7ELi160ELb0ELb0EEvPKT_PKfPKi31ggml_cuda_mm_fusion_args_devicePfi15HIP_vector_typeIjLj3EEiiiSB_iiiSB_iiii
    .private_segment_fixed_size: 0
    .sgpr_count:     38
    .sgpr_spill_count: 0
    .symbol:         _ZL13mul_mat_vec_fI14__hip_bfloat16fLi7ELi160ELb0ELb0EEvPKT_PKfPKi31ggml_cuda_mm_fusion_args_devicePfi15HIP_vector_typeIjLj3EEiiiSB_iiiSB_iiii.kd
    .uniform_work_group_size: 1
    .uses_dynamic_stack: false
    .vgpr_count:     30
    .vgpr_spill_count: 0
    .wavefront_size: 32
    .workgroup_processor_mode: 1
  - .args:
      - .address_space:  global
        .offset:         0
        .size:           8
        .value_kind:     global_buffer
      - .address_space:  global
        .offset:         8
        .size:           8
        .value_kind:     global_buffer
      - .address_space:  global
        .offset:         16
        .size:           8
        .value_kind:     global_buffer
      - .offset:         24
        .size:           32
        .value_kind:     by_value
      - .address_space:  global
        .offset:         56
        .size:           8
        .value_kind:     global_buffer
      - .offset:         64
        .size:           4
        .value_kind:     by_value
      - .offset:         68
        .size:           12
        .value_kind:     by_value
      - .offset:         80
        .size:           4
        .value_kind:     by_value
      - .offset:         84
        .size:           4
        .value_kind:     by_value
      - .offset:         88
        .size:           4
        .value_kind:     by_value
      - .offset:         92
        .size:           12
        .value_kind:     by_value
      - .offset:         104
        .size:           4
        .value_kind:     by_value
      - .offset:         108
        .size:           4
        .value_kind:     by_value
      - .offset:         112
        .size:           4
        .value_kind:     by_value
      - .offset:         116
        .size:           12
        .value_kind:     by_value
      - .offset:         128
        .size:           4
        .value_kind:     by_value
      - .offset:         132
        .size:           4
        .value_kind:     by_value
      - .offset:         136
        .size:           4
        .value_kind:     by_value
      - .offset:         140
        .size:           4
        .value_kind:     by_value
    .group_segment_fixed_size: 0
    .kernarg_segment_align: 8
    .kernarg_segment_size: 144
    .language:       OpenCL C
    .language_version:
      - 2
      - 0
    .max_flat_workgroup_size: 1024
    .name:           _ZL13mul_mat_vec_fI14__hip_bfloat16fLi7ELi192ELb0ELb0EEvPKT_PKfPKi31ggml_cuda_mm_fusion_args_devicePfi15HIP_vector_typeIjLj3EEiiiSB_iiiSB_iiii
    .private_segment_fixed_size: 0
    .sgpr_count:     38
    .sgpr_spill_count: 0
    .symbol:         _ZL13mul_mat_vec_fI14__hip_bfloat16fLi7ELi192ELb0ELb0EEvPKT_PKfPKi31ggml_cuda_mm_fusion_args_devicePfi15HIP_vector_typeIjLj3EEiiiSB_iiiSB_iiii.kd
    .uniform_work_group_size: 1
    .uses_dynamic_stack: false
    .vgpr_count:     30
    .vgpr_spill_count: 0
    .wavefront_size: 32
    .workgroup_processor_mode: 1
  - .args:
      - .address_space:  global
        .offset:         0
        .size:           8
        .value_kind:     global_buffer
      - .address_space:  global
        .offset:         8
        .size:           8
        .value_kind:     global_buffer
      - .address_space:  global
        .offset:         16
        .size:           8
        .value_kind:     global_buffer
      - .offset:         24
        .size:           32
        .value_kind:     by_value
      - .address_space:  global
        .offset:         56
        .size:           8
        .value_kind:     global_buffer
      - .offset:         64
        .size:           4
        .value_kind:     by_value
      - .offset:         68
        .size:           12
        .value_kind:     by_value
      - .offset:         80
        .size:           4
        .value_kind:     by_value
      - .offset:         84
        .size:           4
        .value_kind:     by_value
      - .offset:         88
        .size:           4
        .value_kind:     by_value
      - .offset:         92
        .size:           12
        .value_kind:     by_value
      - .offset:         104
        .size:           4
        .value_kind:     by_value
      - .offset:         108
        .size:           4
        .value_kind:     by_value
      - .offset:         112
        .size:           4
        .value_kind:     by_value
      - .offset:         116
        .size:           12
        .value_kind:     by_value
      - .offset:         128
        .size:           4
        .value_kind:     by_value
      - .offset:         132
        .size:           4
        .value_kind:     by_value
      - .offset:         136
        .size:           4
        .value_kind:     by_value
      - .offset:         140
        .size:           4
        .value_kind:     by_value
    .group_segment_fixed_size: 0
    .kernarg_segment_align: 8
    .kernarg_segment_size: 144
    .language:       OpenCL C
    .language_version:
      - 2
      - 0
    .max_flat_workgroup_size: 1024
    .name:           _ZL13mul_mat_vec_fI14__hip_bfloat16fLi7ELi224ELb0ELb0EEvPKT_PKfPKi31ggml_cuda_mm_fusion_args_devicePfi15HIP_vector_typeIjLj3EEiiiSB_iiiSB_iiii
    .private_segment_fixed_size: 0
    .sgpr_count:     38
    .sgpr_spill_count: 0
    .symbol:         _ZL13mul_mat_vec_fI14__hip_bfloat16fLi7ELi224ELb0ELb0EEvPKT_PKfPKi31ggml_cuda_mm_fusion_args_devicePfi15HIP_vector_typeIjLj3EEiiiSB_iiiSB_iiii.kd
    .uniform_work_group_size: 1
    .uses_dynamic_stack: false
    .vgpr_count:     30
    .vgpr_spill_count: 0
    .wavefront_size: 32
    .workgroup_processor_mode: 1
  - .args:
      - .address_space:  global
        .offset:         0
        .size:           8
        .value_kind:     global_buffer
      - .address_space:  global
        .offset:         8
        .size:           8
        .value_kind:     global_buffer
      - .address_space:  global
        .offset:         16
        .size:           8
        .value_kind:     global_buffer
      - .offset:         24
        .size:           32
        .value_kind:     by_value
      - .address_space:  global
        .offset:         56
        .size:           8
        .value_kind:     global_buffer
      - .offset:         64
        .size:           4
        .value_kind:     by_value
      - .offset:         68
        .size:           12
        .value_kind:     by_value
      - .offset:         80
        .size:           4
        .value_kind:     by_value
      - .offset:         84
        .size:           4
        .value_kind:     by_value
      - .offset:         88
        .size:           4
        .value_kind:     by_value
      - .offset:         92
        .size:           12
        .value_kind:     by_value
      - .offset:         104
        .size:           4
        .value_kind:     by_value
      - .offset:         108
        .size:           4
        .value_kind:     by_value
      - .offset:         112
        .size:           4
        .value_kind:     by_value
      - .offset:         116
        .size:           12
        .value_kind:     by_value
      - .offset:         128
        .size:           4
        .value_kind:     by_value
      - .offset:         132
        .size:           4
        .value_kind:     by_value
      - .offset:         136
        .size:           4
        .value_kind:     by_value
      - .offset:         140
        .size:           4
        .value_kind:     by_value
    .group_segment_fixed_size: 0
    .kernarg_segment_align: 8
    .kernarg_segment_size: 144
    .language:       OpenCL C
    .language_version:
      - 2
      - 0
    .max_flat_workgroup_size: 1024
    .name:           _ZL13mul_mat_vec_fI14__hip_bfloat16fLi7ELi256ELb0ELb0EEvPKT_PKfPKi31ggml_cuda_mm_fusion_args_devicePfi15HIP_vector_typeIjLj3EEiiiSB_iiiSB_iiii
    .private_segment_fixed_size: 0
    .sgpr_count:     38
    .sgpr_spill_count: 0
    .symbol:         _ZL13mul_mat_vec_fI14__hip_bfloat16fLi7ELi256ELb0ELb0EEvPKT_PKfPKi31ggml_cuda_mm_fusion_args_devicePfi15HIP_vector_typeIjLj3EEiiiSB_iiiSB_iiii.kd
    .uniform_work_group_size: 1
    .uses_dynamic_stack: false
    .vgpr_count:     30
    .vgpr_spill_count: 0
    .wavefront_size: 32
    .workgroup_processor_mode: 1
  - .args:
      - .address_space:  global
        .offset:         0
        .size:           8
        .value_kind:     global_buffer
      - .address_space:  global
        .offset:         8
        .size:           8
        .value_kind:     global_buffer
      - .address_space:  global
        .offset:         16
        .size:           8
        .value_kind:     global_buffer
      - .offset:         24
        .size:           32
        .value_kind:     by_value
      - .address_space:  global
        .offset:         56
        .size:           8
        .value_kind:     global_buffer
      - .offset:         64
        .size:           4
        .value_kind:     by_value
      - .offset:         68
        .size:           12
        .value_kind:     by_value
      - .offset:         80
        .size:           4
        .value_kind:     by_value
      - .offset:         84
        .size:           4
        .value_kind:     by_value
      - .offset:         88
        .size:           4
        .value_kind:     by_value
      - .offset:         92
        .size:           12
        .value_kind:     by_value
      - .offset:         104
        .size:           4
        .value_kind:     by_value
      - .offset:         108
        .size:           4
        .value_kind:     by_value
      - .offset:         112
        .size:           4
        .value_kind:     by_value
      - .offset:         116
        .size:           12
        .value_kind:     by_value
      - .offset:         128
        .size:           4
        .value_kind:     by_value
      - .offset:         132
        .size:           4
        .value_kind:     by_value
      - .offset:         136
        .size:           4
        .value_kind:     by_value
      - .offset:         140
        .size:           4
        .value_kind:     by_value
    .group_segment_fixed_size: 0
    .kernarg_segment_align: 8
    .kernarg_segment_size: 144
    .language:       OpenCL C
    .language_version:
      - 2
      - 0
    .max_flat_workgroup_size: 1024
    .name:           _ZL13mul_mat_vec_fI14__hip_bfloat16fLi8ELi32ELb0ELb0EEvPKT_PKfPKi31ggml_cuda_mm_fusion_args_devicePfi15HIP_vector_typeIjLj3EEiiiSB_iiiSB_iiii
    .private_segment_fixed_size: 0
    .sgpr_count:     38
    .sgpr_spill_count: 0
    .symbol:         _ZL13mul_mat_vec_fI14__hip_bfloat16fLi8ELi32ELb0ELb0EEvPKT_PKfPKi31ggml_cuda_mm_fusion_args_devicePfi15HIP_vector_typeIjLj3EEiiiSB_iiiSB_iiii.kd
    .uniform_work_group_size: 1
    .uses_dynamic_stack: false
    .vgpr_count:     32
    .vgpr_spill_count: 0
    .wavefront_size: 32
    .workgroup_processor_mode: 1
  - .args:
      - .address_space:  global
        .offset:         0
        .size:           8
        .value_kind:     global_buffer
      - .address_space:  global
        .offset:         8
        .size:           8
        .value_kind:     global_buffer
      - .address_space:  global
        .offset:         16
        .size:           8
        .value_kind:     global_buffer
      - .offset:         24
        .size:           32
        .value_kind:     by_value
      - .address_space:  global
        .offset:         56
        .size:           8
        .value_kind:     global_buffer
      - .offset:         64
        .size:           4
        .value_kind:     by_value
      - .offset:         68
        .size:           12
        .value_kind:     by_value
      - .offset:         80
        .size:           4
        .value_kind:     by_value
      - .offset:         84
        .size:           4
        .value_kind:     by_value
      - .offset:         88
        .size:           4
        .value_kind:     by_value
      - .offset:         92
        .size:           12
        .value_kind:     by_value
      - .offset:         104
        .size:           4
        .value_kind:     by_value
      - .offset:         108
        .size:           4
        .value_kind:     by_value
      - .offset:         112
        .size:           4
        .value_kind:     by_value
      - .offset:         116
        .size:           12
        .value_kind:     by_value
      - .offset:         128
        .size:           4
        .value_kind:     by_value
      - .offset:         132
        .size:           4
        .value_kind:     by_value
      - .offset:         136
        .size:           4
        .value_kind:     by_value
      - .offset:         140
        .size:           4
        .value_kind:     by_value
    .group_segment_fixed_size: 0
    .kernarg_segment_align: 8
    .kernarg_segment_size: 144
    .language:       OpenCL C
    .language_version:
      - 2
      - 0
    .max_flat_workgroup_size: 1024
    .name:           _ZL13mul_mat_vec_fI14__hip_bfloat16fLi8ELi64ELb0ELb0EEvPKT_PKfPKi31ggml_cuda_mm_fusion_args_devicePfi15HIP_vector_typeIjLj3EEiiiSB_iiiSB_iiii
    .private_segment_fixed_size: 0
    .sgpr_count:     40
    .sgpr_spill_count: 0
    .symbol:         _ZL13mul_mat_vec_fI14__hip_bfloat16fLi8ELi64ELb0ELb0EEvPKT_PKfPKi31ggml_cuda_mm_fusion_args_devicePfi15HIP_vector_typeIjLj3EEiiiSB_iiiSB_iiii.kd
    .uniform_work_group_size: 1
    .uses_dynamic_stack: false
    .vgpr_count:     33
    .vgpr_spill_count: 0
    .wavefront_size: 32
    .workgroup_processor_mode: 1
  - .args:
      - .address_space:  global
        .offset:         0
        .size:           8
        .value_kind:     global_buffer
      - .address_space:  global
        .offset:         8
        .size:           8
        .value_kind:     global_buffer
      - .address_space:  global
        .offset:         16
        .size:           8
        .value_kind:     global_buffer
      - .offset:         24
        .size:           32
        .value_kind:     by_value
      - .address_space:  global
        .offset:         56
        .size:           8
        .value_kind:     global_buffer
      - .offset:         64
        .size:           4
        .value_kind:     by_value
      - .offset:         68
        .size:           12
        .value_kind:     by_value
      - .offset:         80
        .size:           4
        .value_kind:     by_value
      - .offset:         84
        .size:           4
        .value_kind:     by_value
      - .offset:         88
        .size:           4
        .value_kind:     by_value
      - .offset:         92
        .size:           12
        .value_kind:     by_value
      - .offset:         104
        .size:           4
        .value_kind:     by_value
      - .offset:         108
        .size:           4
        .value_kind:     by_value
      - .offset:         112
        .size:           4
        .value_kind:     by_value
      - .offset:         116
        .size:           12
        .value_kind:     by_value
      - .offset:         128
        .size:           4
        .value_kind:     by_value
      - .offset:         132
        .size:           4
        .value_kind:     by_value
      - .offset:         136
        .size:           4
        .value_kind:     by_value
      - .offset:         140
        .size:           4
        .value_kind:     by_value
    .group_segment_fixed_size: 0
    .kernarg_segment_align: 8
    .kernarg_segment_size: 144
    .language:       OpenCL C
    .language_version:
      - 2
      - 0
    .max_flat_workgroup_size: 1024
    .name:           _ZL13mul_mat_vec_fI14__hip_bfloat16fLi8ELi96ELb0ELb0EEvPKT_PKfPKi31ggml_cuda_mm_fusion_args_devicePfi15HIP_vector_typeIjLj3EEiiiSB_iiiSB_iiii
    .private_segment_fixed_size: 0
    .sgpr_count:     40
    .sgpr_spill_count: 0
    .symbol:         _ZL13mul_mat_vec_fI14__hip_bfloat16fLi8ELi96ELb0ELb0EEvPKT_PKfPKi31ggml_cuda_mm_fusion_args_devicePfi15HIP_vector_typeIjLj3EEiiiSB_iiiSB_iiii.kd
    .uniform_work_group_size: 1
    .uses_dynamic_stack: false
    .vgpr_count:     33
    .vgpr_spill_count: 0
    .wavefront_size: 32
    .workgroup_processor_mode: 1
  - .args:
      - .address_space:  global
        .offset:         0
        .size:           8
        .value_kind:     global_buffer
      - .address_space:  global
        .offset:         8
        .size:           8
        .value_kind:     global_buffer
      - .address_space:  global
        .offset:         16
        .size:           8
        .value_kind:     global_buffer
      - .offset:         24
        .size:           32
        .value_kind:     by_value
      - .address_space:  global
        .offset:         56
        .size:           8
        .value_kind:     global_buffer
      - .offset:         64
        .size:           4
        .value_kind:     by_value
      - .offset:         68
        .size:           12
        .value_kind:     by_value
      - .offset:         80
        .size:           4
        .value_kind:     by_value
      - .offset:         84
        .size:           4
        .value_kind:     by_value
      - .offset:         88
        .size:           4
        .value_kind:     by_value
      - .offset:         92
        .size:           12
        .value_kind:     by_value
      - .offset:         104
        .size:           4
        .value_kind:     by_value
      - .offset:         108
        .size:           4
        .value_kind:     by_value
      - .offset:         112
        .size:           4
        .value_kind:     by_value
      - .offset:         116
        .size:           12
        .value_kind:     by_value
      - .offset:         128
        .size:           4
        .value_kind:     by_value
      - .offset:         132
        .size:           4
        .value_kind:     by_value
      - .offset:         136
        .size:           4
        .value_kind:     by_value
      - .offset:         140
        .size:           4
        .value_kind:     by_value
    .group_segment_fixed_size: 0
    .kernarg_segment_align: 8
    .kernarg_segment_size: 144
    .language:       OpenCL C
    .language_version:
      - 2
      - 0
    .max_flat_workgroup_size: 1024
    .name:           _ZL13mul_mat_vec_fI14__hip_bfloat16fLi8ELi128ELb0ELb0EEvPKT_PKfPKi31ggml_cuda_mm_fusion_args_devicePfi15HIP_vector_typeIjLj3EEiiiSB_iiiSB_iiii
    .private_segment_fixed_size: 0
    .sgpr_count:     40
    .sgpr_spill_count: 0
    .symbol:         _ZL13mul_mat_vec_fI14__hip_bfloat16fLi8ELi128ELb0ELb0EEvPKT_PKfPKi31ggml_cuda_mm_fusion_args_devicePfi15HIP_vector_typeIjLj3EEiiiSB_iiiSB_iiii.kd
    .uniform_work_group_size: 1
    .uses_dynamic_stack: false
    .vgpr_count:     33
    .vgpr_spill_count: 0
    .wavefront_size: 32
    .workgroup_processor_mode: 1
  - .args:
      - .address_space:  global
        .offset:         0
        .size:           8
        .value_kind:     global_buffer
      - .address_space:  global
        .offset:         8
        .size:           8
        .value_kind:     global_buffer
      - .address_space:  global
        .offset:         16
        .size:           8
        .value_kind:     global_buffer
      - .offset:         24
        .size:           32
        .value_kind:     by_value
      - .address_space:  global
        .offset:         56
        .size:           8
        .value_kind:     global_buffer
      - .offset:         64
        .size:           4
        .value_kind:     by_value
      - .offset:         68
        .size:           12
        .value_kind:     by_value
      - .offset:         80
        .size:           4
        .value_kind:     by_value
      - .offset:         84
        .size:           4
        .value_kind:     by_value
      - .offset:         88
        .size:           4
        .value_kind:     by_value
      - .offset:         92
        .size:           12
        .value_kind:     by_value
      - .offset:         104
        .size:           4
        .value_kind:     by_value
      - .offset:         108
        .size:           4
        .value_kind:     by_value
      - .offset:         112
        .size:           4
        .value_kind:     by_value
      - .offset:         116
        .size:           12
        .value_kind:     by_value
      - .offset:         128
        .size:           4
        .value_kind:     by_value
      - .offset:         132
        .size:           4
        .value_kind:     by_value
      - .offset:         136
        .size:           4
        .value_kind:     by_value
      - .offset:         140
        .size:           4
        .value_kind:     by_value
    .group_segment_fixed_size: 0
    .kernarg_segment_align: 8
    .kernarg_segment_size: 144
    .language:       OpenCL C
    .language_version:
      - 2
      - 0
    .max_flat_workgroup_size: 1024
    .name:           _ZL13mul_mat_vec_fI14__hip_bfloat16fLi8ELi160ELb0ELb0EEvPKT_PKfPKi31ggml_cuda_mm_fusion_args_devicePfi15HIP_vector_typeIjLj3EEiiiSB_iiiSB_iiii
    .private_segment_fixed_size: 0
    .sgpr_count:     40
    .sgpr_spill_count: 0
    .symbol:         _ZL13mul_mat_vec_fI14__hip_bfloat16fLi8ELi160ELb0ELb0EEvPKT_PKfPKi31ggml_cuda_mm_fusion_args_devicePfi15HIP_vector_typeIjLj3EEiiiSB_iiiSB_iiii.kd
    .uniform_work_group_size: 1
    .uses_dynamic_stack: false
    .vgpr_count:     33
    .vgpr_spill_count: 0
    .wavefront_size: 32
    .workgroup_processor_mode: 1
  - .args:
      - .address_space:  global
        .offset:         0
        .size:           8
        .value_kind:     global_buffer
      - .address_space:  global
        .offset:         8
        .size:           8
        .value_kind:     global_buffer
      - .address_space:  global
        .offset:         16
        .size:           8
        .value_kind:     global_buffer
      - .offset:         24
        .size:           32
        .value_kind:     by_value
      - .address_space:  global
        .offset:         56
        .size:           8
        .value_kind:     global_buffer
      - .offset:         64
        .size:           4
        .value_kind:     by_value
      - .offset:         68
        .size:           12
        .value_kind:     by_value
      - .offset:         80
        .size:           4
        .value_kind:     by_value
      - .offset:         84
        .size:           4
        .value_kind:     by_value
      - .offset:         88
        .size:           4
        .value_kind:     by_value
      - .offset:         92
        .size:           12
        .value_kind:     by_value
      - .offset:         104
        .size:           4
        .value_kind:     by_value
      - .offset:         108
        .size:           4
        .value_kind:     by_value
      - .offset:         112
        .size:           4
        .value_kind:     by_value
      - .offset:         116
        .size:           12
        .value_kind:     by_value
      - .offset:         128
        .size:           4
        .value_kind:     by_value
      - .offset:         132
        .size:           4
        .value_kind:     by_value
      - .offset:         136
        .size:           4
        .value_kind:     by_value
      - .offset:         140
        .size:           4
        .value_kind:     by_value
    .group_segment_fixed_size: 0
    .kernarg_segment_align: 8
    .kernarg_segment_size: 144
    .language:       OpenCL C
    .language_version:
      - 2
      - 0
    .max_flat_workgroup_size: 1024
    .name:           _ZL13mul_mat_vec_fI14__hip_bfloat16fLi8ELi192ELb0ELb0EEvPKT_PKfPKi31ggml_cuda_mm_fusion_args_devicePfi15HIP_vector_typeIjLj3EEiiiSB_iiiSB_iiii
    .private_segment_fixed_size: 0
    .sgpr_count:     40
    .sgpr_spill_count: 0
    .symbol:         _ZL13mul_mat_vec_fI14__hip_bfloat16fLi8ELi192ELb0ELb0EEvPKT_PKfPKi31ggml_cuda_mm_fusion_args_devicePfi15HIP_vector_typeIjLj3EEiiiSB_iiiSB_iiii.kd
    .uniform_work_group_size: 1
    .uses_dynamic_stack: false
    .vgpr_count:     33
    .vgpr_spill_count: 0
    .wavefront_size: 32
    .workgroup_processor_mode: 1
  - .args:
      - .address_space:  global
        .offset:         0
        .size:           8
        .value_kind:     global_buffer
      - .address_space:  global
        .offset:         8
        .size:           8
        .value_kind:     global_buffer
      - .address_space:  global
        .offset:         16
        .size:           8
        .value_kind:     global_buffer
      - .offset:         24
        .size:           32
        .value_kind:     by_value
      - .address_space:  global
        .offset:         56
        .size:           8
        .value_kind:     global_buffer
      - .offset:         64
        .size:           4
        .value_kind:     by_value
      - .offset:         68
        .size:           12
        .value_kind:     by_value
      - .offset:         80
        .size:           4
        .value_kind:     by_value
      - .offset:         84
        .size:           4
        .value_kind:     by_value
      - .offset:         88
        .size:           4
        .value_kind:     by_value
      - .offset:         92
        .size:           12
        .value_kind:     by_value
      - .offset:         104
        .size:           4
        .value_kind:     by_value
      - .offset:         108
        .size:           4
        .value_kind:     by_value
      - .offset:         112
        .size:           4
        .value_kind:     by_value
      - .offset:         116
        .size:           12
        .value_kind:     by_value
      - .offset:         128
        .size:           4
        .value_kind:     by_value
      - .offset:         132
        .size:           4
        .value_kind:     by_value
      - .offset:         136
        .size:           4
        .value_kind:     by_value
      - .offset:         140
        .size:           4
        .value_kind:     by_value
    .group_segment_fixed_size: 0
    .kernarg_segment_align: 8
    .kernarg_segment_size: 144
    .language:       OpenCL C
    .language_version:
      - 2
      - 0
    .max_flat_workgroup_size: 1024
    .name:           _ZL13mul_mat_vec_fI14__hip_bfloat16fLi8ELi224ELb0ELb0EEvPKT_PKfPKi31ggml_cuda_mm_fusion_args_devicePfi15HIP_vector_typeIjLj3EEiiiSB_iiiSB_iiii
    .private_segment_fixed_size: 0
    .sgpr_count:     40
    .sgpr_spill_count: 0
    .symbol:         _ZL13mul_mat_vec_fI14__hip_bfloat16fLi8ELi224ELb0ELb0EEvPKT_PKfPKi31ggml_cuda_mm_fusion_args_devicePfi15HIP_vector_typeIjLj3EEiiiSB_iiiSB_iiii.kd
    .uniform_work_group_size: 1
    .uses_dynamic_stack: false
    .vgpr_count:     33
    .vgpr_spill_count: 0
    .wavefront_size: 32
    .workgroup_processor_mode: 1
  - .args:
      - .address_space:  global
        .offset:         0
        .size:           8
        .value_kind:     global_buffer
      - .address_space:  global
        .offset:         8
        .size:           8
        .value_kind:     global_buffer
      - .address_space:  global
        .offset:         16
        .size:           8
        .value_kind:     global_buffer
      - .offset:         24
        .size:           32
        .value_kind:     by_value
      - .address_space:  global
        .offset:         56
        .size:           8
        .value_kind:     global_buffer
      - .offset:         64
        .size:           4
        .value_kind:     by_value
      - .offset:         68
        .size:           12
        .value_kind:     by_value
      - .offset:         80
        .size:           4
        .value_kind:     by_value
      - .offset:         84
        .size:           4
        .value_kind:     by_value
      - .offset:         88
        .size:           4
        .value_kind:     by_value
      - .offset:         92
        .size:           12
        .value_kind:     by_value
      - .offset:         104
        .size:           4
        .value_kind:     by_value
      - .offset:         108
        .size:           4
        .value_kind:     by_value
      - .offset:         112
        .size:           4
        .value_kind:     by_value
      - .offset:         116
        .size:           12
        .value_kind:     by_value
      - .offset:         128
        .size:           4
        .value_kind:     by_value
      - .offset:         132
        .size:           4
        .value_kind:     by_value
      - .offset:         136
        .size:           4
        .value_kind:     by_value
      - .offset:         140
        .size:           4
        .value_kind:     by_value
    .group_segment_fixed_size: 0
    .kernarg_segment_align: 8
    .kernarg_segment_size: 144
    .language:       OpenCL C
    .language_version:
      - 2
      - 0
    .max_flat_workgroup_size: 1024
    .name:           _ZL13mul_mat_vec_fI14__hip_bfloat16fLi8ELi256ELb0ELb0EEvPKT_PKfPKi31ggml_cuda_mm_fusion_args_devicePfi15HIP_vector_typeIjLj3EEiiiSB_iiiSB_iiii
    .private_segment_fixed_size: 0
    .sgpr_count:     40
    .sgpr_spill_count: 0
    .symbol:         _ZL13mul_mat_vec_fI14__hip_bfloat16fLi8ELi256ELb0ELb0EEvPKT_PKfPKi31ggml_cuda_mm_fusion_args_devicePfi15HIP_vector_typeIjLj3EEiiiSB_iiiSB_iiii.kd
    .uniform_work_group_size: 1
    .uses_dynamic_stack: false
    .vgpr_count:     33
    .vgpr_spill_count: 0
    .wavefront_size: 32
    .workgroup_processor_mode: 1
amdhsa.target:   amdgcn-amd-amdhsa--gfx1030
amdhsa.version:
  - 1
  - 2
...

	.end_amdgpu_metadata
